;; amdgpu-corpus repo=pytorch/pytorch kind=compiled arch=gfx1250 opt=O3
	.amdgcn_target "amdgcn-amd-amdhsa--gfx1250"
	.amdhsa_code_object_version 6
	.section	.text._ZN2at6native29vectorized_elementwise_kernelILi16EZZZNS0_15sin_kernel_cudaERNS_18TensorIteratorBaseEENKUlvE0_clEvENKUlvE_clEvEUldE_St5arrayIPcLm2EEEEviT0_T1_,"axG",@progbits,_ZN2at6native29vectorized_elementwise_kernelILi16EZZZNS0_15sin_kernel_cudaERNS_18TensorIteratorBaseEENKUlvE0_clEvENKUlvE_clEvEUldE_St5arrayIPcLm2EEEEviT0_T1_,comdat
	.globl	_ZN2at6native29vectorized_elementwise_kernelILi16EZZZNS0_15sin_kernel_cudaERNS_18TensorIteratorBaseEENKUlvE0_clEvENKUlvE_clEvEUldE_St5arrayIPcLm2EEEEviT0_T1_ ; -- Begin function _ZN2at6native29vectorized_elementwise_kernelILi16EZZZNS0_15sin_kernel_cudaERNS_18TensorIteratorBaseEENKUlvE0_clEvENKUlvE_clEvEUldE_St5arrayIPcLm2EEEEviT0_T1_
	.p2align	8
	.type	_ZN2at6native29vectorized_elementwise_kernelILi16EZZZNS0_15sin_kernel_cudaERNS_18TensorIteratorBaseEENKUlvE0_clEvENKUlvE_clEvEUldE_St5arrayIPcLm2EEEEviT0_T1_,@function
_ZN2at6native29vectorized_elementwise_kernelILi16EZZZNS0_15sin_kernel_cudaERNS_18TensorIteratorBaseEENKUlvE0_clEvENKUlvE_clEvEUldE_St5arrayIPcLm2EEEEviT0_T1_: ; @_ZN2at6native29vectorized_elementwise_kernelILi16EZZZNS0_15sin_kernel_cudaERNS_18TensorIteratorBaseEENKUlvE0_clEvENKUlvE_clEvEUldE_St5arrayIPcLm2EEEEviT0_T1_
; %bb.0:
	s_clause 0x1
	s_load_b32 s2, s[0:1], 0x0
	s_load_b128 s[8:11], s[0:1], 0x8
	s_wait_xcnt 0x0
	s_bfe_u32 s0, ttmp6, 0x4000c
	s_and_b32 s1, ttmp6, 15
	s_add_co_i32 s0, s0, 1
	s_getreg_b32 s3, hwreg(HW_REG_IB_STS2, 6, 4)
	s_mul_i32 s0, ttmp9, s0
	s_delay_alu instid0(SALU_CYCLE_1) | instskip(SKIP_2) | instid1(SALU_CYCLE_1)
	s_add_co_i32 s1, s1, s0
	s_cmp_eq_u32 s3, 0
	s_cselect_b32 s0, ttmp9, s1
	s_lshl_b32 s12, s0, 10
	s_mov_b32 s0, -1
	s_wait_kmcnt 0x0
	s_sub_co_i32 s7, s2, s12
	s_delay_alu instid0(SALU_CYCLE_1)
	s_cmp_gt_i32 s7, 0x3ff
	s_cbranch_scc0 .LBB0_18
; %bb.1:
	s_ashr_i32 s13, s12, 31
	v_dual_mov_b32 v14, 0 :: v_dual_lshlrev_b32 v1, 5, v0
	s_lshl_b64 s[14:15], s[12:13], 3
                                        ; implicit-def: $vgpr26
                                        ; implicit-def: $vgpr10_vgpr11
                                        ; implicit-def: $vgpr12_vgpr13
	s_delay_alu instid0(SALU_CYCLE_1)
	s_add_nc_u64 s[0:1], s[10:11], s[14:15]
	s_clause 0x1
	global_load_b128 v[6:9], v1, s[0:1]
	global_load_b128 v[2:5], v1, s[0:1] offset:16
	s_wait_loadcnt 0x1
	s_wait_xcnt 0x0
	v_cmp_ngt_f64_e64 s0, 0x41d00000, |v[6:7]|
	s_and_saveexec_b32 s1, s0
	s_delay_alu instid0(SALU_CYCLE_1)
	s_xor_b32 s0, exec_lo, s1
	s_cbranch_execz .LBB0_3
; %bb.2:
	v_ldexp_f64 v[10:11], |v[6:7]|, 0xffffff80
	v_cmp_le_f64_e64 vcc_lo, 0x7b000000, |v[6:7]|
	v_trig_preop_f64 v[12:13], |v[6:7]|, 0
	v_and_b32_e32 v15, 0x7fffffff, v7
	v_trig_preop_f64 v[16:17], |v[6:7]|, 1
	v_trig_preop_f64 v[26:27], |v[6:7]|, 2
	s_mov_b64 s[2:3], 0x3ff921fb54442d18
	s_delay_alu instid0(VALU_DEP_3) | instskip(NEXT) | instid1(VALU_DEP_1)
	v_dual_cndmask_b32 v11, v15, v11 :: v_dual_cndmask_b32 v10, v6, v10
	v_mul_f64_e32 v[18:19], v[12:13], v[10:11]
	s_delay_alu instid0(VALU_DEP_4) | instskip(NEXT) | instid1(VALU_DEP_4)
	v_mul_f64_e32 v[20:21], v[16:17], v[10:11]
	v_mul_f64_e32 v[32:33], v[26:27], v[10:11]
	s_delay_alu instid0(VALU_DEP_3) | instskip(NEXT) | instid1(VALU_DEP_3)
	v_fma_f64 v[12:13], v[12:13], v[10:11], -v[18:19]
	v_fma_f64 v[16:17], v[16:17], v[10:11], -v[20:21]
	s_delay_alu instid0(VALU_DEP_3) | instskip(NEXT) | instid1(VALU_DEP_3)
	v_fma_f64 v[10:11], v[26:27], v[10:11], -v[32:33]
	v_add_f64_e32 v[22:23], v[20:21], v[12:13]
	s_delay_alu instid0(VALU_DEP_1) | instskip(SKIP_1) | instid1(VALU_DEP_2)
	v_add_f64_e64 v[24:25], v[22:23], -v[20:21]
	v_add_f64_e32 v[30:31], v[18:19], v[22:23]
	v_add_f64_e64 v[28:29], v[22:23], -v[24:25]
	v_add_f64_e64 v[12:13], v[12:13], -v[24:25]
	s_delay_alu instid0(VALU_DEP_3) | instskip(NEXT) | instid1(VALU_DEP_3)
	v_ldexp_f64 v[24:25], v[30:31], -2
	v_add_f64_e64 v[20:21], v[20:21], -v[28:29]
	v_add_f64_e32 v[28:29], v[32:33], v[16:17]
	s_delay_alu instid0(VALU_DEP_3) | instskip(NEXT) | instid1(VALU_DEP_3)
	v_cmp_neq_f64_e64 vcc_lo, 0x7ff00000, |v[24:25]|
	v_add_f64_e32 v[12:13], v[12:13], v[20:21]
	v_fract_f64_e32 v[20:21], v[24:25]
	s_delay_alu instid0(VALU_DEP_1) | instskip(NEXT) | instid1(VALU_DEP_1)
	v_ldexp_f64 v[20:21], v[20:21], 2
	v_dual_add_f64 v[18:19], v[30:31], -v[18:19] :: v_dual_cndmask_b32 v21, 0, v21, vcc_lo
	s_delay_alu instid0(VALU_DEP_1) | instskip(SKIP_1) | instid1(VALU_DEP_1)
	v_dual_add_f64 v[18:19], v[22:23], -v[18:19] :: v_dual_cndmask_b32 v20, 0, v20, vcc_lo
	v_add_f64_e32 v[22:23], v[28:29], v[12:13]
	v_add_f64_e32 v[24:25], v[18:19], v[22:23]
	v_add_f64_e64 v[34:35], v[22:23], -v[28:29]
	s_delay_alu instid0(VALU_DEP_2) | instskip(NEXT) | instid1(VALU_DEP_2)
	v_add_f64_e32 v[30:31], v[24:25], v[20:21]
	v_add_f64_e64 v[40:41], v[22:23], -v[34:35]
	v_add_f64_e64 v[12:13], v[12:13], -v[34:35]
	;; [unrolled: 1-line block ×3, first 2 shown]
	s_delay_alu instid0(VALU_DEP_4) | instskip(SKIP_1) | instid1(VALU_DEP_3)
	v_cmp_gt_f64_e32 vcc_lo, 0, v[30:31]
	v_add_f64_e64 v[30:31], v[28:29], -v[32:33]
	v_add_f64_e64 v[18:19], v[22:23], -v[18:19]
	v_cndmask_b32_e64 v15, 0, 0x40100000, vcc_lo
	s_delay_alu instid0(VALU_DEP_3) | instskip(SKIP_2) | instid1(VALU_DEP_4)
	v_add_f64_e64 v[38:39], v[28:29], -v[30:31]
	v_add_f64_e64 v[16:17], v[16:17], -v[30:31]
	;; [unrolled: 1-line block ×3, first 2 shown]
	v_add_f64_e32 v[20:21], v[20:21], v[14:15]
	s_delay_alu instid0(VALU_DEP_4) | instskip(NEXT) | instid1(VALU_DEP_3)
	v_add_f64_e64 v[30:31], v[32:33], -v[38:39]
	v_add_f64_e32 v[12:13], v[12:13], v[28:29]
	s_delay_alu instid0(VALU_DEP_3) | instskip(NEXT) | instid1(VALU_DEP_3)
	v_add_f64_e32 v[36:37], v[24:25], v[20:21]
	v_add_f64_e32 v[16:17], v[16:17], v[30:31]
	s_delay_alu instid0(VALU_DEP_2) | instskip(NEXT) | instid1(VALU_DEP_2)
	v_cvt_i32_f64_e32 v15, v[36:37]
	v_add_f64_e32 v[12:13], v[16:17], v[12:13]
	s_delay_alu instid0(VALU_DEP_2) | instskip(NEXT) | instid1(VALU_DEP_2)
	v_cvt_f64_i32_e32 v[34:35], v15
	v_add_f64_e32 v[10:11], v[10:11], v[12:13]
	s_delay_alu instid0(VALU_DEP_2) | instskip(NEXT) | instid1(VALU_DEP_2)
	v_add_f64_e64 v[20:21], v[20:21], -v[34:35]
	v_add_f64_e32 v[10:11], v[18:19], v[10:11]
	s_delay_alu instid0(VALU_DEP_2) | instskip(NEXT) | instid1(VALU_DEP_1)
	v_add_f64_e32 v[16:17], v[24:25], v[20:21]
	v_add_f64_e64 v[12:13], v[16:17], -v[20:21]
	v_cmp_le_f64_e32 vcc_lo, 0.5, v[16:17]
	s_delay_alu instid0(VALU_DEP_2) | instskip(SKIP_2) | instid1(VALU_DEP_3)
	v_add_f64_e64 v[12:13], v[24:25], -v[12:13]
	v_add_co_ci_u32_e64 v26, null, 0, v15, vcc_lo
	v_cndmask_b32_e64 v15, 0, 0x3ff00000, vcc_lo
	v_add_f64_e32 v[10:11], v[10:11], v[12:13]
	s_delay_alu instid0(VALU_DEP_2) | instskip(NEXT) | instid1(VALU_DEP_1)
	v_add_f64_e64 v[12:13], v[16:17], -v[14:15]
	v_add_f64_e32 v[14:15], v[12:13], v[10:11]
	s_delay_alu instid0(VALU_DEP_1) | instskip(SKIP_1) | instid1(VALU_DEP_2)
	v_mul_f64_e32 v[16:17], 0x3ff921fb54442d18, v[14:15]
	v_add_f64_e64 v[12:13], v[14:15], -v[12:13]
	v_fma_f64 v[18:19], v[14:15], s[2:3], -v[16:17]
	s_delay_alu instid0(VALU_DEP_2) | instskip(NEXT) | instid1(VALU_DEP_2)
	v_add_f64_e64 v[10:11], v[10:11], -v[12:13]
	v_fmamk_f64 v[12:13], v[14:15], 0x3c91a62633145c07, v[18:19]
	s_delay_alu instid0(VALU_DEP_1) | instskip(NEXT) | instid1(VALU_DEP_1)
	v_fmac_f64_e32 v[12:13], 0x3ff921fb54442d18, v[10:11]
	v_add_f64_e32 v[10:11], v[16:17], v[12:13]
	s_delay_alu instid0(VALU_DEP_1) | instskip(NEXT) | instid1(VALU_DEP_1)
	v_add_f64_e64 v[14:15], v[10:11], -v[16:17]
	v_add_f64_e64 v[12:13], v[12:13], -v[14:15]
.LBB0_3:
	s_and_not1_saveexec_b32 s0, s0
	s_cbranch_execz .LBB0_5
; %bb.4:
	s_mov_b64 s[2:3], 0x3fe45f306dc9c883
	s_delay_alu instid0(SALU_CYCLE_1) | instskip(SKIP_1) | instid1(VALU_DEP_1)
	v_mul_f64_e64 v[10:11], |v[6:7]|, s[2:3]
	s_mov_b64 s[2:3], 0xbff921fb54442d18
	v_rndne_f64_e32 v[14:15], v[10:11]
	s_delay_alu instid0(VALU_DEP_1) | instskip(SKIP_2) | instid1(VALU_DEP_3)
	v_fma_f64 v[10:11], v[14:15], s[2:3], |v[6:7]|
	v_mul_f64_e32 v[12:13], 0xbc91a62633145c00, v[14:15]
	v_cvt_i32_f64_e32 v26, v[14:15]
	v_fmamk_f64 v[20:21], v[14:15], 0xbc91a62633145c00, v[10:11]
	s_delay_alu instid0(VALU_DEP_3) | instskip(NEXT) | instid1(VALU_DEP_1)
	v_add_f64_e32 v[16:17], v[10:11], v[12:13]
	v_add_f64_e64 v[18:19], v[10:11], -v[16:17]
	s_delay_alu instid0(VALU_DEP_3) | instskip(NEXT) | instid1(VALU_DEP_2)
	v_add_f64_e64 v[10:11], v[16:17], -v[20:21]
	v_add_f64_e32 v[16:17], v[18:19], v[12:13]
	v_fmamk_f64 v[12:13], v[14:15], 0x3c91a62633145c00, v[12:13]
	s_delay_alu instid0(VALU_DEP_2) | instskip(NEXT) | instid1(VALU_DEP_1)
	v_add_f64_e32 v[10:11], v[10:11], v[16:17]
	v_add_f64_e64 v[10:11], v[10:11], -v[12:13]
	s_delay_alu instid0(VALU_DEP_1) | instskip(NEXT) | instid1(VALU_DEP_1)
	v_fmamk_f64 v[12:13], v[14:15], 0xb97b839a252049c0, v[10:11]
	v_add_f64_e32 v[10:11], v[20:21], v[12:13]
	s_delay_alu instid0(VALU_DEP_1) | instskip(NEXT) | instid1(VALU_DEP_1)
	v_add_f64_e64 v[16:17], v[10:11], -v[20:21]
	v_add_f64_e64 v[12:13], v[12:13], -v[16:17]
.LBB0_5:
	s_or_b32 exec_lo, exec_lo, s0
	v_cmp_ngt_f64_e64 s0, 0x41d00000, |v[8:9]|
                                        ; implicit-def: $vgpr27
                                        ; implicit-def: $vgpr14_vgpr15
                                        ; implicit-def: $vgpr16_vgpr17
	s_and_saveexec_b32 s1, s0
	s_delay_alu instid0(SALU_CYCLE_1)
	s_xor_b32 s0, exec_lo, s1
	s_cbranch_execz .LBB0_7
; %bb.6:
	v_ldexp_f64 v[14:15], |v[8:9]|, 0xffffff80
	v_cmp_le_f64_e64 vcc_lo, 0x7b000000, |v[8:9]|
	v_trig_preop_f64 v[16:17], |v[8:9]|, 0
	v_and_b32_e32 v18, 0x7fffffff, v9
	v_trig_preop_f64 v[30:31], |v[8:9]|, 2
	s_mov_b64 s[2:3], 0x3ff921fb54442d18
	s_delay_alu instid0(VALU_DEP_2) | instskip(SKIP_2) | instid1(VALU_DEP_2)
	v_dual_mov_b32 v38, 0 :: v_dual_cndmask_b32 v15, v18, v15
	v_cndmask_b32_e32 v14, v8, v14, vcc_lo
	v_trig_preop_f64 v[18:19], |v[8:9]|, 1
	v_mul_f64_e32 v[20:21], v[16:17], v[14:15]
	v_mul_f64_e32 v[36:37], v[30:31], v[14:15]
	s_delay_alu instid0(VALU_DEP_3) | instskip(NEXT) | instid1(VALU_DEP_3)
	v_mul_f64_e32 v[22:23], v[18:19], v[14:15]
	v_fma_f64 v[16:17], v[16:17], v[14:15], -v[20:21]
	s_delay_alu instid0(VALU_DEP_2) | instskip(NEXT) | instid1(VALU_DEP_4)
	v_fma_f64 v[18:19], v[18:19], v[14:15], -v[22:23]
	v_fma_f64 v[14:15], v[30:31], v[14:15], -v[36:37]
	s_delay_alu instid0(VALU_DEP_3) | instskip(NEXT) | instid1(VALU_DEP_1)
	v_add_f64_e32 v[24:25], v[22:23], v[16:17]
	v_add_f64_e64 v[28:29], v[24:25], -v[22:23]
	v_add_f64_e32 v[34:35], v[20:21], v[24:25]
	s_delay_alu instid0(VALU_DEP_2) | instskip(SKIP_1) | instid1(VALU_DEP_3)
	v_add_f64_e64 v[32:33], v[24:25], -v[28:29]
	v_add_f64_e64 v[16:17], v[16:17], -v[28:29]
	v_ldexp_f64 v[28:29], v[34:35], -2
	v_add_f64_e64 v[20:21], v[34:35], -v[20:21]
	s_delay_alu instid0(VALU_DEP_4) | instskip(SKIP_1) | instid1(VALU_DEP_4)
	v_add_f64_e64 v[22:23], v[22:23], -v[32:33]
	v_add_f64_e32 v[32:33], v[36:37], v[18:19]
	v_cmp_neq_f64_e64 vcc_lo, 0x7ff00000, |v[28:29]|
	s_delay_alu instid0(VALU_DEP_3) | instskip(SKIP_1) | instid1(VALU_DEP_1)
	v_add_f64_e32 v[16:17], v[16:17], v[22:23]
	v_fract_f64_e32 v[22:23], v[28:29]
	v_ldexp_f64 v[22:23], v[22:23], 2
	s_delay_alu instid0(VALU_DEP_1) | instskip(NEXT) | instid1(VALU_DEP_2)
	v_dual_add_f64 v[20:21], v[24:25], -v[20:21] :: v_dual_cndmask_b32 v23, 0, v23, vcc_lo
	v_dual_add_f64 v[24:25], v[32:33], v[16:17] :: v_dual_cndmask_b32 v22, 0, v22, vcc_lo
	s_delay_alu instid0(VALU_DEP_1) | instskip(SKIP_1) | instid1(VALU_DEP_2)
	v_add_f64_e32 v[28:29], v[20:21], v[24:25]
	v_add_f64_e64 v[40:41], v[24:25], -v[32:33]
	v_add_f64_e32 v[34:35], v[28:29], v[22:23]
	s_delay_alu instid0(VALU_DEP_2) | instskip(SKIP_2) | instid1(VALU_DEP_4)
	v_add_f64_e64 v[46:47], v[24:25], -v[40:41]
	v_add_f64_e64 v[16:17], v[16:17], -v[40:41]
	;; [unrolled: 1-line block ×3, first 2 shown]
	v_cmp_gt_f64_e32 vcc_lo, 0, v[34:35]
	v_add_f64_e64 v[34:35], v[32:33], -v[36:37]
	s_delay_alu instid0(VALU_DEP_3) | instskip(SKIP_1) | instid1(VALU_DEP_3)
	v_add_f64_e64 v[20:21], v[24:25], -v[20:21]
	v_cndmask_b32_e64 v39, 0, 0x40100000, vcc_lo
	v_add_f64_e64 v[44:45], v[32:33], -v[34:35]
	v_add_f64_e64 v[18:19], v[18:19], -v[34:35]
	;; [unrolled: 1-line block ×3, first 2 shown]
	s_delay_alu instid0(VALU_DEP_4) | instskip(NEXT) | instid1(VALU_DEP_4)
	v_add_f64_e32 v[22:23], v[22:23], v[38:39]
	v_add_f64_e64 v[34:35], v[36:37], -v[44:45]
	s_delay_alu instid0(VALU_DEP_3) | instskip(NEXT) | instid1(VALU_DEP_3)
	v_add_f64_e32 v[16:17], v[16:17], v[32:33]
	v_add_f64_e32 v[42:43], v[28:29], v[22:23]
	s_delay_alu instid0(VALU_DEP_3) | instskip(NEXT) | instid1(VALU_DEP_2)
	v_add_f64_e32 v[18:19], v[18:19], v[34:35]
	v_cvt_i32_f64_e32 v27, v[42:43]
	s_delay_alu instid0(VALU_DEP_2) | instskip(NEXT) | instid1(VALU_DEP_2)
	v_add_f64_e32 v[16:17], v[18:19], v[16:17]
	v_cvt_f64_i32_e32 v[40:41], v27
	s_delay_alu instid0(VALU_DEP_2) | instskip(NEXT) | instid1(VALU_DEP_2)
	v_add_f64_e32 v[14:15], v[14:15], v[16:17]
	v_add_f64_e64 v[22:23], v[22:23], -v[40:41]
	s_delay_alu instid0(VALU_DEP_2) | instskip(NEXT) | instid1(VALU_DEP_2)
	v_add_f64_e32 v[14:15], v[20:21], v[14:15]
	v_add_f64_e32 v[18:19], v[28:29], v[22:23]
	s_delay_alu instid0(VALU_DEP_1) | instskip(SKIP_1) | instid1(VALU_DEP_2)
	v_add_f64_e64 v[16:17], v[18:19], -v[22:23]
	v_cmp_le_f64_e32 vcc_lo, 0.5, v[18:19]
	v_add_f64_e64 v[16:17], v[28:29], -v[16:17]
	v_cndmask_b32_e64 v39, 0, 0x3ff00000, vcc_lo
	v_add_co_ci_u32_e64 v27, null, 0, v27, vcc_lo
	s_delay_alu instid0(VALU_DEP_3) | instskip(NEXT) | instid1(VALU_DEP_3)
	v_add_f64_e32 v[14:15], v[14:15], v[16:17]
	v_add_f64_e64 v[16:17], v[18:19], -v[38:39]
	s_delay_alu instid0(VALU_DEP_1) | instskip(NEXT) | instid1(VALU_DEP_1)
	v_add_f64_e32 v[18:19], v[16:17], v[14:15]
	v_mul_f64_e32 v[20:21], 0x3ff921fb54442d18, v[18:19]
	v_add_f64_e64 v[16:17], v[18:19], -v[16:17]
	s_delay_alu instid0(VALU_DEP_2) | instskip(NEXT) | instid1(VALU_DEP_2)
	v_fma_f64 v[22:23], v[18:19], s[2:3], -v[20:21]
	v_add_f64_e64 v[14:15], v[14:15], -v[16:17]
	s_delay_alu instid0(VALU_DEP_2) | instskip(NEXT) | instid1(VALU_DEP_1)
	v_fmamk_f64 v[16:17], v[18:19], 0x3c91a62633145c07, v[22:23]
	v_fmac_f64_e32 v[16:17], 0x3ff921fb54442d18, v[14:15]
	s_delay_alu instid0(VALU_DEP_1) | instskip(NEXT) | instid1(VALU_DEP_1)
	v_add_f64_e32 v[14:15], v[20:21], v[16:17]
	v_add_f64_e64 v[18:19], v[14:15], -v[20:21]
	s_delay_alu instid0(VALU_DEP_1)
	v_add_f64_e64 v[16:17], v[16:17], -v[18:19]
.LBB0_7:
	s_and_not1_saveexec_b32 s0, s0
	s_cbranch_execz .LBB0_9
; %bb.8:
	s_mov_b64 s[2:3], 0x3fe45f306dc9c883
	s_delay_alu instid0(SALU_CYCLE_1) | instskip(SKIP_1) | instid1(VALU_DEP_1)
	v_mul_f64_e64 v[14:15], |v[8:9]|, s[2:3]
	s_mov_b64 s[2:3], 0xbff921fb54442d18
	v_rndne_f64_e32 v[18:19], v[14:15]
	s_delay_alu instid0(VALU_DEP_1) | instskip(SKIP_2) | instid1(VALU_DEP_3)
	v_fma_f64 v[14:15], v[18:19], s[2:3], |v[8:9]|
	v_mul_f64_e32 v[16:17], 0xbc91a62633145c00, v[18:19]
	v_cvt_i32_f64_e32 v27, v[18:19]
	v_fmamk_f64 v[24:25], v[18:19], 0xbc91a62633145c00, v[14:15]
	s_delay_alu instid0(VALU_DEP_3) | instskip(NEXT) | instid1(VALU_DEP_1)
	v_add_f64_e32 v[20:21], v[14:15], v[16:17]
	v_add_f64_e64 v[22:23], v[14:15], -v[20:21]
	s_delay_alu instid0(VALU_DEP_3) | instskip(NEXT) | instid1(VALU_DEP_2)
	v_add_f64_e64 v[14:15], v[20:21], -v[24:25]
	v_add_f64_e32 v[20:21], v[22:23], v[16:17]
	v_fmamk_f64 v[16:17], v[18:19], 0x3c91a62633145c00, v[16:17]
	s_delay_alu instid0(VALU_DEP_2) | instskip(NEXT) | instid1(VALU_DEP_1)
	v_add_f64_e32 v[14:15], v[14:15], v[20:21]
	v_add_f64_e64 v[14:15], v[14:15], -v[16:17]
	s_delay_alu instid0(VALU_DEP_1) | instskip(NEXT) | instid1(VALU_DEP_1)
	v_fmamk_f64 v[16:17], v[18:19], 0xb97b839a252049c0, v[14:15]
	v_add_f64_e32 v[14:15], v[24:25], v[16:17]
	s_delay_alu instid0(VALU_DEP_1) | instskip(NEXT) | instid1(VALU_DEP_1)
	v_add_f64_e64 v[20:21], v[14:15], -v[24:25]
	v_add_f64_e64 v[16:17], v[16:17], -v[20:21]
.LBB0_9:
	s_or_b32 exec_lo, exec_lo, s0
	s_wait_loadcnt 0x0
	v_cmp_ngt_f64_e64 s0, 0x41d00000, |v[2:3]|
                                        ; implicit-def: $vgpr28
                                        ; implicit-def: $vgpr18_vgpr19
                                        ; implicit-def: $vgpr20_vgpr21
	s_and_saveexec_b32 s1, s0
	s_delay_alu instid0(SALU_CYCLE_1)
	s_xor_b32 s0, exec_lo, s1
	s_cbranch_execz .LBB0_11
; %bb.10:
	v_ldexp_f64 v[18:19], |v[2:3]|, 0xffffff80
	v_cmp_le_f64_e64 vcc_lo, 0x7b000000, |v[2:3]|
	v_trig_preop_f64 v[20:21], |v[2:3]|, 0
	v_and_b32_e32 v22, 0x7fffffff, v3
	v_trig_preop_f64 v[34:35], |v[2:3]|, 2
	s_mov_b64 s[2:3], 0x3ff921fb54442d18
	s_delay_alu instid0(VALU_DEP_2) | instskip(SKIP_2) | instid1(VALU_DEP_2)
	v_dual_mov_b32 v42, 0 :: v_dual_cndmask_b32 v19, v22, v19
	v_cndmask_b32_e32 v18, v2, v18, vcc_lo
	v_trig_preop_f64 v[22:23], |v[2:3]|, 1
	v_mul_f64_e32 v[24:25], v[20:21], v[18:19]
	s_delay_alu instid0(VALU_DEP_2) | instskip(NEXT) | instid1(VALU_DEP_2)
	v_mul_f64_e32 v[28:29], v[22:23], v[18:19]
	v_fma_f64 v[20:21], v[20:21], v[18:19], -v[24:25]
	s_delay_alu instid0(VALU_DEP_1) | instskip(NEXT) | instid1(VALU_DEP_1)
	v_add_f64_e32 v[30:31], v[28:29], v[20:21]
	v_add_f64_e64 v[32:33], v[30:31], -v[28:29]
	v_add_f64_e32 v[38:39], v[24:25], v[30:31]
	s_delay_alu instid0(VALU_DEP_2) | instskip(SKIP_2) | instid1(VALU_DEP_4)
	v_add_f64_e64 v[36:37], v[30:31], -v[32:33]
	v_add_f64_e64 v[20:21], v[20:21], -v[32:33]
	v_fma_f64 v[22:23], v[22:23], v[18:19], -v[28:29]
	v_ldexp_f64 v[32:33], v[38:39], -2
	v_mul_f64_e32 v[40:41], v[34:35], v[18:19]
	v_add_f64_e64 v[28:29], v[28:29], -v[36:37]
	s_delay_alu instid0(VALU_DEP_3) | instskip(NEXT) | instid1(VALU_DEP_3)
	v_cmp_neq_f64_e64 vcc_lo, 0x7ff00000, |v[32:33]|
	v_add_f64_e32 v[36:37], v[40:41], v[22:23]
	v_fma_f64 v[18:19], v[34:35], v[18:19], -v[40:41]
	s_delay_alu instid0(VALU_DEP_4) | instskip(SKIP_1) | instid1(VALU_DEP_1)
	v_add_f64_e32 v[20:21], v[20:21], v[28:29]
	v_fract_f64_e32 v[28:29], v[32:33]
	v_ldexp_f64 v[28:29], v[28:29], 2
	s_delay_alu instid0(VALU_DEP_1) | instskip(SKIP_1) | instid1(VALU_DEP_3)
	v_cndmask_b32_e32 v29, 0, v29, vcc_lo
	v_add_f64_e64 v[24:25], v[38:39], -v[24:25]
	v_cndmask_b32_e32 v28, 0, v28, vcc_lo
	s_delay_alu instid0(VALU_DEP_2) | instskip(SKIP_1) | instid1(VALU_DEP_1)
	v_add_f64_e64 v[24:25], v[30:31], -v[24:25]
	v_add_f64_e32 v[30:31], v[36:37], v[20:21]
	v_add_f64_e32 v[32:33], v[24:25], v[30:31]
	v_add_f64_e64 v[44:45], v[30:31], -v[36:37]
	s_delay_alu instid0(VALU_DEP_2) | instskip(NEXT) | instid1(VALU_DEP_2)
	v_add_f64_e32 v[38:39], v[32:33], v[28:29]
	v_add_f64_e64 v[50:51], v[30:31], -v[44:45]
	v_add_f64_e64 v[20:21], v[20:21], -v[44:45]
	;; [unrolled: 1-line block ×3, first 2 shown]
	s_delay_alu instid0(VALU_DEP_4) | instskip(SKIP_1) | instid1(VALU_DEP_3)
	v_cmp_gt_f64_e32 vcc_lo, 0, v[38:39]
	v_add_f64_e64 v[38:39], v[36:37], -v[40:41]
	v_add_f64_e64 v[24:25], v[30:31], -v[24:25]
	v_cndmask_b32_e64 v43, 0, 0x40100000, vcc_lo
	s_delay_alu instid0(VALU_DEP_3) | instskip(SKIP_2) | instid1(VALU_DEP_4)
	v_add_f64_e64 v[48:49], v[36:37], -v[38:39]
	v_add_f64_e64 v[22:23], v[22:23], -v[38:39]
	;; [unrolled: 1-line block ×3, first 2 shown]
	v_add_f64_e32 v[28:29], v[28:29], v[42:43]
	s_delay_alu instid0(VALU_DEP_4) | instskip(NEXT) | instid1(VALU_DEP_3)
	v_add_f64_e64 v[38:39], v[40:41], -v[48:49]
	v_add_f64_e32 v[20:21], v[20:21], v[36:37]
	s_delay_alu instid0(VALU_DEP_3) | instskip(NEXT) | instid1(VALU_DEP_3)
	v_add_f64_e32 v[46:47], v[32:33], v[28:29]
	v_add_f64_e32 v[22:23], v[22:23], v[38:39]
	s_delay_alu instid0(VALU_DEP_2) | instskip(NEXT) | instid1(VALU_DEP_2)
	v_cvt_i32_f64_e32 v43, v[46:47]
	v_add_f64_e32 v[20:21], v[22:23], v[20:21]
	s_delay_alu instid0(VALU_DEP_2) | instskip(NEXT) | instid1(VALU_DEP_2)
	v_cvt_f64_i32_e32 v[44:45], v43
	v_add_f64_e32 v[18:19], v[18:19], v[20:21]
	s_delay_alu instid0(VALU_DEP_2) | instskip(NEXT) | instid1(VALU_DEP_2)
	v_add_f64_e64 v[28:29], v[28:29], -v[44:45]
	v_add_f64_e32 v[18:19], v[24:25], v[18:19]
	s_delay_alu instid0(VALU_DEP_2) | instskip(NEXT) | instid1(VALU_DEP_1)
	v_add_f64_e32 v[22:23], v[32:33], v[28:29]
	v_add_f64_e64 v[20:21], v[22:23], -v[28:29]
	v_cmp_le_f64_e32 vcc_lo, 0.5, v[22:23]
	s_delay_alu instid0(VALU_DEP_2) | instskip(SKIP_2) | instid1(VALU_DEP_3)
	v_add_f64_e64 v[20:21], v[32:33], -v[20:21]
	v_add_co_ci_u32_e64 v28, null, 0, v43, vcc_lo
	v_cndmask_b32_e64 v43, 0, 0x3ff00000, vcc_lo
	v_add_f64_e32 v[18:19], v[18:19], v[20:21]
	s_delay_alu instid0(VALU_DEP_2) | instskip(NEXT) | instid1(VALU_DEP_1)
	v_add_f64_e64 v[20:21], v[22:23], -v[42:43]
	v_add_f64_e32 v[22:23], v[20:21], v[18:19]
	s_delay_alu instid0(VALU_DEP_1) | instskip(SKIP_1) | instid1(VALU_DEP_2)
	v_mul_f64_e32 v[24:25], 0x3ff921fb54442d18, v[22:23]
	v_add_f64_e64 v[20:21], v[22:23], -v[20:21]
	v_fma_f64 v[30:31], v[22:23], s[2:3], -v[24:25]
	s_delay_alu instid0(VALU_DEP_2) | instskip(NEXT) | instid1(VALU_DEP_2)
	v_add_f64_e64 v[18:19], v[18:19], -v[20:21]
	v_fmamk_f64 v[20:21], v[22:23], 0x3c91a62633145c07, v[30:31]
	s_delay_alu instid0(VALU_DEP_1) | instskip(NEXT) | instid1(VALU_DEP_1)
	v_fmac_f64_e32 v[20:21], 0x3ff921fb54442d18, v[18:19]
	v_add_f64_e32 v[18:19], v[24:25], v[20:21]
	s_delay_alu instid0(VALU_DEP_1) | instskip(NEXT) | instid1(VALU_DEP_1)
	v_add_f64_e64 v[22:23], v[18:19], -v[24:25]
	v_add_f64_e64 v[20:21], v[20:21], -v[22:23]
.LBB0_11:
	s_and_not1_saveexec_b32 s0, s0
	s_cbranch_execz .LBB0_13
; %bb.12:
	s_mov_b64 s[2:3], 0x3fe45f306dc9c883
	s_delay_alu instid0(SALU_CYCLE_1) | instskip(SKIP_1) | instid1(VALU_DEP_1)
	v_mul_f64_e64 v[18:19], |v[2:3]|, s[2:3]
	s_mov_b64 s[2:3], 0xbff921fb54442d18
	v_rndne_f64_e32 v[22:23], v[18:19]
	s_delay_alu instid0(VALU_DEP_1) | instskip(SKIP_1) | instid1(VALU_DEP_2)
	v_fma_f64 v[18:19], v[22:23], s[2:3], |v[2:3]|
	v_mul_f64_e32 v[20:21], 0xbc91a62633145c00, v[22:23]
	v_fmamk_f64 v[30:31], v[22:23], 0xbc91a62633145c00, v[18:19]
	s_delay_alu instid0(VALU_DEP_2) | instskip(NEXT) | instid1(VALU_DEP_1)
	v_add_f64_e32 v[24:25], v[18:19], v[20:21]
	v_add_f64_e64 v[28:29], v[18:19], -v[24:25]
	s_delay_alu instid0(VALU_DEP_3) | instskip(NEXT) | instid1(VALU_DEP_2)
	v_add_f64_e64 v[18:19], v[24:25], -v[30:31]
	v_add_f64_e32 v[24:25], v[28:29], v[20:21]
	v_fmamk_f64 v[20:21], v[22:23], 0x3c91a62633145c00, v[20:21]
	v_cvt_i32_f64_e32 v28, v[22:23]
	s_delay_alu instid0(VALU_DEP_3) | instskip(NEXT) | instid1(VALU_DEP_1)
	v_add_f64_e32 v[18:19], v[18:19], v[24:25]
	v_add_f64_e64 v[18:19], v[18:19], -v[20:21]
	s_delay_alu instid0(VALU_DEP_1) | instskip(NEXT) | instid1(VALU_DEP_1)
	v_fmamk_f64 v[20:21], v[22:23], 0xb97b839a252049c0, v[18:19]
	v_add_f64_e32 v[18:19], v[30:31], v[20:21]
	s_delay_alu instid0(VALU_DEP_1) | instskip(NEXT) | instid1(VALU_DEP_1)
	v_add_f64_e64 v[24:25], v[18:19], -v[30:31]
	v_add_f64_e64 v[20:21], v[20:21], -v[24:25]
.LBB0_13:
	s_or_b32 exec_lo, exec_lo, s0
	v_cmp_ngt_f64_e64 s0, 0x41d00000, |v[4:5]|
                                        ; implicit-def: $vgpr29
                                        ; implicit-def: $vgpr22_vgpr23
                                        ; implicit-def: $vgpr24_vgpr25
	s_and_saveexec_b32 s1, s0
	s_delay_alu instid0(SALU_CYCLE_1)
	s_xor_b32 s0, exec_lo, s1
	s_cbranch_execz .LBB0_15
; %bb.14:
	v_ldexp_f64 v[22:23], |v[4:5]|, 0xffffff80
	v_cmp_le_f64_e64 vcc_lo, 0x7b000000, |v[4:5]|
	v_trig_preop_f64 v[24:25], |v[4:5]|, 0
	v_and_b32_e32 v29, 0x7fffffff, v5
	v_trig_preop_f64 v[30:31], |v[4:5]|, 1
	v_trig_preop_f64 v[40:41], |v[4:5]|, 2
	s_mov_b64 s[2:3], 0x3ff921fb54442d18
	s_delay_alu instid0(VALU_DEP_3) | instskip(SKIP_1) | instid1(VALU_DEP_1)
	v_dual_mov_b32 v48, 0 :: v_dual_cndmask_b32 v23, v29, v23
	v_cndmask_b32_e32 v22, v4, v22, vcc_lo
	v_mul_f64_e32 v[32:33], v[24:25], v[22:23]
	v_mul_f64_e32 v[34:35], v[30:31], v[22:23]
	;; [unrolled: 1-line block ×3, first 2 shown]
	s_delay_alu instid0(VALU_DEP_3) | instskip(NEXT) | instid1(VALU_DEP_3)
	v_fma_f64 v[24:25], v[24:25], v[22:23], -v[32:33]
	v_fma_f64 v[30:31], v[30:31], v[22:23], -v[34:35]
	s_delay_alu instid0(VALU_DEP_3) | instskip(NEXT) | instid1(VALU_DEP_3)
	v_fma_f64 v[22:23], v[40:41], v[22:23], -v[46:47]
	v_add_f64_e32 v[36:37], v[34:35], v[24:25]
	s_delay_alu instid0(VALU_DEP_1) | instskip(SKIP_1) | instid1(VALU_DEP_2)
	v_add_f64_e64 v[38:39], v[36:37], -v[34:35]
	v_add_f64_e32 v[44:45], v[32:33], v[36:37]
	v_add_f64_e64 v[42:43], v[36:37], -v[38:39]
	v_add_f64_e64 v[24:25], v[24:25], -v[38:39]
	s_delay_alu instid0(VALU_DEP_3) | instskip(NEXT) | instid1(VALU_DEP_3)
	v_ldexp_f64 v[38:39], v[44:45], -2
	v_add_f64_e64 v[34:35], v[34:35], -v[42:43]
	v_add_f64_e32 v[42:43], v[46:47], v[30:31]
	s_delay_alu instid0(VALU_DEP_3) | instskip(NEXT) | instid1(VALU_DEP_3)
	v_cmp_neq_f64_e64 vcc_lo, 0x7ff00000, |v[38:39]|
	v_add_f64_e32 v[24:25], v[24:25], v[34:35]
	v_fract_f64_e32 v[34:35], v[38:39]
	s_delay_alu instid0(VALU_DEP_1) | instskip(NEXT) | instid1(VALU_DEP_1)
	v_ldexp_f64 v[34:35], v[34:35], 2
	v_dual_add_f64 v[32:33], v[44:45], -v[32:33] :: v_dual_cndmask_b32 v34, 0, v34, vcc_lo
	s_delay_alu instid0(VALU_DEP_1) | instskip(SKIP_1) | instid1(VALU_DEP_1)
	v_dual_add_f64 v[32:33], v[36:37], -v[32:33] :: v_dual_cndmask_b32 v35, 0, v35, vcc_lo
	v_add_f64_e32 v[36:37], v[42:43], v[24:25]
	v_add_f64_e32 v[38:39], v[32:33], v[36:37]
	v_add_f64_e64 v[50:51], v[36:37], -v[42:43]
	s_delay_alu instid0(VALU_DEP_2) | instskip(NEXT) | instid1(VALU_DEP_2)
	v_add_f64_e32 v[44:45], v[38:39], v[34:35]
	v_add_f64_e64 v[56:57], v[36:37], -v[50:51]
	v_add_f64_e64 v[24:25], v[24:25], -v[50:51]
	;; [unrolled: 1-line block ×3, first 2 shown]
	s_delay_alu instid0(VALU_DEP_4) | instskip(SKIP_1) | instid1(VALU_DEP_3)
	v_cmp_gt_f64_e32 vcc_lo, 0, v[44:45]
	v_add_f64_e64 v[44:45], v[42:43], -v[46:47]
	v_add_f64_e64 v[32:33], v[36:37], -v[32:33]
	v_cndmask_b32_e64 v49, 0, 0x40100000, vcc_lo
	s_delay_alu instid0(VALU_DEP_3) | instskip(SKIP_2) | instid1(VALU_DEP_4)
	v_add_f64_e64 v[54:55], v[42:43], -v[44:45]
	v_add_f64_e64 v[30:31], v[30:31], -v[44:45]
	;; [unrolled: 1-line block ×3, first 2 shown]
	v_add_f64_e32 v[34:35], v[34:35], v[48:49]
	s_delay_alu instid0(VALU_DEP_4) | instskip(NEXT) | instid1(VALU_DEP_3)
	v_add_f64_e64 v[44:45], v[46:47], -v[54:55]
	v_add_f64_e32 v[24:25], v[24:25], v[42:43]
	s_delay_alu instid0(VALU_DEP_3) | instskip(NEXT) | instid1(VALU_DEP_3)
	v_add_f64_e32 v[52:53], v[38:39], v[34:35]
	v_add_f64_e32 v[30:31], v[30:31], v[44:45]
	s_delay_alu instid0(VALU_DEP_2) | instskip(NEXT) | instid1(VALU_DEP_2)
	v_cvt_i32_f64_e32 v29, v[52:53]
	v_add_f64_e32 v[24:25], v[30:31], v[24:25]
	s_delay_alu instid0(VALU_DEP_2) | instskip(NEXT) | instid1(VALU_DEP_2)
	v_cvt_f64_i32_e32 v[50:51], v29
	v_add_f64_e32 v[22:23], v[22:23], v[24:25]
	s_delay_alu instid0(VALU_DEP_2) | instskip(NEXT) | instid1(VALU_DEP_2)
	v_add_f64_e64 v[34:35], v[34:35], -v[50:51]
	v_add_f64_e32 v[22:23], v[32:33], v[22:23]
	s_delay_alu instid0(VALU_DEP_2) | instskip(NEXT) | instid1(VALU_DEP_1)
	v_add_f64_e32 v[30:31], v[38:39], v[34:35]
	v_add_f64_e64 v[24:25], v[30:31], -v[34:35]
	v_cmp_le_f64_e32 vcc_lo, 0.5, v[30:31]
	s_delay_alu instid0(VALU_DEP_2) | instskip(SKIP_2) | instid1(VALU_DEP_3)
	v_add_f64_e64 v[24:25], v[38:39], -v[24:25]
	v_cndmask_b32_e64 v49, 0, 0x3ff00000, vcc_lo
	v_add_co_ci_u32_e64 v29, null, 0, v29, vcc_lo
	v_add_f64_e32 v[22:23], v[22:23], v[24:25]
	s_delay_alu instid0(VALU_DEP_3) | instskip(NEXT) | instid1(VALU_DEP_1)
	v_add_f64_e64 v[24:25], v[30:31], -v[48:49]
	v_add_f64_e32 v[30:31], v[24:25], v[22:23]
	s_delay_alu instid0(VALU_DEP_1) | instskip(SKIP_1) | instid1(VALU_DEP_2)
	v_mul_f64_e32 v[32:33], 0x3ff921fb54442d18, v[30:31]
	v_add_f64_e64 v[24:25], v[30:31], -v[24:25]
	v_fma_f64 v[34:35], v[30:31], s[2:3], -v[32:33]
	s_delay_alu instid0(VALU_DEP_2) | instskip(NEXT) | instid1(VALU_DEP_2)
	v_add_f64_e64 v[22:23], v[22:23], -v[24:25]
	v_fmamk_f64 v[24:25], v[30:31], 0x3c91a62633145c07, v[34:35]
	s_delay_alu instid0(VALU_DEP_1) | instskip(NEXT) | instid1(VALU_DEP_1)
	v_fmac_f64_e32 v[24:25], 0x3ff921fb54442d18, v[22:23]
	v_add_f64_e32 v[22:23], v[32:33], v[24:25]
	s_delay_alu instid0(VALU_DEP_1) | instskip(NEXT) | instid1(VALU_DEP_1)
	v_add_f64_e64 v[30:31], v[22:23], -v[32:33]
	v_add_f64_e64 v[24:25], v[24:25], -v[30:31]
.LBB0_15:
	s_and_not1_saveexec_b32 s0, s0
	s_cbranch_execz .LBB0_17
; %bb.16:
	s_mov_b64 s[2:3], 0x3fe45f306dc9c883
	s_delay_alu instid0(SALU_CYCLE_1) | instskip(SKIP_1) | instid1(VALU_DEP_1)
	v_mul_f64_e64 v[22:23], |v[4:5]|, s[2:3]
	s_mov_b64 s[2:3], 0xbff921fb54442d18
	v_rndne_f64_e32 v[30:31], v[22:23]
	s_delay_alu instid0(VALU_DEP_1) | instskip(SKIP_2) | instid1(VALU_DEP_3)
	v_fma_f64 v[22:23], v[30:31], s[2:3], |v[4:5]|
	v_mul_f64_e32 v[24:25], 0xbc91a62633145c00, v[30:31]
	v_cvt_i32_f64_e32 v29, v[30:31]
	v_fmamk_f64 v[36:37], v[30:31], 0xbc91a62633145c00, v[22:23]
	s_delay_alu instid0(VALU_DEP_3) | instskip(NEXT) | instid1(VALU_DEP_1)
	v_add_f64_e32 v[32:33], v[22:23], v[24:25]
	v_add_f64_e64 v[34:35], v[22:23], -v[32:33]
	s_delay_alu instid0(VALU_DEP_3) | instskip(NEXT) | instid1(VALU_DEP_2)
	v_add_f64_e64 v[22:23], v[32:33], -v[36:37]
	v_add_f64_e32 v[32:33], v[34:35], v[24:25]
	v_fmamk_f64 v[24:25], v[30:31], 0x3c91a62633145c00, v[24:25]
	s_delay_alu instid0(VALU_DEP_2) | instskip(NEXT) | instid1(VALU_DEP_1)
	v_add_f64_e32 v[22:23], v[22:23], v[32:33]
	v_add_f64_e64 v[22:23], v[22:23], -v[24:25]
	s_delay_alu instid0(VALU_DEP_1) | instskip(NEXT) | instid1(VALU_DEP_1)
	v_fmamk_f64 v[24:25], v[30:31], 0xb97b839a252049c0, v[22:23]
	v_add_f64_e32 v[22:23], v[36:37], v[24:25]
	s_delay_alu instid0(VALU_DEP_1) | instskip(NEXT) | instid1(VALU_DEP_1)
	v_add_f64_e64 v[32:33], v[22:23], -v[36:37]
	v_add_f64_e64 v[24:25], v[24:25], -v[32:33]
.LBB0_17:
	s_or_b32 exec_lo, exec_lo, s0
	v_mul_f64_e32 v[32:33], v[14:15], v[14:15]
	v_mul_f64_e32 v[30:31], v[18:19], v[18:19]
	v_cmp_class_f64_e64 s0, v[2:3], 0x1f8
	v_lshlrev_b32_e32 v2, 30, v28
	v_mov_b64_e32 v[44:45], 0xbe5ae600b42fdfa7
	v_mul_f64_e32 v[46:47], 0.5, v[20:21]
	v_cmp_class_f64_e64 s6, v[4:5], 0x1f8
	v_cmp_class_f64_e64 s2, v[8:9], 0x1f8
	v_mov_b64_e32 v[56:57], 0x3e21eeb69037ab78
	v_cmp_class_f64_e64 s4, v[6:7], 0x1f8
	v_dual_lshlrev_b32 v8, 30, v29 :: v_dual_lshlrev_b32 v4, 30, v27
	v_dual_lshlrev_b32 v6, 30, v26 :: v_dual_bitop2_b32 v2, v2, v3 bitop3:0x14
	s_delay_alu instid0(VALU_DEP_2) | instskip(NEXT) | instid1(VALU_DEP_3)
	v_xor_b32_e32 v5, v8, v5
	v_xor_b32_e32 v4, v4, v9
	s_delay_alu instid0(VALU_DEP_3)
	v_dual_mul_f64 v[36:37], 0.5, v[32:33] :: v_dual_bitop2_b32 v6, v6, v7 bitop3:0x14
	v_mul_f64_e32 v[34:35], 0.5, v[30:31]
	v_mul_f64_e64 v[48:49], v[18:19], -v[30:31]
	v_fmamk_f64 v[50:51], v[30:31], 0x3de5e0b2f9a43bb8, v[44:45]
	v_fmamk_f64 v[58:59], v[30:31], 0xbda907db46cc5e42, v[56:57]
	v_mul_f64_e64 v[54:55], v[14:15], -v[32:33]
	s_delay_alu instid0(VALU_DEP_3) | instskip(NEXT) | instid1(VALU_DEP_3)
	v_fmaak_f64 v[50:51], v[30:31], v[50:51], 0x3ec71de3796cde01
	v_fmaak_f64 v[58:59], v[30:31], v[58:59], 0xbe927e4fa17f65f6
	s_delay_alu instid0(VALU_DEP_2) | instskip(NEXT) | instid1(VALU_DEP_2)
	v_fmaak_f64 v[50:51], v[30:31], v[50:51], 0xbf2a01a019e83e5c
	v_fmaak_f64 v[58:59], v[30:31], v[58:59], 0x3efa01a019f4ec90
	s_delay_alu instid0(VALU_DEP_1) | instskip(SKIP_2) | instid1(VALU_DEP_2)
	v_fmaak_f64 v[58:59], v[30:31], v[58:59], 0xbf56c16c16c16967
	v_add_f64_e64 v[40:41], -v[36:37], 1.0
	v_add_f64_e64 v[38:39], -v[34:35], 1.0
	;; [unrolled: 1-line block ×3, first 2 shown]
	s_delay_alu instid0(VALU_DEP_2) | instskip(NEXT) | instid1(VALU_DEP_2)
	v_add_f64_e64 v[42:43], -v[38:39], 1.0
	v_add_f64_e64 v[36:37], v[52:53], -v[36:37]
	s_delay_alu instid0(VALU_DEP_2) | instskip(SKIP_2) | instid1(VALU_DEP_2)
	v_add_f64_e64 v[34:35], v[42:43], -v[34:35]
	v_fmaak_f64 v[42:43], v[30:31], v[50:51], 0x3f81111111110bb3
	v_mul_f64_e32 v[52:53], v[30:31], v[30:31]
	v_fmac_f64_e32 v[46:47], v[48:49], v[42:43]
	v_fmamk_f64 v[42:43], v[32:33], 0x3de5e0b2f9a43bb8, v[44:45]
	s_delay_alu instid0(VALU_DEP_1) | instskip(NEXT) | instid1(VALU_DEP_1)
	v_fmaak_f64 v[42:43], v[32:33], v[42:43], 0x3ec71de3796cde01
	v_fmaak_f64 v[42:43], v[32:33], v[42:43], 0xbf2a01a019e83e5c
	s_delay_alu instid0(VALU_DEP_1)
	v_fmaak_f64 v[42:43], v[32:33], v[42:43], 0x3f81111111110bb3
	v_fma_f64 v[36:37], v[14:15], -v[16:17], v[36:37]
	v_fma_f64 v[34:35], v[18:19], -v[20:21], v[34:35]
	v_fma_f64 v[20:21], v[30:31], v[46:47], -v[20:21]
	v_fmaak_f64 v[30:31], v[30:31], v[58:59], 0x3fa5555555555555
	v_mul_f64_e32 v[46:47], v[22:23], v[22:23]
	v_fmamk_f64 v[58:59], v[32:33], 0xbda907db46cc5e42, v[56:57]
	s_delay_alu instid0(VALU_DEP_3) | instskip(SKIP_1) | instid1(VALU_DEP_3)
	v_fmac_f64_e32 v[34:35], v[52:53], v[30:31]
	v_mul_f64_e32 v[30:31], v[32:33], v[32:33]
	v_fmaak_f64 v[52:53], v[32:33], v[58:59], 0xbe927e4fa17f65f6
	v_fmac_f64_e32 v[20:21], 0xbfc5555555555555, v[48:49]
	s_delay_alu instid0(VALU_DEP_2) | instskip(SKIP_1) | instid1(VALU_DEP_2)
	v_fmaak_f64 v[52:53], v[32:33], v[52:53], 0x3efa01a019f4ec90
	v_mul_f64_e64 v[66:67], v[22:23], -v[46:47]
	v_fmaak_f64 v[52:53], v[32:33], v[52:53], 0xbf56c16c16c16967
	s_delay_alu instid0(VALU_DEP_4) | instskip(SKIP_2) | instid1(VALU_DEP_1)
	v_add_f64_e64 v[18:19], v[18:19], -v[20:21]
	v_add_f64_e32 v[20:21], v[38:39], v[34:35]
	v_mul_f64_e32 v[50:51], 0.5, v[16:17]
	v_fmac_f64_e32 v[50:51], v[54:55], v[42:43]
	v_mul_f64_e32 v[42:43], v[10:11], v[10:11]
	s_delay_alu instid0(VALU_DEP_2) | instskip(NEXT) | instid1(VALU_DEP_2)
	v_fma_f64 v[16:17], v[32:33], v[50:51], -v[16:17]
	v_fmamk_f64 v[58:59], v[42:43], 0xbda907db46cc5e42, v[56:57]
	v_fmac_f64_e32 v[56:57], 0xbda907db46cc5e42, v[46:47]
	v_fmamk_f64 v[50:51], v[42:43], 0x3de5e0b2f9a43bb8, v[44:45]
	v_fmac_f64_e32 v[44:45], 0x3de5e0b2f9a43bb8, v[46:47]
	v_fmaak_f64 v[32:33], v[32:33], v[52:53], 0x3fa5555555555555
	v_mul_f64_e32 v[52:53], 0.5, v[12:13]
	s_delay_alu instid0(VALU_DEP_4) | instskip(NEXT) | instid1(VALU_DEP_3)
	v_fmaak_f64 v[50:51], v[42:43], v[50:51], 0x3ec71de3796cde01
	v_fmac_f64_e32 v[36:37], v[30:31], v[32:33]
	v_mul_f64_e64 v[30:31], v[10:11], -v[42:43]
	v_mov_b64_e32 v[32:33], 0xbe927e4fa17f65f6
	s_delay_alu instid0(VALU_DEP_4) | instskip(NEXT) | instid1(VALU_DEP_1)
	v_fmaak_f64 v[50:51], v[42:43], v[50:51], 0xbf2a01a019e83e5c
	v_fmaak_f64 v[50:51], v[42:43], v[50:51], 0x3f81111111110bb3
	v_fmac_f64_e32 v[16:17], 0xbfc5555555555555, v[54:55]
	s_delay_alu instid0(VALU_DEP_4) | instskip(SKIP_1) | instid1(VALU_DEP_1)
	v_fmac_f64_e32 v[32:33], v[46:47], v[56:57]
	v_mov_b64_e32 v[56:57], 0x3ec71de3796cde01
	v_fmac_f64_e32 v[56:57], v[46:47], v[44:45]
	v_mul_f64_e32 v[44:45], 0.5, v[42:43]
	v_fmac_f64_e32 v[52:53], v[30:31], v[50:51]
	v_mov_b64_e32 v[50:51], 0x3efa01a019f4ec90
	v_add_f64_e64 v[14:15], v[14:15], -v[16:17]
	s_delay_alu instid0(VALU_DEP_2) | instskip(SKIP_1) | instid1(VALU_DEP_1)
	v_fmac_f64_e32 v[50:51], v[46:47], v[32:33]
	v_mov_b64_e32 v[32:33], 0xbf2a01a019e83e5c
	v_fmac_f64_e32 v[32:33], v[46:47], v[56:57]
	v_add_f64_e64 v[56:57], -v[44:45], 1.0
	s_delay_alu instid0(VALU_DEP_1) | instskip(NEXT) | instid1(VALU_DEP_1)
	v_add_f64_e64 v[60:61], -v[56:57], 1.0
	v_add_f64_e64 v[44:45], v[60:61], -v[44:45]
	v_mul_f64_e32 v[60:61], 0.5, v[46:47]
	s_delay_alu instid0(VALU_DEP_1) | instskip(NEXT) | instid1(VALU_DEP_1)
	v_add_f64_e64 v[62:63], -v[60:61], 1.0
	v_add_f64_e64 v[64:65], -v[62:63], 1.0
	s_delay_alu instid0(VALU_DEP_1) | instskip(SKIP_1) | instid1(VALU_DEP_1)
	v_add_f64_e64 v[60:61], v[64:65], -v[60:61]
	v_mov_b64_e32 v[64:65], 0xbf56c16c16c16967
	v_fmac_f64_e32 v[64:65], v[46:47], v[50:51]
	v_mov_b64_e32 v[50:51], 0x3f81111111110bb3
	s_delay_alu instid0(VALU_DEP_1) | instskip(SKIP_1) | instid1(VALU_DEP_1)
	v_fmac_f64_e32 v[50:51], v[46:47], v[32:33]
	v_mul_f64_e32 v[32:33], 0.5, v[24:25]
	v_fmac_f64_e32 v[32:33], v[66:67], v[50:51]
	v_fma_f64 v[50:51], v[22:23], -v[24:25], v[60:61]
	s_delay_alu instid0(VALU_DEP_2) | instskip(SKIP_1) | instid1(VALU_DEP_1)
	v_fma_f64 v[24:25], v[46:47], v[32:33], -v[24:25]
	v_fmaak_f64 v[32:33], v[42:43], v[58:59], 0xbe927e4fa17f65f6
	v_fmaak_f64 v[32:33], v[42:43], v[32:33], 0x3efa01a019f4ec90
	s_delay_alu instid0(VALU_DEP_1) | instskip(NEXT) | instid1(VALU_DEP_1)
	v_fmaak_f64 v[32:33], v[42:43], v[32:33], 0xbf56c16c16c16967
	v_fmaak_f64 v[32:33], v[42:43], v[32:33], 0x3fa5555555555555
	v_fmac_f64_e32 v[24:25], 0xbfc5555555555555, v[66:67]
	s_delay_alu instid0(VALU_DEP_1) | instskip(SKIP_2) | instid1(VALU_DEP_2)
	v_add_f64_e64 v[22:23], v[22:23], -v[24:25]
	v_dual_add_f64 v[16:17], v[40:41], v[36:37] :: v_dual_bitop2_b32 v25, 1, v27 bitop3:0x40
	v_and_b32_e32 v24, 1, v28
	v_cmp_eq_u32_e64 s1, 0, v25
	v_fma_f64 v[48:49], v[42:43], v[52:53], -v[12:13]
	v_mul_f64_e32 v[42:43], v[42:43], v[42:43]
	s_delay_alu instid0(VALU_DEP_4) | instskip(SKIP_1) | instid1(VALU_DEP_1)
	v_cmp_eq_u32_e32 vcc_lo, 0, v24
	v_dual_cndmask_b32 v3, v21, v19 :: v_dual_cndmask_b32 v18, v20, v18
	v_bitop3_b32 v3, v3, v2, 0x80000000 bitop3:0x78
	s_delay_alu instid0(VALU_DEP_2) | instskip(NEXT) | instid1(VALU_DEP_2)
	v_cndmask_b32_e64 v2, 0, v18, s0
	v_cndmask_b32_e64 v3, 0x7ff80000, v3, s0
	s_mov_b32 s0, 0
	v_dual_fma_f64 v[12:13], v[10:11], -v[12:13], v[44:45] :: v_dual_cndmask_b32 v14, v16, v14, s1
	v_cndmask_b32_e64 v7, v17, v15, s1
	v_mov_b64_e32 v[44:45], 0x3fa5555555555555
	s_delay_alu instid0(VALU_DEP_3) | instskip(SKIP_1) | instid1(VALU_DEP_4)
	v_cndmask_b32_e64 v8, 0, v14, s2
	v_fmac_f64_e32 v[48:49], 0xbfc5555555555555, v[30:31]
	v_bitop3_b32 v4, v7, v4, 0x80000000 bitop3:0x78
	s_delay_alu instid0(VALU_DEP_4)
	v_fmac_f64_e32 v[44:45], v[46:47], v[64:65]
	v_mul_f64_e32 v[46:47], v[46:47], v[46:47]
	v_fmac_f64_e32 v[12:13], v[42:43], v[32:33]
	v_and_b32_e32 v32, 1, v26
	v_and_b32_e32 v33, 1, v29
	v_add_f64_e64 v[10:11], v[10:11], -v[48:49]
	s_delay_alu instid0(VALU_DEP_3) | instskip(NEXT) | instid1(VALU_DEP_3)
	v_cmp_eq_u32_e64 s3, 0, v32
	v_cmp_eq_u32_e64 s5, 0, v33
	v_add_f64_e32 v[12:13], v[56:57], v[12:13]
	s_delay_alu instid0(VALU_DEP_1) | instskip(SKIP_1) | instid1(VALU_DEP_3)
	v_cndmask_b32_e64 v9, v13, v11, s3
	v_fmac_f64_e32 v[50:51], v[46:47], v[44:45]
	v_cndmask_b32_e64 v10, v12, v10, s3
	s_delay_alu instid0(VALU_DEP_3) | instskip(SKIP_1) | instid1(VALU_DEP_3)
	v_bitop3_b32 v7, v9, v6, 0x80000000 bitop3:0x78
	v_cndmask_b32_e64 v9, 0x7ff80000, v4, s2
	v_cndmask_b32_e64 v6, 0, v10, s4
	s_add_nc_u64 s[2:3], s[8:9], s[14:15]
	s_delay_alu instid0(VALU_DEP_3) | instskip(SKIP_1) | instid1(VALU_DEP_1)
	v_cndmask_b32_e64 v7, 0x7ff80000, v7, s4
	v_add_f64_e32 v[30:31], v[62:63], v[50:51]
	v_dual_cndmask_b32 v11, v31, v23, s5 :: v_dual_cndmask_b32 v12, v30, v22, s5
	s_delay_alu instid0(VALU_DEP_1) | instskip(NEXT) | instid1(VALU_DEP_2)
	v_bitop3_b32 v5, v11, v5, 0x80000000 bitop3:0x78
	v_cndmask_b32_e64 v4, 0, v12, s6
	s_delay_alu instid0(VALU_DEP_2)
	v_cndmask_b32_e64 v5, 0x7ff80000, v5, s6
	s_clause 0x1
	global_store_b128 v1, v[6:9], s[2:3]
	global_store_b128 v1, v[2:5], s[2:3] offset:16
.LBB0_18:
	s_and_b32 vcc_lo, exec_lo, s0
	s_cbranch_vccz .LBB0_51
; %bb.19:
	v_mov_b64_e32 v[14:15], 0
	v_mov_b64_e32 v[16:17], 0
	v_cmp_gt_i32_e32 vcc_lo, s7, v0
	s_wait_xcnt 0x0
	v_dual_mov_b32 v4, v0 :: v_dual_bitop2_b32 v1, s12, v0 bitop3:0x54
	v_or_b32_e32 v18, 0x100, v0
	s_and_saveexec_b32 s0, vcc_lo
	s_cbranch_execz .LBB0_21
; %bb.20:
	global_load_b64 v[16:17], v1, s[10:11] scale_offset
	v_or_b32_e32 v4, 0x100, v0
.LBB0_21:
	s_wait_xcnt 0x0
	s_or_b32 exec_lo, exec_lo, s0
	s_delay_alu instid0(SALU_CYCLE_1) | instskip(NEXT) | instid1(VALU_DEP_1)
	s_mov_b32 s1, exec_lo
	v_cmpx_gt_i32_e64 s7, v4
	s_cbranch_execz .LBB0_23
; %bb.22:
	v_add_nc_u32_e32 v2, s12, v4
	v_add_nc_u32_e32 v4, 0x100, v4
	global_load_b64 v[14:15], v2, s[10:11] scale_offset
.LBB0_23:
	s_wait_xcnt 0x0
	s_or_b32 exec_lo, exec_lo, s1
	v_mov_b64_e32 v[2:3], 0
	v_mov_b64_e32 v[6:7], 0
	s_mov_b32 s1, exec_lo
	v_cmpx_gt_i32_e64 s7, v4
	s_cbranch_execz .LBB0_25
; %bb.24:
	v_add_nc_u32_e32 v5, s12, v4
	v_add_nc_u32_e32 v4, 0x100, v4
	global_load_b64 v[6:7], v5, s[10:11] scale_offset
.LBB0_25:
	s_wait_xcnt 0x0
	s_or_b32 exec_lo, exec_lo, s1
	s_delay_alu instid0(SALU_CYCLE_1)
	s_mov_b32 s1, exec_lo
	v_cmpx_gt_i32_e64 s7, v4
	s_cbranch_execz .LBB0_27
; %bb.26:
	v_add_nc_u32_e32 v2, s12, v4
	global_load_b64 v[2:3], v2, s[10:11] scale_offset
.LBB0_27:
	s_wait_xcnt 0x0
	s_or_b32 exec_lo, exec_lo, s1
	v_mov_b32_e32 v4, 0
	s_delay_alu instid0(VALU_DEP_1)
	v_dual_mov_b32 v5, v4 :: v_dual_mov_b32 v12, v4
	v_dual_mov_b32 v13, v4 :: v_dual_mov_b32 v10, v4
	;; [unrolled: 1-line block ×3, first 2 shown]
	v_mov_b32_e32 v9, v4
	s_and_saveexec_b32 s2, vcc_lo
	s_cbranch_execz .LBB0_33
; %bb.28:
	s_mov_b32 s1, exec_lo
                                        ; implicit-def: $vgpr10
                                        ; implicit-def: $vgpr4_vgpr5
                                        ; implicit-def: $vgpr8_vgpr9
	s_wait_loadcnt 0x0
	v_cmpx_ngt_f64_e64 0x41d00000, |v[16:17]|
	s_xor_b32 s1, exec_lo, s1
	s_cbranch_execz .LBB0_30
; %bb.29:
	v_ldexp_f64 v[4:5], |v[16:17]|, 0xffffff80
	v_cmp_le_f64_e64 s0, 0x7b000000, |v[16:17]|
	v_trig_preop_f64 v[8:9], |v[16:17]|, 0
	v_and_b32_e32 v10, 0x7fffffff, v17
	v_trig_preop_f64 v[26:27], |v[16:17]|, 2
	s_mov_b64 s[4:5], 0x3ff921fb54442d18
	s_delay_alu instid0(VALU_DEP_2) | instskip(SKIP_2) | instid1(VALU_DEP_2)
	v_dual_mov_b32 v34, 0 :: v_dual_cndmask_b32 v5, v10, v5, s0
	v_cndmask_b32_e64 v4, v16, v4, s0
	v_trig_preop_f64 v[10:11], |v[16:17]|, 1
	v_mul_f64_e32 v[12:13], v[8:9], v[4:5]
	v_mul_f64_e32 v[32:33], v[26:27], v[4:5]
	s_delay_alu instid0(VALU_DEP_3) | instskip(NEXT) | instid1(VALU_DEP_3)
	v_mul_f64_e32 v[20:21], v[10:11], v[4:5]
	v_fma_f64 v[8:9], v[8:9], v[4:5], -v[12:13]
	s_delay_alu instid0(VALU_DEP_2) | instskip(NEXT) | instid1(VALU_DEP_4)
	v_fma_f64 v[10:11], v[10:11], v[4:5], -v[20:21]
	v_fma_f64 v[4:5], v[26:27], v[4:5], -v[32:33]
	s_delay_alu instid0(VALU_DEP_3) | instskip(NEXT) | instid1(VALU_DEP_1)
	v_add_f64_e32 v[22:23], v[20:21], v[8:9]
	v_add_f64_e64 v[24:25], v[22:23], -v[20:21]
	v_add_f64_e32 v[30:31], v[12:13], v[22:23]
	s_delay_alu instid0(VALU_DEP_2) | instskip(SKIP_1) | instid1(VALU_DEP_3)
	v_add_f64_e64 v[28:29], v[22:23], -v[24:25]
	v_add_f64_e64 v[8:9], v[8:9], -v[24:25]
	v_ldexp_f64 v[24:25], v[30:31], -2
	s_delay_alu instid0(VALU_DEP_3) | instskip(NEXT) | instid1(VALU_DEP_2)
	v_add_f64_e64 v[20:21], v[20:21], -v[28:29]
	v_cmp_neq_f64_e64 s0, 0x7ff00000, |v[24:25]|
	s_delay_alu instid0(VALU_DEP_2) | instskip(SKIP_1) | instid1(VALU_DEP_1)
	v_add_f64_e32 v[8:9], v[8:9], v[20:21]
	v_fract_f64_e32 v[20:21], v[24:25]
	v_ldexp_f64 v[20:21], v[20:21], 2
	s_delay_alu instid0(VALU_DEP_1) | instskip(NEXT) | instid1(VALU_DEP_2)
	v_dual_add_f64 v[28:29], v[32:33], v[10:11] :: v_dual_cndmask_b32 v20, 0, v20, s0
	v_cndmask_b32_e64 v21, 0, v21, s0
	v_add_f64_e64 v[12:13], v[30:31], -v[12:13]
	s_delay_alu instid0(VALU_DEP_1) | instskip(NEXT) | instid1(VALU_DEP_4)
	v_add_f64_e64 v[12:13], v[22:23], -v[12:13]
	v_add_f64_e32 v[22:23], v[28:29], v[8:9]
	s_delay_alu instid0(VALU_DEP_1) | instskip(SKIP_1) | instid1(VALU_DEP_2)
	v_add_f64_e32 v[24:25], v[12:13], v[22:23]
	v_add_f64_e64 v[36:37], v[22:23], -v[28:29]
	v_add_f64_e32 v[30:31], v[24:25], v[20:21]
	s_delay_alu instid0(VALU_DEP_2) | instskip(SKIP_2) | instid1(VALU_DEP_4)
	v_add_f64_e64 v[42:43], v[22:23], -v[36:37]
	v_add_f64_e64 v[8:9], v[8:9], -v[36:37]
	;; [unrolled: 1-line block ×3, first 2 shown]
	v_cmp_gt_f64_e64 s0, 0, v[30:31]
	v_add_f64_e64 v[30:31], v[28:29], -v[32:33]
	s_delay_alu instid0(VALU_DEP_2) | instskip(NEXT) | instid1(VALU_DEP_2)
	v_cndmask_b32_e64 v35, 0, 0x40100000, s0
	v_add_f64_e64 v[40:41], v[28:29], -v[30:31]
	v_add_f64_e64 v[10:11], v[10:11], -v[30:31]
	v_add_f64_e64 v[28:29], v[28:29], -v[42:43]
	s_delay_alu instid0(VALU_DEP_4) | instskip(NEXT) | instid1(VALU_DEP_4)
	v_add_f64_e32 v[20:21], v[20:21], v[34:35]
	v_add_f64_e64 v[30:31], v[32:33], -v[40:41]
	s_delay_alu instid0(VALU_DEP_3) | instskip(NEXT) | instid1(VALU_DEP_3)
	v_add_f64_e32 v[8:9], v[8:9], v[28:29]
	v_add_f64_e32 v[38:39], v[24:25], v[20:21]
	s_delay_alu instid0(VALU_DEP_3) | instskip(NEXT) | instid1(VALU_DEP_2)
	v_add_f64_e32 v[10:11], v[10:11], v[30:31]
	v_cvt_i32_f64_e32 v19, v[38:39]
	s_delay_alu instid0(VALU_DEP_2) | instskip(SKIP_1) | instid1(VALU_DEP_3)
	v_add_f64_e32 v[8:9], v[10:11], v[8:9]
	v_add_f64_e64 v[10:11], v[22:23], -v[12:13]
	v_cvt_f64_i32_e32 v[36:37], v19
	s_delay_alu instid0(VALU_DEP_3) | instskip(NEXT) | instid1(VALU_DEP_2)
	v_add_f64_e32 v[4:5], v[4:5], v[8:9]
	v_add_f64_e64 v[20:21], v[20:21], -v[36:37]
	s_delay_alu instid0(VALU_DEP_2) | instskip(NEXT) | instid1(VALU_DEP_2)
	v_add_f64_e32 v[4:5], v[10:11], v[4:5]
	v_add_f64_e32 v[26:27], v[24:25], v[20:21]
	s_delay_alu instid0(VALU_DEP_1) | instskip(SKIP_1) | instid1(VALU_DEP_2)
	v_add_f64_e64 v[8:9], v[26:27], -v[20:21]
	v_cmp_le_f64_e64 s0, 0.5, v[26:27]
	v_add_f64_e64 v[8:9], v[24:25], -v[8:9]
	s_delay_alu instid0(VALU_DEP_2) | instskip(SKIP_1) | instid1(VALU_DEP_3)
	v_cndmask_b32_e64 v35, 0, 0x3ff00000, s0
	v_add_co_ci_u32_e64 v10, null, 0, v19, s0
	v_add_f64_e32 v[4:5], v[4:5], v[8:9]
	s_delay_alu instid0(VALU_DEP_3) | instskip(NEXT) | instid1(VALU_DEP_1)
	v_add_f64_e64 v[8:9], v[26:27], -v[34:35]
	v_add_f64_e32 v[12:13], v[8:9], v[4:5]
	s_delay_alu instid0(VALU_DEP_1) | instskip(SKIP_1) | instid1(VALU_DEP_2)
	v_mul_f64_e32 v[20:21], 0x3ff921fb54442d18, v[12:13]
	v_add_f64_e64 v[8:9], v[12:13], -v[8:9]
	v_fma_f64 v[22:23], v[12:13], s[4:5], -v[20:21]
	s_delay_alu instid0(VALU_DEP_2) | instskip(NEXT) | instid1(VALU_DEP_2)
	v_add_f64_e64 v[4:5], v[4:5], -v[8:9]
	v_fmamk_f64 v[8:9], v[12:13], 0x3c91a62633145c07, v[22:23]
	s_delay_alu instid0(VALU_DEP_1) | instskip(NEXT) | instid1(VALU_DEP_1)
	v_fmac_f64_e32 v[8:9], 0x3ff921fb54442d18, v[4:5]
	v_add_f64_e32 v[4:5], v[20:21], v[8:9]
	s_delay_alu instid0(VALU_DEP_1) | instskip(NEXT) | instid1(VALU_DEP_1)
	v_add_f64_e64 v[12:13], v[4:5], -v[20:21]
	v_add_f64_e64 v[8:9], v[8:9], -v[12:13]
.LBB0_30:
	s_and_not1_saveexec_b32 s0, s1
	s_cbranch_execz .LBB0_32
; %bb.31:
	s_mov_b64 s[4:5], 0x3fe45f306dc9c883
	s_delay_alu instid0(SALU_CYCLE_1) | instskip(SKIP_1) | instid1(VALU_DEP_1)
	v_mul_f64_e64 v[4:5], |v[16:17]|, s[4:5]
	s_mov_b64 s[4:5], 0xbff921fb54442d18
	v_rndne_f64_e32 v[10:11], v[4:5]
	s_delay_alu instid0(VALU_DEP_1) | instskip(SKIP_1) | instid1(VALU_DEP_2)
	v_fma_f64 v[4:5], v[10:11], s[4:5], |v[16:17]|
	v_mul_f64_e32 v[8:9], 0xbc91a62633145c00, v[10:11]
	v_fmamk_f64 v[22:23], v[10:11], 0xbc91a62633145c00, v[4:5]
	s_delay_alu instid0(VALU_DEP_2) | instskip(NEXT) | instid1(VALU_DEP_1)
	v_add_f64_e32 v[12:13], v[4:5], v[8:9]
	v_add_f64_e64 v[20:21], v[4:5], -v[12:13]
	s_delay_alu instid0(VALU_DEP_3) | instskip(NEXT) | instid1(VALU_DEP_2)
	v_add_f64_e64 v[4:5], v[12:13], -v[22:23]
	v_add_f64_e32 v[12:13], v[20:21], v[8:9]
	v_fmamk_f64 v[8:9], v[10:11], 0x3c91a62633145c00, v[8:9]
	s_delay_alu instid0(VALU_DEP_2) | instskip(NEXT) | instid1(VALU_DEP_1)
	v_add_f64_e32 v[4:5], v[4:5], v[12:13]
	v_add_f64_e64 v[4:5], v[4:5], -v[8:9]
	s_delay_alu instid0(VALU_DEP_1) | instskip(SKIP_1) | instid1(VALU_DEP_2)
	v_fmamk_f64 v[8:9], v[10:11], 0xb97b839a252049c0, v[4:5]
	v_cvt_i32_f64_e32 v10, v[10:11]
	v_add_f64_e32 v[4:5], v[22:23], v[8:9]
	s_delay_alu instid0(VALU_DEP_1) | instskip(NEXT) | instid1(VALU_DEP_1)
	v_add_f64_e64 v[12:13], v[4:5], -v[22:23]
	v_add_f64_e64 v[8:9], v[8:9], -v[12:13]
.LBB0_32:
	s_or_b32 exec_lo, exec_lo, s0
	s_delay_alu instid0(VALU_DEP_4) | instskip(NEXT) | instid1(VALU_DEP_2)
	v_dual_mul_f64 v[12:13], v[4:5], v[4:5] :: v_dual_bitop2_b32 v11, 1, v10 bitop3:0x40
	v_mul_f64_e32 v[26:27], 0.5, v[8:9]
	s_mov_b64 s[0:1], 0x3de5e0b2f9a43bb8
	s_delay_alu instid0(VALU_DEP_2) | instskip(SKIP_3) | instid1(VALU_DEP_3)
	v_mul_f64_e32 v[20:21], 0.5, v[12:13]
	v_mul_f64_e64 v[28:29], v[4:5], -v[12:13]
	v_fmaak_f64 v[30:31], s[0:1], v[12:13], 0xbe5ae600b42fdfa7
	s_mov_b64 s[0:1], 0xbda907db46cc5e42
	v_add_f64_e64 v[22:23], -v[20:21], 1.0
	s_delay_alu instid0(VALU_DEP_1) | instskip(NEXT) | instid1(VALU_DEP_1)
	v_add_f64_e64 v[24:25], -v[22:23], 1.0
	v_add_f64_e64 v[20:21], v[24:25], -v[20:21]
	s_delay_alu instid0(VALU_DEP_4) | instskip(SKIP_1) | instid1(VALU_DEP_2)
	v_fmaak_f64 v[24:25], v[12:13], v[30:31], 0x3ec71de3796cde01
	v_mul_f64_e32 v[30:31], v[12:13], v[12:13]
	v_fmaak_f64 v[24:25], v[12:13], v[24:25], 0xbf2a01a019e83e5c
	s_delay_alu instid0(VALU_DEP_1) | instskip(NEXT) | instid1(VALU_DEP_1)
	v_fmaak_f64 v[24:25], v[12:13], v[24:25], 0x3f81111111110bb3
	v_fmac_f64_e32 v[26:27], v[28:29], v[24:25]
	v_fmaak_f64 v[24:25], s[0:1], v[12:13], 0x3e21eeb69037ab78
	v_cmp_class_f64_e64 s1, v[16:17], 0x1f8
	v_cmp_eq_u32_e64 s0, 0, v11
	s_delay_alu instid0(VALU_DEP_3) | instskip(SKIP_1) | instid1(VALU_DEP_2)
	v_fmaak_f64 v[24:25], v[12:13], v[24:25], 0xbe927e4fa17f65f6
	v_fma_f64 v[20:21], v[4:5], -v[8:9], v[20:21]
	v_fmaak_f64 v[24:25], v[12:13], v[24:25], 0x3efa01a019f4ec90
	s_delay_alu instid0(VALU_DEP_1) | instskip(SKIP_1) | instid1(VALU_DEP_2)
	v_fmaak_f64 v[24:25], v[12:13], v[24:25], 0xbf56c16c16c16967
	v_fma_f64 v[8:9], v[12:13], v[26:27], -v[8:9]
	v_fmaak_f64 v[12:13], v[12:13], v[24:25], 0x3fa5555555555555
	s_delay_alu instid0(VALU_DEP_1) | instskip(SKIP_1) | instid1(VALU_DEP_1)
	v_fmac_f64_e32 v[20:21], v[30:31], v[12:13]
	v_mov_b32_e32 v12, 0
	v_dual_mov_b32 v11, v12 :: v_dual_mov_b32 v13, v12
	v_fmamk_f64 v[8:9], v[28:29], 0xbfc5555555555555, v[8:9]
	s_delay_alu instid0(VALU_DEP_1) | instskip(SKIP_1) | instid1(VALU_DEP_1)
	v_add_f64_e64 v[4:5], v[4:5], -v[8:9]
	v_add_f64_e32 v[8:9], v[22:23], v[20:21]
	v_dual_cndmask_b32 v4, v8, v4, s0 :: v_dual_lshlrev_b32 v8, 30, v10
	s_delay_alu instid0(VALU_DEP_2) | instskip(SKIP_1) | instid1(VALU_DEP_3)
	v_dual_cndmask_b32 v5, v9, v5, s0 :: v_dual_mov_b32 v10, v12
	v_mov_b32_e32 v9, v12
	v_dual_cndmask_b32 v4, 0, v4, s1 :: v_dual_bitop2_b32 v8, v8, v17 bitop3:0x14
	s_delay_alu instid0(VALU_DEP_1) | instskip(SKIP_1) | instid1(VALU_DEP_2)
	v_bitop3_b32 v5, v5, v8, 0x80000000 bitop3:0x78
	v_mov_b32_e32 v8, v12
	v_cndmask_b32_e64 v5, 0x7ff80000, v5, s1
.LBB0_33:
	s_or_b32 exec_lo, exec_lo, s2
	s_delay_alu instid0(SALU_CYCLE_1)
	s_mov_b32 s1, exec_lo
	v_cmpx_gt_i32_e64 s7, v18
	s_cbranch_execz .LBB0_39
; %bb.34:
	s_mov_b32 s2, exec_lo
                                        ; implicit-def: $vgpr19
                                        ; implicit-def: $vgpr12_vgpr13
                                        ; implicit-def: $vgpr16_vgpr17
	s_wait_loadcnt 0x0
	v_cmpx_ngt_f64_e64 0x41d00000, |v[14:15]|
	s_xor_b32 s2, exec_lo, s2
	s_cbranch_execz .LBB0_36
; %bb.35:
	v_ldexp_f64 v[12:13], |v[14:15]|, 0xffffff80
	v_cmp_le_f64_e64 s0, 0x7b000000, |v[14:15]|
	v_trig_preop_f64 v[16:17], |v[14:15]|, 0
	v_and_b32_e32 v19, 0x7fffffff, v15
	v_trig_preop_f64 v[20:21], |v[14:15]|, 1
	v_trig_preop_f64 v[30:31], |v[14:15]|, 2
	s_mov_b64 s[4:5], 0x3ff921fb54442d18
	s_delay_alu instid0(VALU_DEP_3) | instskip(SKIP_1) | instid1(VALU_DEP_1)
	v_dual_mov_b32 v38, 0 :: v_dual_cndmask_b32 v13, v19, v13, s0
	v_cndmask_b32_e64 v12, v14, v12, s0
	v_mul_f64_e32 v[22:23], v[16:17], v[12:13]
	v_mul_f64_e32 v[24:25], v[20:21], v[12:13]
	;; [unrolled: 1-line block ×3, first 2 shown]
	s_delay_alu instid0(VALU_DEP_3) | instskip(NEXT) | instid1(VALU_DEP_3)
	v_fma_f64 v[16:17], v[16:17], v[12:13], -v[22:23]
	v_fma_f64 v[20:21], v[20:21], v[12:13], -v[24:25]
	s_delay_alu instid0(VALU_DEP_3) | instskip(NEXT) | instid1(VALU_DEP_3)
	v_fma_f64 v[12:13], v[30:31], v[12:13], -v[36:37]
	v_add_f64_e32 v[26:27], v[24:25], v[16:17]
	s_delay_alu instid0(VALU_DEP_1) | instskip(SKIP_1) | instid1(VALU_DEP_2)
	v_add_f64_e64 v[28:29], v[26:27], -v[24:25]
	v_add_f64_e32 v[34:35], v[22:23], v[26:27]
	v_add_f64_e64 v[32:33], v[26:27], -v[28:29]
	v_add_f64_e64 v[16:17], v[16:17], -v[28:29]
	s_delay_alu instid0(VALU_DEP_3) | instskip(NEXT) | instid1(VALU_DEP_3)
	v_ldexp_f64 v[28:29], v[34:35], -2
	v_add_f64_e64 v[24:25], v[24:25], -v[32:33]
	v_add_f64_e32 v[32:33], v[36:37], v[20:21]
	s_delay_alu instid0(VALU_DEP_3) | instskip(NEXT) | instid1(VALU_DEP_3)
	v_cmp_neq_f64_e64 s0, 0x7ff00000, |v[28:29]|
	v_add_f64_e32 v[16:17], v[16:17], v[24:25]
	v_fract_f64_e32 v[24:25], v[28:29]
	s_delay_alu instid0(VALU_DEP_1) | instskip(NEXT) | instid1(VALU_DEP_1)
	v_ldexp_f64 v[24:25], v[24:25], 2
	v_dual_add_f64 v[22:23], v[34:35], -v[22:23] :: v_dual_cndmask_b32 v25, 0, v25, s0
	s_delay_alu instid0(VALU_DEP_1) | instskip(SKIP_1) | instid1(VALU_DEP_1)
	v_dual_add_f64 v[22:23], v[26:27], -v[22:23] :: v_dual_cndmask_b32 v24, 0, v24, s0
	v_add_f64_e32 v[26:27], v[32:33], v[16:17]
	v_add_f64_e32 v[28:29], v[22:23], v[26:27]
	v_add_f64_e64 v[40:41], v[26:27], -v[32:33]
	s_delay_alu instid0(VALU_DEP_2) | instskip(NEXT) | instid1(VALU_DEP_2)
	v_add_f64_e32 v[34:35], v[28:29], v[24:25]
	v_add_f64_e64 v[46:47], v[26:27], -v[40:41]
	v_add_f64_e64 v[16:17], v[16:17], -v[40:41]
	v_add_f64_e64 v[22:23], v[28:29], -v[22:23]
	s_delay_alu instid0(VALU_DEP_4) | instskip(SKIP_1) | instid1(VALU_DEP_3)
	v_cmp_gt_f64_e64 s0, 0, v[34:35]
	v_add_f64_e64 v[34:35], v[32:33], -v[36:37]
	v_add_f64_e64 v[22:23], v[26:27], -v[22:23]
	s_delay_alu instid0(VALU_DEP_3) | instskip(NEXT) | instid1(VALU_DEP_3)
	v_cndmask_b32_e64 v39, 0, 0x40100000, s0
	v_add_f64_e64 v[44:45], v[32:33], -v[34:35]
	v_add_f64_e64 v[20:21], v[20:21], -v[34:35]
	;; [unrolled: 1-line block ×3, first 2 shown]
	s_delay_alu instid0(VALU_DEP_4) | instskip(NEXT) | instid1(VALU_DEP_4)
	v_add_f64_e32 v[24:25], v[24:25], v[38:39]
	v_add_f64_e64 v[34:35], v[36:37], -v[44:45]
	s_delay_alu instid0(VALU_DEP_3) | instskip(NEXT) | instid1(VALU_DEP_3)
	v_add_f64_e32 v[16:17], v[16:17], v[32:33]
	v_add_f64_e32 v[42:43], v[28:29], v[24:25]
	s_delay_alu instid0(VALU_DEP_3) | instskip(NEXT) | instid1(VALU_DEP_2)
	v_add_f64_e32 v[20:21], v[20:21], v[34:35]
	v_cvt_i32_f64_e32 v19, v[42:43]
	s_delay_alu instid0(VALU_DEP_2) | instskip(NEXT) | instid1(VALU_DEP_2)
	v_add_f64_e32 v[16:17], v[20:21], v[16:17]
	v_cvt_f64_i32_e32 v[40:41], v19
	s_delay_alu instid0(VALU_DEP_2) | instskip(NEXT) | instid1(VALU_DEP_2)
	v_add_f64_e32 v[12:13], v[12:13], v[16:17]
	v_add_f64_e64 v[24:25], v[24:25], -v[40:41]
	s_delay_alu instid0(VALU_DEP_2) | instskip(NEXT) | instid1(VALU_DEP_2)
	v_add_f64_e32 v[12:13], v[22:23], v[12:13]
	v_add_f64_e32 v[20:21], v[28:29], v[24:25]
	s_delay_alu instid0(VALU_DEP_1) | instskip(SKIP_1) | instid1(VALU_DEP_2)
	v_add_f64_e64 v[16:17], v[20:21], -v[24:25]
	v_cmp_le_f64_e64 s0, 0.5, v[20:21]
	v_add_f64_e64 v[16:17], v[28:29], -v[16:17]
	s_delay_alu instid0(VALU_DEP_2) | instskip(SKIP_1) | instid1(VALU_DEP_3)
	v_cndmask_b32_e64 v39, 0, 0x3ff00000, s0
	v_add_co_ci_u32_e64 v19, null, 0, v19, s0
	v_add_f64_e32 v[12:13], v[12:13], v[16:17]
	s_delay_alu instid0(VALU_DEP_3) | instskip(NEXT) | instid1(VALU_DEP_1)
	v_add_f64_e64 v[16:17], v[20:21], -v[38:39]
	v_add_f64_e32 v[20:21], v[16:17], v[12:13]
	s_delay_alu instid0(VALU_DEP_1) | instskip(SKIP_1) | instid1(VALU_DEP_2)
	v_mul_f64_e32 v[22:23], 0x3ff921fb54442d18, v[20:21]
	v_add_f64_e64 v[16:17], v[20:21], -v[16:17]
	v_fma_f64 v[24:25], v[20:21], s[4:5], -v[22:23]
	s_delay_alu instid0(VALU_DEP_2) | instskip(NEXT) | instid1(VALU_DEP_2)
	v_add_f64_e64 v[12:13], v[12:13], -v[16:17]
	v_fmamk_f64 v[16:17], v[20:21], 0x3c91a62633145c07, v[24:25]
	s_delay_alu instid0(VALU_DEP_1) | instskip(NEXT) | instid1(VALU_DEP_1)
	v_fmac_f64_e32 v[16:17], 0x3ff921fb54442d18, v[12:13]
	v_add_f64_e32 v[12:13], v[22:23], v[16:17]
	s_delay_alu instid0(VALU_DEP_1) | instskip(NEXT) | instid1(VALU_DEP_1)
	v_add_f64_e64 v[20:21], v[12:13], -v[22:23]
	v_add_f64_e64 v[16:17], v[16:17], -v[20:21]
.LBB0_36:
	s_and_not1_saveexec_b32 s0, s2
	s_cbranch_execz .LBB0_38
; %bb.37:
	s_mov_b64 s[2:3], 0x3fe45f306dc9c883
	s_delay_alu instid0(SALU_CYCLE_1) | instskip(SKIP_1) | instid1(VALU_DEP_1)
	v_mul_f64_e64 v[12:13], |v[14:15]|, s[2:3]
	s_mov_b64 s[2:3], 0xbff921fb54442d18
	v_rndne_f64_e32 v[20:21], v[12:13]
	s_delay_alu instid0(VALU_DEP_1) | instskip(SKIP_2) | instid1(VALU_DEP_3)
	v_fma_f64 v[12:13], v[20:21], s[2:3], |v[14:15]|
	v_mul_f64_e32 v[16:17], 0xbc91a62633145c00, v[20:21]
	v_cvt_i32_f64_e32 v19, v[20:21]
	v_fmamk_f64 v[26:27], v[20:21], 0xbc91a62633145c00, v[12:13]
	s_delay_alu instid0(VALU_DEP_3) | instskip(NEXT) | instid1(VALU_DEP_1)
	v_add_f64_e32 v[22:23], v[12:13], v[16:17]
	v_add_f64_e64 v[24:25], v[12:13], -v[22:23]
	s_delay_alu instid0(VALU_DEP_3) | instskip(NEXT) | instid1(VALU_DEP_2)
	v_add_f64_e64 v[12:13], v[22:23], -v[26:27]
	v_add_f64_e32 v[22:23], v[24:25], v[16:17]
	v_fmamk_f64 v[16:17], v[20:21], 0x3c91a62633145c00, v[16:17]
	s_delay_alu instid0(VALU_DEP_2) | instskip(NEXT) | instid1(VALU_DEP_1)
	v_add_f64_e32 v[12:13], v[12:13], v[22:23]
	v_add_f64_e64 v[12:13], v[12:13], -v[16:17]
	s_delay_alu instid0(VALU_DEP_1) | instskip(NEXT) | instid1(VALU_DEP_1)
	v_fmamk_f64 v[16:17], v[20:21], 0xb97b839a252049c0, v[12:13]
	v_add_f64_e32 v[12:13], v[26:27], v[16:17]
	s_delay_alu instid0(VALU_DEP_1) | instskip(NEXT) | instid1(VALU_DEP_1)
	v_add_f64_e64 v[22:23], v[12:13], -v[26:27]
	v_add_f64_e64 v[16:17], v[16:17], -v[22:23]
.LBB0_38:
	s_or_b32 exec_lo, exec_lo, s0
	v_mul_f64_e32 v[20:21], v[12:13], v[12:13]
	s_delay_alu instid0(VALU_DEP_2) | instskip(SKIP_1) | instid1(VALU_DEP_2)
	v_mul_f64_e32 v[28:29], 0.5, v[16:17]
	s_mov_b64 s[2:3], 0x3de5e0b2f9a43bb8
	v_mul_f64_e32 v[22:23], 0.5, v[20:21]
	v_mul_f64_e64 v[30:31], v[12:13], -v[20:21]
	v_fmaak_f64 v[32:33], s[2:3], v[20:21], 0xbe5ae600b42fdfa7
	s_mov_b64 s[2:3], 0xbda907db46cc5e42
	s_delay_alu instid0(VALU_DEP_3) | instskip(NEXT) | instid1(VALU_DEP_1)
	v_add_f64_e64 v[24:25], -v[22:23], 1.0
	v_add_f64_e64 v[26:27], -v[24:25], 1.0
	s_delay_alu instid0(VALU_DEP_1) | instskip(NEXT) | instid1(VALU_DEP_4)
	v_add_f64_e64 v[22:23], v[26:27], -v[22:23]
	v_fmaak_f64 v[26:27], v[20:21], v[32:33], 0x3ec71de3796cde01
	v_mul_f64_e32 v[32:33], v[20:21], v[20:21]
	s_delay_alu instid0(VALU_DEP_2) | instskip(NEXT) | instid1(VALU_DEP_1)
	v_fmaak_f64 v[26:27], v[20:21], v[26:27], 0xbf2a01a019e83e5c
	v_fmaak_f64 v[26:27], v[20:21], v[26:27], 0x3f81111111110bb3
	s_delay_alu instid0(VALU_DEP_1) | instskip(SKIP_1) | instid1(VALU_DEP_1)
	v_fmac_f64_e32 v[28:29], v[30:31], v[26:27]
	v_fmaak_f64 v[26:27], s[2:3], v[20:21], 0x3e21eeb69037ab78
	v_fmaak_f64 v[26:27], v[20:21], v[26:27], 0xbe927e4fa17f65f6
	v_fma_f64 v[22:23], v[12:13], -v[16:17], v[22:23]
	s_delay_alu instid0(VALU_DEP_2) | instskip(NEXT) | instid1(VALU_DEP_1)
	v_fmaak_f64 v[26:27], v[20:21], v[26:27], 0x3efa01a019f4ec90
	v_fmaak_f64 v[26:27], v[20:21], v[26:27], 0xbf56c16c16c16967
	v_fma_f64 v[16:17], v[20:21], v[28:29], -v[16:17]
	s_delay_alu instid0(VALU_DEP_2) | instskip(NEXT) | instid1(VALU_DEP_1)
	v_fmaak_f64 v[20:21], v[20:21], v[26:27], 0x3fa5555555555555
	v_fmac_f64_e32 v[22:23], v[32:33], v[20:21]
	v_dual_lshlrev_b32 v19, 30, v19 :: v_dual_bitop2_b32 v20, 1, v19 bitop3:0x40
	s_delay_alu instid0(VALU_DEP_1) | instskip(NEXT) | instid1(VALU_DEP_2)
	v_cmp_eq_u32_e64 s0, 0, v20
	v_xor_b32_e32 v19, v19, v15
	v_fmamk_f64 v[16:17], v[30:31], 0xbfc5555555555555, v[16:17]
	s_delay_alu instid0(VALU_DEP_1) | instskip(SKIP_1) | instid1(VALU_DEP_1)
	v_add_f64_e64 v[12:13], v[12:13], -v[16:17]
	v_add_f64_e32 v[16:17], v[24:25], v[22:23]
	v_dual_cndmask_b32 v12, v16, v12, s0 :: v_dual_cndmask_b32 v13, v17, v13, s0
	v_cmp_class_f64_e64 s0, v[14:15], 0x1f8
	s_delay_alu instid0(VALU_DEP_2) | instskip(NEXT) | instid1(VALU_DEP_1)
	v_bitop3_b32 v13, v13, v19, 0x80000000 bitop3:0x78
	v_cndmask_b32_e64 v13, 0x7ff80000, v13, s0
	s_delay_alu instid0(VALU_DEP_4)
	v_cndmask_b32_e64 v12, 0, v12, s0
.LBB0_39:
	s_or_b32 exec_lo, exec_lo, s1
	s_wait_loadcnt 0x0
	v_or_b32_e32 v14, 0x200, v0
	s_mov_b32 s1, exec_lo
	s_delay_alu instid0(VALU_DEP_1)
	v_cmpx_gt_i32_e64 s7, v14
	s_cbranch_execz .LBB0_45
; %bb.40:
	s_mov_b32 s2, exec_lo
                                        ; implicit-def: $vgpr16
                                        ; implicit-def: $vgpr10_vgpr11
                                        ; implicit-def: $vgpr14_vgpr15
	v_cmpx_ngt_f64_e64 0x41d00000, |v[6:7]|
	s_xor_b32 s2, exec_lo, s2
	s_cbranch_execz .LBB0_42
; %bb.41:
	v_ldexp_f64 v[10:11], |v[6:7]|, 0xffffff80
	v_cmp_le_f64_e64 s0, 0x7b000000, |v[6:7]|
	v_trig_preop_f64 v[14:15], |v[6:7]|, 0
	v_and_b32_e32 v16, 0x7fffffff, v7
	v_trig_preop_f64 v[28:29], |v[6:7]|, 2
	s_mov_b64 s[4:5], 0x3ff921fb54442d18
	s_delay_alu instid0(VALU_DEP_2) | instskip(SKIP_2) | instid1(VALU_DEP_2)
	v_dual_mov_b32 v36, 0 :: v_dual_cndmask_b32 v11, v16, v11, s0
	v_cndmask_b32_e64 v10, v6, v10, s0
	v_trig_preop_f64 v[16:17], |v[6:7]|, 1
	v_mul_f64_e32 v[20:21], v[14:15], v[10:11]
	v_mul_f64_e32 v[34:35], v[28:29], v[10:11]
	s_delay_alu instid0(VALU_DEP_3) | instskip(NEXT) | instid1(VALU_DEP_3)
	v_mul_f64_e32 v[22:23], v[16:17], v[10:11]
	v_fma_f64 v[14:15], v[14:15], v[10:11], -v[20:21]
	s_delay_alu instid0(VALU_DEP_2) | instskip(NEXT) | instid1(VALU_DEP_4)
	v_fma_f64 v[16:17], v[16:17], v[10:11], -v[22:23]
	v_fma_f64 v[10:11], v[28:29], v[10:11], -v[34:35]
	s_delay_alu instid0(VALU_DEP_3) | instskip(NEXT) | instid1(VALU_DEP_1)
	v_add_f64_e32 v[24:25], v[22:23], v[14:15]
	v_add_f64_e64 v[26:27], v[24:25], -v[22:23]
	v_add_f64_e32 v[32:33], v[20:21], v[24:25]
	s_delay_alu instid0(VALU_DEP_2) | instskip(SKIP_1) | instid1(VALU_DEP_3)
	v_add_f64_e64 v[30:31], v[24:25], -v[26:27]
	v_add_f64_e64 v[14:15], v[14:15], -v[26:27]
	v_ldexp_f64 v[26:27], v[32:33], -2
	s_delay_alu instid0(VALU_DEP_3) | instskip(NEXT) | instid1(VALU_DEP_2)
	v_add_f64_e64 v[22:23], v[22:23], -v[30:31]
	v_cmp_neq_f64_e64 s0, 0x7ff00000, |v[26:27]|
	s_delay_alu instid0(VALU_DEP_2) | instskip(SKIP_1) | instid1(VALU_DEP_1)
	v_add_f64_e32 v[14:15], v[14:15], v[22:23]
	v_fract_f64_e32 v[22:23], v[26:27]
	v_ldexp_f64 v[22:23], v[22:23], 2
	s_delay_alu instid0(VALU_DEP_1) | instskip(NEXT) | instid1(VALU_DEP_2)
	v_dual_add_f64 v[30:31], v[34:35], v[16:17] :: v_dual_cndmask_b32 v22, 0, v22, s0
	v_dual_add_f64 v[20:21], v[32:33], -v[20:21] :: v_dual_cndmask_b32 v23, 0, v23, s0
	s_delay_alu instid0(VALU_DEP_1) | instskip(NEXT) | instid1(VALU_DEP_3)
	v_add_f64_e64 v[20:21], v[24:25], -v[20:21]
	v_add_f64_e32 v[24:25], v[30:31], v[14:15]
	s_delay_alu instid0(VALU_DEP_1) | instskip(SKIP_1) | instid1(VALU_DEP_2)
	v_add_f64_e32 v[26:27], v[20:21], v[24:25]
	v_add_f64_e64 v[38:39], v[24:25], -v[30:31]
	v_add_f64_e32 v[32:33], v[26:27], v[22:23]
	s_delay_alu instid0(VALU_DEP_2) | instskip(SKIP_2) | instid1(VALU_DEP_4)
	v_add_f64_e64 v[44:45], v[24:25], -v[38:39]
	v_add_f64_e64 v[14:15], v[14:15], -v[38:39]
	;; [unrolled: 1-line block ×3, first 2 shown]
	v_cmp_gt_f64_e64 s0, 0, v[32:33]
	v_add_f64_e64 v[32:33], v[30:31], -v[34:35]
	s_delay_alu instid0(VALU_DEP_2) | instskip(NEXT) | instid1(VALU_DEP_2)
	v_cndmask_b32_e64 v37, 0, 0x40100000, s0
	v_add_f64_e64 v[42:43], v[30:31], -v[32:33]
	v_add_f64_e64 v[16:17], v[16:17], -v[32:33]
	;; [unrolled: 1-line block ×3, first 2 shown]
	s_delay_alu instid0(VALU_DEP_4) | instskip(NEXT) | instid1(VALU_DEP_4)
	v_add_f64_e32 v[22:23], v[22:23], v[36:37]
	v_add_f64_e64 v[32:33], v[34:35], -v[42:43]
	s_delay_alu instid0(VALU_DEP_3) | instskip(NEXT) | instid1(VALU_DEP_3)
	v_add_f64_e32 v[14:15], v[14:15], v[30:31]
	v_add_f64_e32 v[40:41], v[26:27], v[22:23]
	s_delay_alu instid0(VALU_DEP_3) | instskip(NEXT) | instid1(VALU_DEP_2)
	v_add_f64_e32 v[16:17], v[16:17], v[32:33]
	v_cvt_i32_f64_e32 v19, v[40:41]
	s_delay_alu instid0(VALU_DEP_2) | instskip(SKIP_1) | instid1(VALU_DEP_3)
	v_add_f64_e32 v[14:15], v[16:17], v[14:15]
	v_add_f64_e64 v[16:17], v[24:25], -v[20:21]
	v_cvt_f64_i32_e32 v[38:39], v19
	s_delay_alu instid0(VALU_DEP_3) | instskip(NEXT) | instid1(VALU_DEP_2)
	v_add_f64_e32 v[10:11], v[10:11], v[14:15]
	v_add_f64_e64 v[22:23], v[22:23], -v[38:39]
	s_delay_alu instid0(VALU_DEP_2) | instskip(NEXT) | instid1(VALU_DEP_2)
	v_add_f64_e32 v[10:11], v[16:17], v[10:11]
	v_add_f64_e32 v[28:29], v[26:27], v[22:23]
	s_delay_alu instid0(VALU_DEP_1) | instskip(SKIP_1) | instid1(VALU_DEP_2)
	v_add_f64_e64 v[14:15], v[28:29], -v[22:23]
	v_cmp_le_f64_e64 s0, 0.5, v[28:29]
	v_add_f64_e64 v[14:15], v[26:27], -v[14:15]
	s_delay_alu instid0(VALU_DEP_2) | instskip(SKIP_1) | instid1(VALU_DEP_3)
	v_cndmask_b32_e64 v37, 0, 0x3ff00000, s0
	v_add_co_ci_u32_e64 v16, null, 0, v19, s0
	v_add_f64_e32 v[10:11], v[10:11], v[14:15]
	s_delay_alu instid0(VALU_DEP_3) | instskip(NEXT) | instid1(VALU_DEP_1)
	v_add_f64_e64 v[14:15], v[28:29], -v[36:37]
	v_add_f64_e32 v[20:21], v[14:15], v[10:11]
	s_delay_alu instid0(VALU_DEP_1) | instskip(SKIP_1) | instid1(VALU_DEP_2)
	v_mul_f64_e32 v[22:23], 0x3ff921fb54442d18, v[20:21]
	v_add_f64_e64 v[14:15], v[20:21], -v[14:15]
	v_fma_f64 v[24:25], v[20:21], s[4:5], -v[22:23]
	s_delay_alu instid0(VALU_DEP_2) | instskip(NEXT) | instid1(VALU_DEP_2)
	v_add_f64_e64 v[10:11], v[10:11], -v[14:15]
	v_fmamk_f64 v[14:15], v[20:21], 0x3c91a62633145c07, v[24:25]
	s_delay_alu instid0(VALU_DEP_1) | instskip(NEXT) | instid1(VALU_DEP_1)
	v_fmac_f64_e32 v[14:15], 0x3ff921fb54442d18, v[10:11]
	v_add_f64_e32 v[10:11], v[22:23], v[14:15]
	s_delay_alu instid0(VALU_DEP_1) | instskip(NEXT) | instid1(VALU_DEP_1)
	v_add_f64_e64 v[20:21], v[10:11], -v[22:23]
	v_add_f64_e64 v[14:15], v[14:15], -v[20:21]
.LBB0_42:
	s_and_not1_saveexec_b32 s0, s2
	s_cbranch_execz .LBB0_44
; %bb.43:
	s_mov_b64 s[2:3], 0x3fe45f306dc9c883
	s_delay_alu instid0(SALU_CYCLE_1) | instskip(SKIP_1) | instid1(VALU_DEP_1)
	v_mul_f64_e64 v[10:11], |v[6:7]|, s[2:3]
	s_mov_b64 s[2:3], 0xbff921fb54442d18
	v_rndne_f64_e32 v[16:17], v[10:11]
	s_delay_alu instid0(VALU_DEP_1) | instskip(SKIP_1) | instid1(VALU_DEP_2)
	v_fma_f64 v[10:11], v[16:17], s[2:3], |v[6:7]|
	v_mul_f64_e32 v[14:15], 0xbc91a62633145c00, v[16:17]
	v_fmamk_f64 v[24:25], v[16:17], 0xbc91a62633145c00, v[10:11]
	s_delay_alu instid0(VALU_DEP_2) | instskip(NEXT) | instid1(VALU_DEP_1)
	v_add_f64_e32 v[20:21], v[10:11], v[14:15]
	v_add_f64_e64 v[22:23], v[10:11], -v[20:21]
	s_delay_alu instid0(VALU_DEP_3) | instskip(NEXT) | instid1(VALU_DEP_2)
	v_add_f64_e64 v[10:11], v[20:21], -v[24:25]
	v_add_f64_e32 v[20:21], v[22:23], v[14:15]
	v_fmamk_f64 v[14:15], v[16:17], 0x3c91a62633145c00, v[14:15]
	s_delay_alu instid0(VALU_DEP_2) | instskip(NEXT) | instid1(VALU_DEP_1)
	v_add_f64_e32 v[10:11], v[10:11], v[20:21]
	v_add_f64_e64 v[10:11], v[10:11], -v[14:15]
	s_delay_alu instid0(VALU_DEP_1) | instskip(SKIP_1) | instid1(VALU_DEP_2)
	v_fmamk_f64 v[14:15], v[16:17], 0xb97b839a252049c0, v[10:11]
	v_cvt_i32_f64_e32 v16, v[16:17]
	v_add_f64_e32 v[10:11], v[24:25], v[14:15]
	s_delay_alu instid0(VALU_DEP_1) | instskip(NEXT) | instid1(VALU_DEP_1)
	v_add_f64_e64 v[20:21], v[10:11], -v[24:25]
	v_add_f64_e64 v[14:15], v[14:15], -v[20:21]
.LBB0_44:
	s_or_b32 exec_lo, exec_lo, s0
	s_delay_alu instid0(VALU_DEP_4) | instskip(NEXT) | instid1(VALU_DEP_2)
	v_dual_mul_f64 v[20:21], v[10:11], v[10:11] :: v_dual_bitop2_b32 v17, 1, v16 bitop3:0x40
	v_dual_mul_f64 v[28:29], 0.5, v[14:15] :: v_dual_lshlrev_b32 v16, 30, v16
	s_mov_b64 s[2:3], 0x3de5e0b2f9a43bb8
	s_delay_alu instid0(VALU_DEP_2) | instskip(NEXT) | instid1(VALU_DEP_2)
	v_cmp_eq_u32_e64 s0, 0, v17
	v_dual_mul_f64 v[22:23], 0.5, v[20:21] :: v_dual_bitop2_b32 v16, v16, v7 bitop3:0x14
	v_mul_f64_e64 v[30:31], v[10:11], -v[20:21]
	v_fmaak_f64 v[32:33], s[2:3], v[20:21], 0xbe5ae600b42fdfa7
	s_mov_b64 s[2:3], 0xbda907db46cc5e42
	s_delay_alu instid0(VALU_DEP_3) | instskip(NEXT) | instid1(VALU_DEP_1)
	v_add_f64_e64 v[24:25], -v[22:23], 1.0
	v_add_f64_e64 v[26:27], -v[24:25], 1.0
	s_delay_alu instid0(VALU_DEP_1) | instskip(NEXT) | instid1(VALU_DEP_4)
	v_add_f64_e64 v[22:23], v[26:27], -v[22:23]
	v_fmaak_f64 v[26:27], v[20:21], v[32:33], 0x3ec71de3796cde01
	s_delay_alu instid0(VALU_DEP_1) | instskip(NEXT) | instid1(VALU_DEP_1)
	v_fmaak_f64 v[26:27], v[20:21], v[26:27], 0xbf2a01a019e83e5c
	v_fmaak_f64 v[26:27], v[20:21], v[26:27], 0x3f81111111110bb3
	s_delay_alu instid0(VALU_DEP_1) | instskip(SKIP_1) | instid1(VALU_DEP_1)
	v_fmac_f64_e32 v[28:29], v[30:31], v[26:27]
	v_fmaak_f64 v[26:27], s[2:3], v[20:21], 0x3e21eeb69037ab78
	v_fmaak_f64 v[26:27], v[20:21], v[26:27], 0xbe927e4fa17f65f6
	v_fma_f64 v[22:23], v[10:11], -v[14:15], v[22:23]
	s_delay_alu instid0(VALU_DEP_2) | instskip(NEXT) | instid1(VALU_DEP_1)
	v_fmaak_f64 v[26:27], v[20:21], v[26:27], 0x3efa01a019f4ec90
	v_fmaak_f64 v[26:27], v[20:21], v[26:27], 0xbf56c16c16c16967
	v_fma_f64 v[14:15], v[20:21], v[28:29], -v[14:15]
	s_delay_alu instid0(VALU_DEP_1) | instskip(NEXT) | instid1(VALU_DEP_1)
	v_fmamk_f64 v[14:15], v[30:31], 0xbfc5555555555555, v[14:15]
	v_add_f64_e64 v[10:11], v[10:11], -v[14:15]
	v_mul_f64_e32 v[32:33], v[20:21], v[20:21]
	v_fmaak_f64 v[20:21], v[20:21], v[26:27], 0x3fa5555555555555
	s_delay_alu instid0(VALU_DEP_1) | instskip(NEXT) | instid1(VALU_DEP_1)
	v_fmac_f64_e32 v[22:23], v[32:33], v[20:21]
	v_add_f64_e32 v[14:15], v[24:25], v[22:23]
	s_delay_alu instid0(VALU_DEP_1) | instskip(SKIP_1) | instid1(VALU_DEP_2)
	v_dual_cndmask_b32 v10, v14, v10, s0 :: v_dual_cndmask_b32 v11, v15, v11, s0
	v_cmp_class_f64_e64 s0, v[6:7], 0x1f8
	v_bitop3_b32 v11, v11, v16, 0x80000000 bitop3:0x78
	s_delay_alu instid0(VALU_DEP_1) | instskip(NEXT) | instid1(VALU_DEP_4)
	v_cndmask_b32_e64 v11, 0x7ff80000, v11, s0
	v_cndmask_b32_e64 v10, 0, v10, s0
.LBB0_45:
	s_or_b32 exec_lo, exec_lo, s1
	v_or_b32_e32 v6, 0x300, v0
	s_mov_b32 s1, exec_lo
	s_delay_alu instid0(VALU_DEP_1)
	v_cmpx_gt_i32_e64 s7, v6
	s_cbranch_execnz .LBB0_52
; %bb.46:
	s_or_b32 exec_lo, exec_lo, s1
	s_and_saveexec_b32 s0, vcc_lo
	s_delay_alu instid0(SALU_CYCLE_1)
	s_xor_b32 s0, exec_lo, s0
	s_cbranch_execnz .LBB0_57
.LBB0_47:
	s_or_b32 exec_lo, exec_lo, s0
	s_delay_alu instid0(SALU_CYCLE_1)
	s_mov_b32 s0, exec_lo
	v_cmpx_gt_i32_e64 s7, v0
	s_cbranch_execnz .LBB0_58
.LBB0_48:
	s_or_b32 exec_lo, exec_lo, s0
	s_delay_alu instid0(SALU_CYCLE_1)
	s_mov_b32 s0, exec_lo
	v_cmpx_gt_i32_e64 s7, v0
	s_cbranch_execnz .LBB0_59
.LBB0_49:
	s_or_b32 exec_lo, exec_lo, s0
	s_delay_alu instid0(SALU_CYCLE_1)
	s_mov_b32 s0, exec_lo
	v_cmpx_gt_i32_e64 s7, v0
	s_cbranch_execz .LBB0_51
.LBB0_50:
	v_add_nc_u32_e32 v0, s12, v0
	global_store_b64 v0, v[8:9], s[8:9] scale_offset
.LBB0_51:
	s_sendmsg sendmsg(MSG_DEALLOC_VGPRS)
	s_endpgm
.LBB0_52:
	s_mov_b32 s2, exec_lo
                                        ; implicit-def: $vgpr14
                                        ; implicit-def: $vgpr6_vgpr7
                                        ; implicit-def: $vgpr8_vgpr9
	v_cmpx_ngt_f64_e64 0x41d00000, |v[2:3]|
	s_xor_b32 s2, exec_lo, s2
	s_cbranch_execz .LBB0_54
; %bb.53:
	v_ldexp_f64 v[6:7], |v[2:3]|, 0xffffff80
	v_cmp_le_f64_e64 s0, 0x7b000000, |v[2:3]|
	v_trig_preop_f64 v[8:9], |v[2:3]|, 0
	v_and_b32_e32 v14, 0x7fffffff, v3
	v_trig_preop_f64 v[26:27], |v[2:3]|, 2
	s_mov_b64 s[4:5], 0x3ff921fb54442d18
	s_delay_alu instid0(VALU_DEP_2) | instskip(SKIP_2) | instid1(VALU_DEP_2)
	v_dual_mov_b32 v34, 0 :: v_dual_cndmask_b32 v7, v14, v7, s0
	v_cndmask_b32_e64 v6, v2, v6, s0
	v_trig_preop_f64 v[14:15], |v[2:3]|, 1
	v_mul_f64_e32 v[16:17], v[8:9], v[6:7]
	s_delay_alu instid0(VALU_DEP_2) | instskip(NEXT) | instid1(VALU_DEP_2)
	v_mul_f64_e32 v[20:21], v[14:15], v[6:7]
	v_fma_f64 v[8:9], v[8:9], v[6:7], -v[16:17]
	s_delay_alu instid0(VALU_DEP_1) | instskip(NEXT) | instid1(VALU_DEP_1)
	v_add_f64_e32 v[22:23], v[20:21], v[8:9]
	v_add_f64_e64 v[24:25], v[22:23], -v[20:21]
	v_add_f64_e32 v[30:31], v[16:17], v[22:23]
	s_delay_alu instid0(VALU_DEP_2) | instskip(SKIP_2) | instid1(VALU_DEP_4)
	v_add_f64_e64 v[28:29], v[22:23], -v[24:25]
	v_add_f64_e64 v[8:9], v[8:9], -v[24:25]
	v_fma_f64 v[14:15], v[14:15], v[6:7], -v[20:21]
	v_ldexp_f64 v[24:25], v[30:31], -2
	v_mul_f64_e32 v[32:33], v[26:27], v[6:7]
	v_add_f64_e64 v[20:21], v[20:21], -v[28:29]
	s_delay_alu instid0(VALU_DEP_3) | instskip(NEXT) | instid1(VALU_DEP_3)
	v_cmp_neq_f64_e64 s0, 0x7ff00000, |v[24:25]|
	v_add_f64_e32 v[28:29], v[32:33], v[14:15]
	v_fma_f64 v[6:7], v[26:27], v[6:7], -v[32:33]
	s_delay_alu instid0(VALU_DEP_4) | instskip(SKIP_1) | instid1(VALU_DEP_1)
	v_add_f64_e32 v[8:9], v[8:9], v[20:21]
	v_fract_f64_e32 v[20:21], v[24:25]
	v_ldexp_f64 v[20:21], v[20:21], 2
	s_delay_alu instid0(VALU_DEP_1) | instskip(SKIP_1) | instid1(VALU_DEP_3)
	v_cndmask_b32_e64 v21, 0, v21, s0
	v_add_f64_e64 v[16:17], v[30:31], -v[16:17]
	v_cndmask_b32_e64 v20, 0, v20, s0
	s_delay_alu instid0(VALU_DEP_2) | instskip(SKIP_1) | instid1(VALU_DEP_1)
	v_add_f64_e64 v[16:17], v[22:23], -v[16:17]
	v_add_f64_e32 v[22:23], v[28:29], v[8:9]
	v_add_f64_e32 v[24:25], v[16:17], v[22:23]
	v_add_f64_e64 v[36:37], v[22:23], -v[28:29]
	s_delay_alu instid0(VALU_DEP_2) | instskip(NEXT) | instid1(VALU_DEP_2)
	v_add_f64_e32 v[30:31], v[24:25], v[20:21]
	v_add_f64_e64 v[42:43], v[22:23], -v[36:37]
	v_add_f64_e64 v[8:9], v[8:9], -v[36:37]
	;; [unrolled: 1-line block ×3, first 2 shown]
	s_delay_alu instid0(VALU_DEP_4) | instskip(SKIP_1) | instid1(VALU_DEP_2)
	v_cmp_gt_f64_e64 s0, 0, v[30:31]
	v_add_f64_e64 v[30:31], v[28:29], -v[32:33]
	v_cndmask_b32_e64 v35, 0, 0x40100000, s0
	s_delay_alu instid0(VALU_DEP_2) | instskip(SKIP_2) | instid1(VALU_DEP_4)
	v_add_f64_e64 v[40:41], v[28:29], -v[30:31]
	v_add_f64_e64 v[14:15], v[14:15], -v[30:31]
	;; [unrolled: 1-line block ×3, first 2 shown]
	v_add_f64_e32 v[20:21], v[20:21], v[34:35]
	s_delay_alu instid0(VALU_DEP_4) | instskip(NEXT) | instid1(VALU_DEP_3)
	v_add_f64_e64 v[30:31], v[32:33], -v[40:41]
	v_add_f64_e32 v[8:9], v[8:9], v[28:29]
	s_delay_alu instid0(VALU_DEP_3) | instskip(NEXT) | instid1(VALU_DEP_3)
	v_add_f64_e32 v[38:39], v[24:25], v[20:21]
	v_add_f64_e32 v[14:15], v[14:15], v[30:31]
	s_delay_alu instid0(VALU_DEP_2) | instskip(NEXT) | instid1(VALU_DEP_2)
	v_cvt_i32_f64_e32 v19, v[38:39]
	v_add_f64_e32 v[8:9], v[14:15], v[8:9]
	v_add_f64_e64 v[14:15], v[22:23], -v[16:17]
	s_delay_alu instid0(VALU_DEP_3) | instskip(NEXT) | instid1(VALU_DEP_3)
	v_cvt_f64_i32_e32 v[36:37], v19
	v_add_f64_e32 v[6:7], v[6:7], v[8:9]
	s_delay_alu instid0(VALU_DEP_2) | instskip(NEXT) | instid1(VALU_DEP_2)
	v_add_f64_e64 v[20:21], v[20:21], -v[36:37]
	v_add_f64_e32 v[6:7], v[14:15], v[6:7]
	s_delay_alu instid0(VALU_DEP_2) | instskip(NEXT) | instid1(VALU_DEP_1)
	v_add_f64_e32 v[26:27], v[24:25], v[20:21]
	v_add_f64_e64 v[8:9], v[26:27], -v[20:21]
	v_cmp_le_f64_e64 s0, 0.5, v[26:27]
	s_delay_alu instid0(VALU_DEP_2) | instskip(NEXT) | instid1(VALU_DEP_2)
	v_add_f64_e64 v[8:9], v[24:25], -v[8:9]
	v_cndmask_b32_e64 v35, 0, 0x3ff00000, s0
	v_add_co_ci_u32_e64 v14, null, 0, v19, s0
	s_delay_alu instid0(VALU_DEP_3) | instskip(NEXT) | instid1(VALU_DEP_3)
	v_add_f64_e32 v[6:7], v[6:7], v[8:9]
	v_add_f64_e64 v[8:9], v[26:27], -v[34:35]
	s_delay_alu instid0(VALU_DEP_1) | instskip(NEXT) | instid1(VALU_DEP_1)
	v_add_f64_e32 v[16:17], v[8:9], v[6:7]
	v_mul_f64_e32 v[20:21], 0x3ff921fb54442d18, v[16:17]
	v_add_f64_e64 v[8:9], v[16:17], -v[8:9]
	s_delay_alu instid0(VALU_DEP_2) | instskip(NEXT) | instid1(VALU_DEP_2)
	v_fma_f64 v[22:23], v[16:17], s[4:5], -v[20:21]
	v_add_f64_e64 v[6:7], v[6:7], -v[8:9]
	s_delay_alu instid0(VALU_DEP_2) | instskip(NEXT) | instid1(VALU_DEP_1)
	v_fmamk_f64 v[8:9], v[16:17], 0x3c91a62633145c07, v[22:23]
	v_fmac_f64_e32 v[8:9], 0x3ff921fb54442d18, v[6:7]
	s_delay_alu instid0(VALU_DEP_1) | instskip(NEXT) | instid1(VALU_DEP_1)
	v_add_f64_e32 v[6:7], v[20:21], v[8:9]
	v_add_f64_e64 v[16:17], v[6:7], -v[20:21]
	s_delay_alu instid0(VALU_DEP_1)
	v_add_f64_e64 v[8:9], v[8:9], -v[16:17]
.LBB0_54:
	s_and_not1_saveexec_b32 s0, s2
	s_cbranch_execz .LBB0_56
; %bb.55:
	s_mov_b64 s[2:3], 0x3fe45f306dc9c883
	s_delay_alu instid0(SALU_CYCLE_1) | instskip(SKIP_1) | instid1(VALU_DEP_1)
	v_mul_f64_e64 v[6:7], |v[2:3]|, s[2:3]
	s_mov_b64 s[2:3], 0xbff921fb54442d18
	v_rndne_f64_e32 v[14:15], v[6:7]
	s_delay_alu instid0(VALU_DEP_1) | instskip(SKIP_1) | instid1(VALU_DEP_2)
	v_fma_f64 v[6:7], v[14:15], s[2:3], |v[2:3]|
	v_mul_f64_e32 v[8:9], 0xbc91a62633145c00, v[14:15]
	v_fmamk_f64 v[22:23], v[14:15], 0xbc91a62633145c00, v[6:7]
	s_delay_alu instid0(VALU_DEP_2) | instskip(NEXT) | instid1(VALU_DEP_1)
	v_add_f64_e32 v[16:17], v[6:7], v[8:9]
	v_add_f64_e64 v[20:21], v[6:7], -v[16:17]
	s_delay_alu instid0(VALU_DEP_3) | instskip(NEXT) | instid1(VALU_DEP_2)
	v_add_f64_e64 v[6:7], v[16:17], -v[22:23]
	v_add_f64_e32 v[16:17], v[20:21], v[8:9]
	v_fmamk_f64 v[8:9], v[14:15], 0x3c91a62633145c00, v[8:9]
	s_delay_alu instid0(VALU_DEP_2) | instskip(NEXT) | instid1(VALU_DEP_1)
	v_add_f64_e32 v[6:7], v[6:7], v[16:17]
	v_add_f64_e64 v[6:7], v[6:7], -v[8:9]
	s_delay_alu instid0(VALU_DEP_1) | instskip(SKIP_1) | instid1(VALU_DEP_2)
	v_fmamk_f64 v[8:9], v[14:15], 0xb97b839a252049c0, v[6:7]
	v_cvt_i32_f64_e32 v14, v[14:15]
	v_add_f64_e32 v[6:7], v[22:23], v[8:9]
	s_delay_alu instid0(VALU_DEP_1) | instskip(NEXT) | instid1(VALU_DEP_1)
	v_add_f64_e64 v[16:17], v[6:7], -v[22:23]
	v_add_f64_e64 v[8:9], v[8:9], -v[16:17]
.LBB0_56:
	s_or_b32 exec_lo, exec_lo, s0
	v_mul_f64_e32 v[16:17], v[6:7], v[6:7]
	s_delay_alu instid0(VALU_DEP_2) | instskip(SKIP_2) | instid1(VALU_DEP_1)
	v_mul_f64_e32 v[26:27], 0.5, v[8:9]
	s_mov_b64 s[2:3], 0x3de5e0b2f9a43bb8
	v_dual_lshlrev_b32 v14, 30, v14 :: v_dual_bitop2_b32 v15, 1, v14 bitop3:0x40
	v_cmp_eq_u32_e64 s0, 0, v15
	s_delay_alu instid0(VALU_DEP_2) | instskip(SKIP_3) | instid1(VALU_DEP_3)
	v_dual_mul_f64 v[20:21], 0.5, v[16:17] :: v_dual_bitop2_b32 v14, v14, v3 bitop3:0x14
	v_mul_f64_e64 v[28:29], v[6:7], -v[16:17]
	v_fmaak_f64 v[30:31], s[2:3], v[16:17], 0xbe5ae600b42fdfa7
	s_mov_b64 s[2:3], 0xbda907db46cc5e42
	v_add_f64_e64 v[22:23], -v[20:21], 1.0
	s_delay_alu instid0(VALU_DEP_1) | instskip(NEXT) | instid1(VALU_DEP_1)
	v_add_f64_e64 v[24:25], -v[22:23], 1.0
	v_add_f64_e64 v[20:21], v[24:25], -v[20:21]
	s_delay_alu instid0(VALU_DEP_4) | instskip(SKIP_1) | instid1(VALU_DEP_2)
	v_fmaak_f64 v[24:25], v[16:17], v[30:31], 0x3ec71de3796cde01
	v_mul_f64_e32 v[30:31], v[16:17], v[16:17]
	v_fmaak_f64 v[24:25], v[16:17], v[24:25], 0xbf2a01a019e83e5c
	s_delay_alu instid0(VALU_DEP_1) | instskip(NEXT) | instid1(VALU_DEP_1)
	v_fmaak_f64 v[24:25], v[16:17], v[24:25], 0x3f81111111110bb3
	v_fmac_f64_e32 v[26:27], v[28:29], v[24:25]
	v_fmaak_f64 v[24:25], s[2:3], v[16:17], 0x3e21eeb69037ab78
	s_delay_alu instid0(VALU_DEP_1) | instskip(SKIP_1) | instid1(VALU_DEP_2)
	v_fmaak_f64 v[24:25], v[16:17], v[24:25], 0xbe927e4fa17f65f6
	v_fma_f64 v[20:21], v[6:7], -v[8:9], v[20:21]
	v_fmaak_f64 v[24:25], v[16:17], v[24:25], 0x3efa01a019f4ec90
	s_delay_alu instid0(VALU_DEP_1) | instskip(SKIP_1) | instid1(VALU_DEP_2)
	v_fmaak_f64 v[24:25], v[16:17], v[24:25], 0xbf56c16c16c16967
	v_fma_f64 v[8:9], v[16:17], v[26:27], -v[8:9]
	v_fmaak_f64 v[16:17], v[16:17], v[24:25], 0x3fa5555555555555
	s_delay_alu instid0(VALU_DEP_1) | instskip(NEXT) | instid1(VALU_DEP_3)
	v_fmac_f64_e32 v[20:21], v[30:31], v[16:17]
	v_fmamk_f64 v[8:9], v[28:29], 0xbfc5555555555555, v[8:9]
	s_delay_alu instid0(VALU_DEP_1) | instskip(NEXT) | instid1(VALU_DEP_3)
	v_add_f64_e64 v[6:7], v[6:7], -v[8:9]
	v_add_f64_e32 v[8:9], v[22:23], v[20:21]
	s_delay_alu instid0(VALU_DEP_1) | instskip(SKIP_1) | instid1(VALU_DEP_2)
	v_dual_cndmask_b32 v6, v8, v6, s0 :: v_dual_cndmask_b32 v7, v9, v7, s0
	v_cmp_class_f64_e64 s0, v[2:3], 0x1f8
	v_bitop3_b32 v7, v7, v14, 0x80000000 bitop3:0x78
	s_delay_alu instid0(VALU_DEP_1) | instskip(NEXT) | instid1(VALU_DEP_4)
	v_cndmask_b32_e64 v9, 0x7ff80000, v7, s0
	v_cndmask_b32_e64 v8, 0, v6, s0
	s_or_b32 exec_lo, exec_lo, s1
	s_and_saveexec_b32 s0, vcc_lo
	s_delay_alu instid0(SALU_CYCLE_1)
	s_xor_b32 s0, exec_lo, s0
	s_cbranch_execz .LBB0_47
.LBB0_57:
	v_mov_b32_e32 v0, v18
	global_store_b64 v1, v[4:5], s[8:9] scale_offset
	s_wait_xcnt 0x0
	s_or_b32 exec_lo, exec_lo, s0
	s_delay_alu instid0(SALU_CYCLE_1)
	s_mov_b32 s0, exec_lo
	v_cmpx_gt_i32_e64 s7, v0
	s_cbranch_execz .LBB0_48
.LBB0_58:
	v_add_nc_u32_e32 v1, s12, v0
	v_add_nc_u32_e32 v0, 0x100, v0
	global_store_b64 v1, v[12:13], s[8:9] scale_offset
	s_wait_xcnt 0x0
	s_or_b32 exec_lo, exec_lo, s0
	s_delay_alu instid0(SALU_CYCLE_1)
	s_mov_b32 s0, exec_lo
	v_cmpx_gt_i32_e64 s7, v0
	s_cbranch_execz .LBB0_49
.LBB0_59:
	v_add_nc_u32_e32 v1, s12, v0
	v_add_nc_u32_e32 v0, 0x100, v0
	global_store_b64 v1, v[10:11], s[8:9] scale_offset
	s_wait_xcnt 0x0
	s_or_b32 exec_lo, exec_lo, s0
	s_delay_alu instid0(SALU_CYCLE_1)
	s_mov_b32 s0, exec_lo
	v_cmpx_gt_i32_e64 s7, v0
	s_cbranch_execnz .LBB0_50
	s_branch .LBB0_51
	.section	.rodata,"a",@progbits
	.p2align	6, 0x0
	.amdhsa_kernel _ZN2at6native29vectorized_elementwise_kernelILi16EZZZNS0_15sin_kernel_cudaERNS_18TensorIteratorBaseEENKUlvE0_clEvENKUlvE_clEvEUldE_St5arrayIPcLm2EEEEviT0_T1_
		.amdhsa_group_segment_fixed_size 0
		.amdhsa_private_segment_fixed_size 0
		.amdhsa_kernarg_size 24
		.amdhsa_user_sgpr_count 2
		.amdhsa_user_sgpr_dispatch_ptr 0
		.amdhsa_user_sgpr_queue_ptr 0
		.amdhsa_user_sgpr_kernarg_segment_ptr 1
		.amdhsa_user_sgpr_dispatch_id 0
		.amdhsa_user_sgpr_kernarg_preload_length 0
		.amdhsa_user_sgpr_kernarg_preload_offset 0
		.amdhsa_user_sgpr_private_segment_size 0
		.amdhsa_wavefront_size32 1
		.amdhsa_uses_dynamic_stack 0
		.amdhsa_enable_private_segment 0
		.amdhsa_system_sgpr_workgroup_id_x 1
		.amdhsa_system_sgpr_workgroup_id_y 0
		.amdhsa_system_sgpr_workgroup_id_z 0
		.amdhsa_system_sgpr_workgroup_info 0
		.amdhsa_system_vgpr_workitem_id 0
		.amdhsa_next_free_vgpr 68
		.amdhsa_next_free_sgpr 16
		.amdhsa_named_barrier_count 0
		.amdhsa_reserve_vcc 1
		.amdhsa_float_round_mode_32 0
		.amdhsa_float_round_mode_16_64 0
		.amdhsa_float_denorm_mode_32 3
		.amdhsa_float_denorm_mode_16_64 3
		.amdhsa_fp16_overflow 0
		.amdhsa_memory_ordered 1
		.amdhsa_forward_progress 1
		.amdhsa_inst_pref_size 81
		.amdhsa_round_robin_scheduling 0
		.amdhsa_exception_fp_ieee_invalid_op 0
		.amdhsa_exception_fp_denorm_src 0
		.amdhsa_exception_fp_ieee_div_zero 0
		.amdhsa_exception_fp_ieee_overflow 0
		.amdhsa_exception_fp_ieee_underflow 0
		.amdhsa_exception_fp_ieee_inexact 0
		.amdhsa_exception_int_div_zero 0
	.end_amdhsa_kernel
	.section	.text._ZN2at6native29vectorized_elementwise_kernelILi16EZZZNS0_15sin_kernel_cudaERNS_18TensorIteratorBaseEENKUlvE0_clEvENKUlvE_clEvEUldE_St5arrayIPcLm2EEEEviT0_T1_,"axG",@progbits,_ZN2at6native29vectorized_elementwise_kernelILi16EZZZNS0_15sin_kernel_cudaERNS_18TensorIteratorBaseEENKUlvE0_clEvENKUlvE_clEvEUldE_St5arrayIPcLm2EEEEviT0_T1_,comdat
.Lfunc_end0:
	.size	_ZN2at6native29vectorized_elementwise_kernelILi16EZZZNS0_15sin_kernel_cudaERNS_18TensorIteratorBaseEENKUlvE0_clEvENKUlvE_clEvEUldE_St5arrayIPcLm2EEEEviT0_T1_, .Lfunc_end0-_ZN2at6native29vectorized_elementwise_kernelILi16EZZZNS0_15sin_kernel_cudaERNS_18TensorIteratorBaseEENKUlvE0_clEvENKUlvE_clEvEUldE_St5arrayIPcLm2EEEEviT0_T1_
                                        ; -- End function
	.set _ZN2at6native29vectorized_elementwise_kernelILi16EZZZNS0_15sin_kernel_cudaERNS_18TensorIteratorBaseEENKUlvE0_clEvENKUlvE_clEvEUldE_St5arrayIPcLm2EEEEviT0_T1_.num_vgpr, 68
	.set _ZN2at6native29vectorized_elementwise_kernelILi16EZZZNS0_15sin_kernel_cudaERNS_18TensorIteratorBaseEENKUlvE0_clEvENKUlvE_clEvEUldE_St5arrayIPcLm2EEEEviT0_T1_.num_agpr, 0
	.set _ZN2at6native29vectorized_elementwise_kernelILi16EZZZNS0_15sin_kernel_cudaERNS_18TensorIteratorBaseEENKUlvE0_clEvENKUlvE_clEvEUldE_St5arrayIPcLm2EEEEviT0_T1_.numbered_sgpr, 16
	.set _ZN2at6native29vectorized_elementwise_kernelILi16EZZZNS0_15sin_kernel_cudaERNS_18TensorIteratorBaseEENKUlvE0_clEvENKUlvE_clEvEUldE_St5arrayIPcLm2EEEEviT0_T1_.num_named_barrier, 0
	.set _ZN2at6native29vectorized_elementwise_kernelILi16EZZZNS0_15sin_kernel_cudaERNS_18TensorIteratorBaseEENKUlvE0_clEvENKUlvE_clEvEUldE_St5arrayIPcLm2EEEEviT0_T1_.private_seg_size, 0
	.set _ZN2at6native29vectorized_elementwise_kernelILi16EZZZNS0_15sin_kernel_cudaERNS_18TensorIteratorBaseEENKUlvE0_clEvENKUlvE_clEvEUldE_St5arrayIPcLm2EEEEviT0_T1_.uses_vcc, 1
	.set _ZN2at6native29vectorized_elementwise_kernelILi16EZZZNS0_15sin_kernel_cudaERNS_18TensorIteratorBaseEENKUlvE0_clEvENKUlvE_clEvEUldE_St5arrayIPcLm2EEEEviT0_T1_.uses_flat_scratch, 0
	.set _ZN2at6native29vectorized_elementwise_kernelILi16EZZZNS0_15sin_kernel_cudaERNS_18TensorIteratorBaseEENKUlvE0_clEvENKUlvE_clEvEUldE_St5arrayIPcLm2EEEEviT0_T1_.has_dyn_sized_stack, 0
	.set _ZN2at6native29vectorized_elementwise_kernelILi16EZZZNS0_15sin_kernel_cudaERNS_18TensorIteratorBaseEENKUlvE0_clEvENKUlvE_clEvEUldE_St5arrayIPcLm2EEEEviT0_T1_.has_recursion, 0
	.set _ZN2at6native29vectorized_elementwise_kernelILi16EZZZNS0_15sin_kernel_cudaERNS_18TensorIteratorBaseEENKUlvE0_clEvENKUlvE_clEvEUldE_St5arrayIPcLm2EEEEviT0_T1_.has_indirect_call, 0
	.section	.AMDGPU.csdata,"",@progbits
; Kernel info:
; codeLenInByte = 10324
; TotalNumSgprs: 18
; NumVgprs: 68
; ScratchSize: 0
; MemoryBound: 1
; FloatMode: 240
; IeeeMode: 1
; LDSByteSize: 0 bytes/workgroup (compile time only)
; SGPRBlocks: 0
; VGPRBlocks: 4
; NumSGPRsForWavesPerEU: 18
; NumVGPRsForWavesPerEU: 68
; NamedBarCnt: 0
; Occupancy: 12
; WaveLimiterHint : 0
; COMPUTE_PGM_RSRC2:SCRATCH_EN: 0
; COMPUTE_PGM_RSRC2:USER_SGPR: 2
; COMPUTE_PGM_RSRC2:TRAP_HANDLER: 0
; COMPUTE_PGM_RSRC2:TGID_X_EN: 1
; COMPUTE_PGM_RSRC2:TGID_Y_EN: 0
; COMPUTE_PGM_RSRC2:TGID_Z_EN: 0
; COMPUTE_PGM_RSRC2:TIDIG_COMP_CNT: 0
	.section	.text._ZN2at6native29vectorized_elementwise_kernelILi8EZZZNS0_15sin_kernel_cudaERNS_18TensorIteratorBaseEENKUlvE0_clEvENKUlvE_clEvEUldE_St5arrayIPcLm2EEEEviT0_T1_,"axG",@progbits,_ZN2at6native29vectorized_elementwise_kernelILi8EZZZNS0_15sin_kernel_cudaERNS_18TensorIteratorBaseEENKUlvE0_clEvENKUlvE_clEvEUldE_St5arrayIPcLm2EEEEviT0_T1_,comdat
	.globl	_ZN2at6native29vectorized_elementwise_kernelILi8EZZZNS0_15sin_kernel_cudaERNS_18TensorIteratorBaseEENKUlvE0_clEvENKUlvE_clEvEUldE_St5arrayIPcLm2EEEEviT0_T1_ ; -- Begin function _ZN2at6native29vectorized_elementwise_kernelILi8EZZZNS0_15sin_kernel_cudaERNS_18TensorIteratorBaseEENKUlvE0_clEvENKUlvE_clEvEUldE_St5arrayIPcLm2EEEEviT0_T1_
	.p2align	8
	.type	_ZN2at6native29vectorized_elementwise_kernelILi8EZZZNS0_15sin_kernel_cudaERNS_18TensorIteratorBaseEENKUlvE0_clEvENKUlvE_clEvEUldE_St5arrayIPcLm2EEEEviT0_T1_,@function
_ZN2at6native29vectorized_elementwise_kernelILi8EZZZNS0_15sin_kernel_cudaERNS_18TensorIteratorBaseEENKUlvE0_clEvENKUlvE_clEvEUldE_St5arrayIPcLm2EEEEviT0_T1_: ; @_ZN2at6native29vectorized_elementwise_kernelILi8EZZZNS0_15sin_kernel_cudaERNS_18TensorIteratorBaseEENKUlvE0_clEvENKUlvE_clEvEUldE_St5arrayIPcLm2EEEEviT0_T1_
; %bb.0:
	s_clause 0x1
	s_load_b32 s2, s[0:1], 0x0
	s_load_b128 s[8:11], s[0:1], 0x8
	s_wait_xcnt 0x0
	s_bfe_u32 s0, ttmp6, 0x4000c
	s_and_b32 s1, ttmp6, 15
	s_add_co_i32 s0, s0, 1
	s_getreg_b32 s3, hwreg(HW_REG_IB_STS2, 6, 4)
	s_mul_i32 s0, ttmp9, s0
	s_delay_alu instid0(SALU_CYCLE_1) | instskip(SKIP_2) | instid1(SALU_CYCLE_1)
	s_add_co_i32 s1, s1, s0
	s_cmp_eq_u32 s3, 0
	s_cselect_b32 s0, ttmp9, s1
	s_lshl_b32 s12, s0, 10
	s_mov_b32 s0, -1
	s_wait_kmcnt 0x0
	s_sub_co_i32 s7, s2, s12
	s_delay_alu instid0(SALU_CYCLE_1)
	s_cmp_gt_i32 s7, 0x3ff
	s_cbranch_scc0 .LBB1_18
; %bb.1:
	s_ashr_i32 s13, s12, 31
	v_dual_mov_b32 v14, 0 :: v_dual_lshlrev_b32 v1, 5, v0
	s_lshl_b64 s[14:15], s[12:13], 3
                                        ; implicit-def: $vgpr26
                                        ; implicit-def: $vgpr10_vgpr11
                                        ; implicit-def: $vgpr12_vgpr13
	s_delay_alu instid0(SALU_CYCLE_1)
	s_add_nc_u64 s[0:1], s[10:11], s[14:15]
	s_clause 0x1
	global_load_b128 v[6:9], v1, s[0:1]
	global_load_b128 v[2:5], v1, s[0:1] offset:16
	s_wait_loadcnt 0x1
	s_wait_xcnt 0x0
	v_cmp_ngt_f64_e64 s0, 0x41d00000, |v[6:7]|
	s_and_saveexec_b32 s1, s0
	s_delay_alu instid0(SALU_CYCLE_1)
	s_xor_b32 s0, exec_lo, s1
	s_cbranch_execz .LBB1_3
; %bb.2:
	v_ldexp_f64 v[10:11], |v[6:7]|, 0xffffff80
	v_cmp_le_f64_e64 vcc_lo, 0x7b000000, |v[6:7]|
	v_trig_preop_f64 v[12:13], |v[6:7]|, 0
	v_and_b32_e32 v15, 0x7fffffff, v7
	v_trig_preop_f64 v[16:17], |v[6:7]|, 1
	v_trig_preop_f64 v[26:27], |v[6:7]|, 2
	s_mov_b64 s[2:3], 0x3ff921fb54442d18
	s_delay_alu instid0(VALU_DEP_3) | instskip(NEXT) | instid1(VALU_DEP_1)
	v_dual_cndmask_b32 v11, v15, v11 :: v_dual_cndmask_b32 v10, v6, v10
	v_mul_f64_e32 v[18:19], v[12:13], v[10:11]
	s_delay_alu instid0(VALU_DEP_4) | instskip(NEXT) | instid1(VALU_DEP_4)
	v_mul_f64_e32 v[20:21], v[16:17], v[10:11]
	v_mul_f64_e32 v[32:33], v[26:27], v[10:11]
	s_delay_alu instid0(VALU_DEP_3) | instskip(NEXT) | instid1(VALU_DEP_3)
	v_fma_f64 v[12:13], v[12:13], v[10:11], -v[18:19]
	v_fma_f64 v[16:17], v[16:17], v[10:11], -v[20:21]
	s_delay_alu instid0(VALU_DEP_3) | instskip(NEXT) | instid1(VALU_DEP_3)
	v_fma_f64 v[10:11], v[26:27], v[10:11], -v[32:33]
	v_add_f64_e32 v[22:23], v[20:21], v[12:13]
	s_delay_alu instid0(VALU_DEP_1) | instskip(SKIP_1) | instid1(VALU_DEP_2)
	v_add_f64_e64 v[24:25], v[22:23], -v[20:21]
	v_add_f64_e32 v[30:31], v[18:19], v[22:23]
	v_add_f64_e64 v[28:29], v[22:23], -v[24:25]
	v_add_f64_e64 v[12:13], v[12:13], -v[24:25]
	s_delay_alu instid0(VALU_DEP_3) | instskip(NEXT) | instid1(VALU_DEP_3)
	v_ldexp_f64 v[24:25], v[30:31], -2
	v_add_f64_e64 v[20:21], v[20:21], -v[28:29]
	v_add_f64_e32 v[28:29], v[32:33], v[16:17]
	s_delay_alu instid0(VALU_DEP_3) | instskip(NEXT) | instid1(VALU_DEP_3)
	v_cmp_neq_f64_e64 vcc_lo, 0x7ff00000, |v[24:25]|
	v_add_f64_e32 v[12:13], v[12:13], v[20:21]
	v_fract_f64_e32 v[20:21], v[24:25]
	s_delay_alu instid0(VALU_DEP_1) | instskip(NEXT) | instid1(VALU_DEP_1)
	v_ldexp_f64 v[20:21], v[20:21], 2
	v_dual_add_f64 v[18:19], v[30:31], -v[18:19] :: v_dual_cndmask_b32 v21, 0, v21, vcc_lo
	s_delay_alu instid0(VALU_DEP_1) | instskip(SKIP_1) | instid1(VALU_DEP_1)
	v_dual_add_f64 v[18:19], v[22:23], -v[18:19] :: v_dual_cndmask_b32 v20, 0, v20, vcc_lo
	v_add_f64_e32 v[22:23], v[28:29], v[12:13]
	v_add_f64_e32 v[24:25], v[18:19], v[22:23]
	v_add_f64_e64 v[34:35], v[22:23], -v[28:29]
	s_delay_alu instid0(VALU_DEP_2) | instskip(NEXT) | instid1(VALU_DEP_2)
	v_add_f64_e32 v[30:31], v[24:25], v[20:21]
	v_add_f64_e64 v[40:41], v[22:23], -v[34:35]
	v_add_f64_e64 v[12:13], v[12:13], -v[34:35]
	;; [unrolled: 1-line block ×3, first 2 shown]
	s_delay_alu instid0(VALU_DEP_4) | instskip(SKIP_1) | instid1(VALU_DEP_3)
	v_cmp_gt_f64_e32 vcc_lo, 0, v[30:31]
	v_add_f64_e64 v[30:31], v[28:29], -v[32:33]
	v_add_f64_e64 v[18:19], v[22:23], -v[18:19]
	v_cndmask_b32_e64 v15, 0, 0x40100000, vcc_lo
	s_delay_alu instid0(VALU_DEP_3) | instskip(SKIP_2) | instid1(VALU_DEP_4)
	v_add_f64_e64 v[38:39], v[28:29], -v[30:31]
	v_add_f64_e64 v[16:17], v[16:17], -v[30:31]
	;; [unrolled: 1-line block ×3, first 2 shown]
	v_add_f64_e32 v[20:21], v[20:21], v[14:15]
	s_delay_alu instid0(VALU_DEP_4) | instskip(NEXT) | instid1(VALU_DEP_3)
	v_add_f64_e64 v[30:31], v[32:33], -v[38:39]
	v_add_f64_e32 v[12:13], v[12:13], v[28:29]
	s_delay_alu instid0(VALU_DEP_3) | instskip(NEXT) | instid1(VALU_DEP_3)
	v_add_f64_e32 v[36:37], v[24:25], v[20:21]
	v_add_f64_e32 v[16:17], v[16:17], v[30:31]
	s_delay_alu instid0(VALU_DEP_2) | instskip(NEXT) | instid1(VALU_DEP_2)
	v_cvt_i32_f64_e32 v15, v[36:37]
	v_add_f64_e32 v[12:13], v[16:17], v[12:13]
	s_delay_alu instid0(VALU_DEP_2) | instskip(NEXT) | instid1(VALU_DEP_2)
	v_cvt_f64_i32_e32 v[34:35], v15
	v_add_f64_e32 v[10:11], v[10:11], v[12:13]
	s_delay_alu instid0(VALU_DEP_2) | instskip(NEXT) | instid1(VALU_DEP_2)
	v_add_f64_e64 v[20:21], v[20:21], -v[34:35]
	v_add_f64_e32 v[10:11], v[18:19], v[10:11]
	s_delay_alu instid0(VALU_DEP_2) | instskip(NEXT) | instid1(VALU_DEP_1)
	v_add_f64_e32 v[16:17], v[24:25], v[20:21]
	v_add_f64_e64 v[12:13], v[16:17], -v[20:21]
	v_cmp_le_f64_e32 vcc_lo, 0.5, v[16:17]
	s_delay_alu instid0(VALU_DEP_2) | instskip(SKIP_2) | instid1(VALU_DEP_3)
	v_add_f64_e64 v[12:13], v[24:25], -v[12:13]
	v_add_co_ci_u32_e64 v26, null, 0, v15, vcc_lo
	v_cndmask_b32_e64 v15, 0, 0x3ff00000, vcc_lo
	v_add_f64_e32 v[10:11], v[10:11], v[12:13]
	s_delay_alu instid0(VALU_DEP_2) | instskip(NEXT) | instid1(VALU_DEP_1)
	v_add_f64_e64 v[12:13], v[16:17], -v[14:15]
	v_add_f64_e32 v[14:15], v[12:13], v[10:11]
	s_delay_alu instid0(VALU_DEP_1) | instskip(SKIP_1) | instid1(VALU_DEP_2)
	v_mul_f64_e32 v[16:17], 0x3ff921fb54442d18, v[14:15]
	v_add_f64_e64 v[12:13], v[14:15], -v[12:13]
	v_fma_f64 v[18:19], v[14:15], s[2:3], -v[16:17]
	s_delay_alu instid0(VALU_DEP_2) | instskip(NEXT) | instid1(VALU_DEP_2)
	v_add_f64_e64 v[10:11], v[10:11], -v[12:13]
	v_fmamk_f64 v[12:13], v[14:15], 0x3c91a62633145c07, v[18:19]
	s_delay_alu instid0(VALU_DEP_1) | instskip(NEXT) | instid1(VALU_DEP_1)
	v_fmac_f64_e32 v[12:13], 0x3ff921fb54442d18, v[10:11]
	v_add_f64_e32 v[10:11], v[16:17], v[12:13]
	s_delay_alu instid0(VALU_DEP_1) | instskip(NEXT) | instid1(VALU_DEP_1)
	v_add_f64_e64 v[14:15], v[10:11], -v[16:17]
	v_add_f64_e64 v[12:13], v[12:13], -v[14:15]
.LBB1_3:
	s_and_not1_saveexec_b32 s0, s0
	s_cbranch_execz .LBB1_5
; %bb.4:
	s_mov_b64 s[2:3], 0x3fe45f306dc9c883
	s_delay_alu instid0(SALU_CYCLE_1) | instskip(SKIP_1) | instid1(VALU_DEP_1)
	v_mul_f64_e64 v[10:11], |v[6:7]|, s[2:3]
	s_mov_b64 s[2:3], 0xbff921fb54442d18
	v_rndne_f64_e32 v[14:15], v[10:11]
	s_delay_alu instid0(VALU_DEP_1) | instskip(SKIP_2) | instid1(VALU_DEP_3)
	v_fma_f64 v[10:11], v[14:15], s[2:3], |v[6:7]|
	v_mul_f64_e32 v[12:13], 0xbc91a62633145c00, v[14:15]
	v_cvt_i32_f64_e32 v26, v[14:15]
	v_fmamk_f64 v[20:21], v[14:15], 0xbc91a62633145c00, v[10:11]
	s_delay_alu instid0(VALU_DEP_3) | instskip(NEXT) | instid1(VALU_DEP_1)
	v_add_f64_e32 v[16:17], v[10:11], v[12:13]
	v_add_f64_e64 v[18:19], v[10:11], -v[16:17]
	s_delay_alu instid0(VALU_DEP_3) | instskip(NEXT) | instid1(VALU_DEP_2)
	v_add_f64_e64 v[10:11], v[16:17], -v[20:21]
	v_add_f64_e32 v[16:17], v[18:19], v[12:13]
	v_fmamk_f64 v[12:13], v[14:15], 0x3c91a62633145c00, v[12:13]
	s_delay_alu instid0(VALU_DEP_2) | instskip(NEXT) | instid1(VALU_DEP_1)
	v_add_f64_e32 v[10:11], v[10:11], v[16:17]
	v_add_f64_e64 v[10:11], v[10:11], -v[12:13]
	s_delay_alu instid0(VALU_DEP_1) | instskip(NEXT) | instid1(VALU_DEP_1)
	v_fmamk_f64 v[12:13], v[14:15], 0xb97b839a252049c0, v[10:11]
	v_add_f64_e32 v[10:11], v[20:21], v[12:13]
	s_delay_alu instid0(VALU_DEP_1) | instskip(NEXT) | instid1(VALU_DEP_1)
	v_add_f64_e64 v[16:17], v[10:11], -v[20:21]
	v_add_f64_e64 v[12:13], v[12:13], -v[16:17]
.LBB1_5:
	s_or_b32 exec_lo, exec_lo, s0
	v_cmp_ngt_f64_e64 s0, 0x41d00000, |v[8:9]|
                                        ; implicit-def: $vgpr27
                                        ; implicit-def: $vgpr14_vgpr15
                                        ; implicit-def: $vgpr16_vgpr17
	s_and_saveexec_b32 s1, s0
	s_delay_alu instid0(SALU_CYCLE_1)
	s_xor_b32 s0, exec_lo, s1
	s_cbranch_execz .LBB1_7
; %bb.6:
	v_ldexp_f64 v[14:15], |v[8:9]|, 0xffffff80
	v_cmp_le_f64_e64 vcc_lo, 0x7b000000, |v[8:9]|
	v_trig_preop_f64 v[16:17], |v[8:9]|, 0
	v_and_b32_e32 v18, 0x7fffffff, v9
	v_trig_preop_f64 v[30:31], |v[8:9]|, 2
	s_mov_b64 s[2:3], 0x3ff921fb54442d18
	s_delay_alu instid0(VALU_DEP_2) | instskip(SKIP_2) | instid1(VALU_DEP_2)
	v_dual_mov_b32 v38, 0 :: v_dual_cndmask_b32 v15, v18, v15
	v_cndmask_b32_e32 v14, v8, v14, vcc_lo
	v_trig_preop_f64 v[18:19], |v[8:9]|, 1
	v_mul_f64_e32 v[20:21], v[16:17], v[14:15]
	v_mul_f64_e32 v[36:37], v[30:31], v[14:15]
	s_delay_alu instid0(VALU_DEP_3) | instskip(NEXT) | instid1(VALU_DEP_3)
	v_mul_f64_e32 v[22:23], v[18:19], v[14:15]
	v_fma_f64 v[16:17], v[16:17], v[14:15], -v[20:21]
	s_delay_alu instid0(VALU_DEP_2) | instskip(NEXT) | instid1(VALU_DEP_4)
	v_fma_f64 v[18:19], v[18:19], v[14:15], -v[22:23]
	v_fma_f64 v[14:15], v[30:31], v[14:15], -v[36:37]
	s_delay_alu instid0(VALU_DEP_3) | instskip(NEXT) | instid1(VALU_DEP_1)
	v_add_f64_e32 v[24:25], v[22:23], v[16:17]
	v_add_f64_e64 v[28:29], v[24:25], -v[22:23]
	v_add_f64_e32 v[34:35], v[20:21], v[24:25]
	s_delay_alu instid0(VALU_DEP_2) | instskip(SKIP_1) | instid1(VALU_DEP_3)
	v_add_f64_e64 v[32:33], v[24:25], -v[28:29]
	v_add_f64_e64 v[16:17], v[16:17], -v[28:29]
	v_ldexp_f64 v[28:29], v[34:35], -2
	v_add_f64_e64 v[20:21], v[34:35], -v[20:21]
	s_delay_alu instid0(VALU_DEP_4) | instskip(SKIP_1) | instid1(VALU_DEP_4)
	v_add_f64_e64 v[22:23], v[22:23], -v[32:33]
	v_add_f64_e32 v[32:33], v[36:37], v[18:19]
	v_cmp_neq_f64_e64 vcc_lo, 0x7ff00000, |v[28:29]|
	s_delay_alu instid0(VALU_DEP_3) | instskip(SKIP_1) | instid1(VALU_DEP_1)
	v_add_f64_e32 v[16:17], v[16:17], v[22:23]
	v_fract_f64_e32 v[22:23], v[28:29]
	v_ldexp_f64 v[22:23], v[22:23], 2
	s_delay_alu instid0(VALU_DEP_1) | instskip(NEXT) | instid1(VALU_DEP_2)
	v_dual_add_f64 v[20:21], v[24:25], -v[20:21] :: v_dual_cndmask_b32 v23, 0, v23, vcc_lo
	v_dual_add_f64 v[24:25], v[32:33], v[16:17] :: v_dual_cndmask_b32 v22, 0, v22, vcc_lo
	s_delay_alu instid0(VALU_DEP_1) | instskip(SKIP_1) | instid1(VALU_DEP_2)
	v_add_f64_e32 v[28:29], v[20:21], v[24:25]
	v_add_f64_e64 v[40:41], v[24:25], -v[32:33]
	v_add_f64_e32 v[34:35], v[28:29], v[22:23]
	s_delay_alu instid0(VALU_DEP_2) | instskip(SKIP_2) | instid1(VALU_DEP_4)
	v_add_f64_e64 v[46:47], v[24:25], -v[40:41]
	v_add_f64_e64 v[16:17], v[16:17], -v[40:41]
	;; [unrolled: 1-line block ×3, first 2 shown]
	v_cmp_gt_f64_e32 vcc_lo, 0, v[34:35]
	v_add_f64_e64 v[34:35], v[32:33], -v[36:37]
	s_delay_alu instid0(VALU_DEP_3) | instskip(SKIP_1) | instid1(VALU_DEP_3)
	v_add_f64_e64 v[20:21], v[24:25], -v[20:21]
	v_cndmask_b32_e64 v39, 0, 0x40100000, vcc_lo
	v_add_f64_e64 v[44:45], v[32:33], -v[34:35]
	v_add_f64_e64 v[18:19], v[18:19], -v[34:35]
	;; [unrolled: 1-line block ×3, first 2 shown]
	s_delay_alu instid0(VALU_DEP_4) | instskip(NEXT) | instid1(VALU_DEP_4)
	v_add_f64_e32 v[22:23], v[22:23], v[38:39]
	v_add_f64_e64 v[34:35], v[36:37], -v[44:45]
	s_delay_alu instid0(VALU_DEP_3) | instskip(NEXT) | instid1(VALU_DEP_3)
	v_add_f64_e32 v[16:17], v[16:17], v[32:33]
	v_add_f64_e32 v[42:43], v[28:29], v[22:23]
	s_delay_alu instid0(VALU_DEP_3) | instskip(NEXT) | instid1(VALU_DEP_2)
	v_add_f64_e32 v[18:19], v[18:19], v[34:35]
	v_cvt_i32_f64_e32 v27, v[42:43]
	s_delay_alu instid0(VALU_DEP_2) | instskip(NEXT) | instid1(VALU_DEP_2)
	v_add_f64_e32 v[16:17], v[18:19], v[16:17]
	v_cvt_f64_i32_e32 v[40:41], v27
	s_delay_alu instid0(VALU_DEP_2) | instskip(NEXT) | instid1(VALU_DEP_2)
	v_add_f64_e32 v[14:15], v[14:15], v[16:17]
	v_add_f64_e64 v[22:23], v[22:23], -v[40:41]
	s_delay_alu instid0(VALU_DEP_2) | instskip(NEXT) | instid1(VALU_DEP_2)
	v_add_f64_e32 v[14:15], v[20:21], v[14:15]
	v_add_f64_e32 v[18:19], v[28:29], v[22:23]
	s_delay_alu instid0(VALU_DEP_1) | instskip(SKIP_1) | instid1(VALU_DEP_2)
	v_add_f64_e64 v[16:17], v[18:19], -v[22:23]
	v_cmp_le_f64_e32 vcc_lo, 0.5, v[18:19]
	v_add_f64_e64 v[16:17], v[28:29], -v[16:17]
	v_cndmask_b32_e64 v39, 0, 0x3ff00000, vcc_lo
	v_add_co_ci_u32_e64 v27, null, 0, v27, vcc_lo
	s_delay_alu instid0(VALU_DEP_3) | instskip(NEXT) | instid1(VALU_DEP_3)
	v_add_f64_e32 v[14:15], v[14:15], v[16:17]
	v_add_f64_e64 v[16:17], v[18:19], -v[38:39]
	s_delay_alu instid0(VALU_DEP_1) | instskip(NEXT) | instid1(VALU_DEP_1)
	v_add_f64_e32 v[18:19], v[16:17], v[14:15]
	v_mul_f64_e32 v[20:21], 0x3ff921fb54442d18, v[18:19]
	v_add_f64_e64 v[16:17], v[18:19], -v[16:17]
	s_delay_alu instid0(VALU_DEP_2) | instskip(NEXT) | instid1(VALU_DEP_2)
	v_fma_f64 v[22:23], v[18:19], s[2:3], -v[20:21]
	v_add_f64_e64 v[14:15], v[14:15], -v[16:17]
	s_delay_alu instid0(VALU_DEP_2) | instskip(NEXT) | instid1(VALU_DEP_1)
	v_fmamk_f64 v[16:17], v[18:19], 0x3c91a62633145c07, v[22:23]
	v_fmac_f64_e32 v[16:17], 0x3ff921fb54442d18, v[14:15]
	s_delay_alu instid0(VALU_DEP_1) | instskip(NEXT) | instid1(VALU_DEP_1)
	v_add_f64_e32 v[14:15], v[20:21], v[16:17]
	v_add_f64_e64 v[18:19], v[14:15], -v[20:21]
	s_delay_alu instid0(VALU_DEP_1)
	v_add_f64_e64 v[16:17], v[16:17], -v[18:19]
.LBB1_7:
	s_and_not1_saveexec_b32 s0, s0
	s_cbranch_execz .LBB1_9
; %bb.8:
	s_mov_b64 s[2:3], 0x3fe45f306dc9c883
	s_delay_alu instid0(SALU_CYCLE_1) | instskip(SKIP_1) | instid1(VALU_DEP_1)
	v_mul_f64_e64 v[14:15], |v[8:9]|, s[2:3]
	s_mov_b64 s[2:3], 0xbff921fb54442d18
	v_rndne_f64_e32 v[18:19], v[14:15]
	s_delay_alu instid0(VALU_DEP_1) | instskip(SKIP_2) | instid1(VALU_DEP_3)
	v_fma_f64 v[14:15], v[18:19], s[2:3], |v[8:9]|
	v_mul_f64_e32 v[16:17], 0xbc91a62633145c00, v[18:19]
	v_cvt_i32_f64_e32 v27, v[18:19]
	v_fmamk_f64 v[24:25], v[18:19], 0xbc91a62633145c00, v[14:15]
	s_delay_alu instid0(VALU_DEP_3) | instskip(NEXT) | instid1(VALU_DEP_1)
	v_add_f64_e32 v[20:21], v[14:15], v[16:17]
	v_add_f64_e64 v[22:23], v[14:15], -v[20:21]
	s_delay_alu instid0(VALU_DEP_3) | instskip(NEXT) | instid1(VALU_DEP_2)
	v_add_f64_e64 v[14:15], v[20:21], -v[24:25]
	v_add_f64_e32 v[20:21], v[22:23], v[16:17]
	v_fmamk_f64 v[16:17], v[18:19], 0x3c91a62633145c00, v[16:17]
	s_delay_alu instid0(VALU_DEP_2) | instskip(NEXT) | instid1(VALU_DEP_1)
	v_add_f64_e32 v[14:15], v[14:15], v[20:21]
	v_add_f64_e64 v[14:15], v[14:15], -v[16:17]
	s_delay_alu instid0(VALU_DEP_1) | instskip(NEXT) | instid1(VALU_DEP_1)
	v_fmamk_f64 v[16:17], v[18:19], 0xb97b839a252049c0, v[14:15]
	v_add_f64_e32 v[14:15], v[24:25], v[16:17]
	s_delay_alu instid0(VALU_DEP_1) | instskip(NEXT) | instid1(VALU_DEP_1)
	v_add_f64_e64 v[20:21], v[14:15], -v[24:25]
	v_add_f64_e64 v[16:17], v[16:17], -v[20:21]
.LBB1_9:
	s_or_b32 exec_lo, exec_lo, s0
	s_wait_loadcnt 0x0
	v_cmp_ngt_f64_e64 s0, 0x41d00000, |v[2:3]|
                                        ; implicit-def: $vgpr28
                                        ; implicit-def: $vgpr18_vgpr19
                                        ; implicit-def: $vgpr20_vgpr21
	s_and_saveexec_b32 s1, s0
	s_delay_alu instid0(SALU_CYCLE_1)
	s_xor_b32 s0, exec_lo, s1
	s_cbranch_execz .LBB1_11
; %bb.10:
	v_ldexp_f64 v[18:19], |v[2:3]|, 0xffffff80
	v_cmp_le_f64_e64 vcc_lo, 0x7b000000, |v[2:3]|
	v_trig_preop_f64 v[20:21], |v[2:3]|, 0
	v_and_b32_e32 v22, 0x7fffffff, v3
	v_trig_preop_f64 v[34:35], |v[2:3]|, 2
	s_mov_b64 s[2:3], 0x3ff921fb54442d18
	s_delay_alu instid0(VALU_DEP_2) | instskip(SKIP_2) | instid1(VALU_DEP_2)
	v_dual_mov_b32 v42, 0 :: v_dual_cndmask_b32 v19, v22, v19
	v_cndmask_b32_e32 v18, v2, v18, vcc_lo
	v_trig_preop_f64 v[22:23], |v[2:3]|, 1
	v_mul_f64_e32 v[24:25], v[20:21], v[18:19]
	s_delay_alu instid0(VALU_DEP_2) | instskip(NEXT) | instid1(VALU_DEP_2)
	v_mul_f64_e32 v[28:29], v[22:23], v[18:19]
	v_fma_f64 v[20:21], v[20:21], v[18:19], -v[24:25]
	s_delay_alu instid0(VALU_DEP_1) | instskip(NEXT) | instid1(VALU_DEP_1)
	v_add_f64_e32 v[30:31], v[28:29], v[20:21]
	v_add_f64_e64 v[32:33], v[30:31], -v[28:29]
	v_add_f64_e32 v[38:39], v[24:25], v[30:31]
	s_delay_alu instid0(VALU_DEP_2) | instskip(SKIP_2) | instid1(VALU_DEP_4)
	v_add_f64_e64 v[36:37], v[30:31], -v[32:33]
	v_add_f64_e64 v[20:21], v[20:21], -v[32:33]
	v_fma_f64 v[22:23], v[22:23], v[18:19], -v[28:29]
	v_ldexp_f64 v[32:33], v[38:39], -2
	v_mul_f64_e32 v[40:41], v[34:35], v[18:19]
	v_add_f64_e64 v[28:29], v[28:29], -v[36:37]
	s_delay_alu instid0(VALU_DEP_3) | instskip(NEXT) | instid1(VALU_DEP_3)
	v_cmp_neq_f64_e64 vcc_lo, 0x7ff00000, |v[32:33]|
	v_add_f64_e32 v[36:37], v[40:41], v[22:23]
	v_fma_f64 v[18:19], v[34:35], v[18:19], -v[40:41]
	s_delay_alu instid0(VALU_DEP_4) | instskip(SKIP_1) | instid1(VALU_DEP_1)
	v_add_f64_e32 v[20:21], v[20:21], v[28:29]
	v_fract_f64_e32 v[28:29], v[32:33]
	v_ldexp_f64 v[28:29], v[28:29], 2
	s_delay_alu instid0(VALU_DEP_1) | instskip(SKIP_1) | instid1(VALU_DEP_3)
	v_cndmask_b32_e32 v29, 0, v29, vcc_lo
	v_add_f64_e64 v[24:25], v[38:39], -v[24:25]
	v_cndmask_b32_e32 v28, 0, v28, vcc_lo
	s_delay_alu instid0(VALU_DEP_2) | instskip(SKIP_1) | instid1(VALU_DEP_1)
	v_add_f64_e64 v[24:25], v[30:31], -v[24:25]
	v_add_f64_e32 v[30:31], v[36:37], v[20:21]
	v_add_f64_e32 v[32:33], v[24:25], v[30:31]
	v_add_f64_e64 v[44:45], v[30:31], -v[36:37]
	s_delay_alu instid0(VALU_DEP_2) | instskip(NEXT) | instid1(VALU_DEP_2)
	v_add_f64_e32 v[38:39], v[32:33], v[28:29]
	v_add_f64_e64 v[50:51], v[30:31], -v[44:45]
	v_add_f64_e64 v[20:21], v[20:21], -v[44:45]
	;; [unrolled: 1-line block ×3, first 2 shown]
	s_delay_alu instid0(VALU_DEP_4) | instskip(SKIP_1) | instid1(VALU_DEP_3)
	v_cmp_gt_f64_e32 vcc_lo, 0, v[38:39]
	v_add_f64_e64 v[38:39], v[36:37], -v[40:41]
	v_add_f64_e64 v[24:25], v[30:31], -v[24:25]
	v_cndmask_b32_e64 v43, 0, 0x40100000, vcc_lo
	s_delay_alu instid0(VALU_DEP_3) | instskip(SKIP_2) | instid1(VALU_DEP_4)
	v_add_f64_e64 v[48:49], v[36:37], -v[38:39]
	v_add_f64_e64 v[22:23], v[22:23], -v[38:39]
	;; [unrolled: 1-line block ×3, first 2 shown]
	v_add_f64_e32 v[28:29], v[28:29], v[42:43]
	s_delay_alu instid0(VALU_DEP_4) | instskip(NEXT) | instid1(VALU_DEP_3)
	v_add_f64_e64 v[38:39], v[40:41], -v[48:49]
	v_add_f64_e32 v[20:21], v[20:21], v[36:37]
	s_delay_alu instid0(VALU_DEP_3) | instskip(NEXT) | instid1(VALU_DEP_3)
	v_add_f64_e32 v[46:47], v[32:33], v[28:29]
	v_add_f64_e32 v[22:23], v[22:23], v[38:39]
	s_delay_alu instid0(VALU_DEP_2) | instskip(NEXT) | instid1(VALU_DEP_2)
	v_cvt_i32_f64_e32 v43, v[46:47]
	v_add_f64_e32 v[20:21], v[22:23], v[20:21]
	s_delay_alu instid0(VALU_DEP_2) | instskip(NEXT) | instid1(VALU_DEP_2)
	v_cvt_f64_i32_e32 v[44:45], v43
	v_add_f64_e32 v[18:19], v[18:19], v[20:21]
	s_delay_alu instid0(VALU_DEP_2) | instskip(NEXT) | instid1(VALU_DEP_2)
	v_add_f64_e64 v[28:29], v[28:29], -v[44:45]
	v_add_f64_e32 v[18:19], v[24:25], v[18:19]
	s_delay_alu instid0(VALU_DEP_2) | instskip(NEXT) | instid1(VALU_DEP_1)
	v_add_f64_e32 v[22:23], v[32:33], v[28:29]
	v_add_f64_e64 v[20:21], v[22:23], -v[28:29]
	v_cmp_le_f64_e32 vcc_lo, 0.5, v[22:23]
	s_delay_alu instid0(VALU_DEP_2) | instskip(SKIP_2) | instid1(VALU_DEP_3)
	v_add_f64_e64 v[20:21], v[32:33], -v[20:21]
	v_add_co_ci_u32_e64 v28, null, 0, v43, vcc_lo
	v_cndmask_b32_e64 v43, 0, 0x3ff00000, vcc_lo
	v_add_f64_e32 v[18:19], v[18:19], v[20:21]
	s_delay_alu instid0(VALU_DEP_2) | instskip(NEXT) | instid1(VALU_DEP_1)
	v_add_f64_e64 v[20:21], v[22:23], -v[42:43]
	v_add_f64_e32 v[22:23], v[20:21], v[18:19]
	s_delay_alu instid0(VALU_DEP_1) | instskip(SKIP_1) | instid1(VALU_DEP_2)
	v_mul_f64_e32 v[24:25], 0x3ff921fb54442d18, v[22:23]
	v_add_f64_e64 v[20:21], v[22:23], -v[20:21]
	v_fma_f64 v[30:31], v[22:23], s[2:3], -v[24:25]
	s_delay_alu instid0(VALU_DEP_2) | instskip(NEXT) | instid1(VALU_DEP_2)
	v_add_f64_e64 v[18:19], v[18:19], -v[20:21]
	v_fmamk_f64 v[20:21], v[22:23], 0x3c91a62633145c07, v[30:31]
	s_delay_alu instid0(VALU_DEP_1) | instskip(NEXT) | instid1(VALU_DEP_1)
	v_fmac_f64_e32 v[20:21], 0x3ff921fb54442d18, v[18:19]
	v_add_f64_e32 v[18:19], v[24:25], v[20:21]
	s_delay_alu instid0(VALU_DEP_1) | instskip(NEXT) | instid1(VALU_DEP_1)
	v_add_f64_e64 v[22:23], v[18:19], -v[24:25]
	v_add_f64_e64 v[20:21], v[20:21], -v[22:23]
.LBB1_11:
	s_and_not1_saveexec_b32 s0, s0
	s_cbranch_execz .LBB1_13
; %bb.12:
	s_mov_b64 s[2:3], 0x3fe45f306dc9c883
	s_delay_alu instid0(SALU_CYCLE_1) | instskip(SKIP_1) | instid1(VALU_DEP_1)
	v_mul_f64_e64 v[18:19], |v[2:3]|, s[2:3]
	s_mov_b64 s[2:3], 0xbff921fb54442d18
	v_rndne_f64_e32 v[22:23], v[18:19]
	s_delay_alu instid0(VALU_DEP_1) | instskip(SKIP_1) | instid1(VALU_DEP_2)
	v_fma_f64 v[18:19], v[22:23], s[2:3], |v[2:3]|
	v_mul_f64_e32 v[20:21], 0xbc91a62633145c00, v[22:23]
	v_fmamk_f64 v[30:31], v[22:23], 0xbc91a62633145c00, v[18:19]
	s_delay_alu instid0(VALU_DEP_2) | instskip(NEXT) | instid1(VALU_DEP_1)
	v_add_f64_e32 v[24:25], v[18:19], v[20:21]
	v_add_f64_e64 v[28:29], v[18:19], -v[24:25]
	s_delay_alu instid0(VALU_DEP_3) | instskip(NEXT) | instid1(VALU_DEP_2)
	v_add_f64_e64 v[18:19], v[24:25], -v[30:31]
	v_add_f64_e32 v[24:25], v[28:29], v[20:21]
	v_fmamk_f64 v[20:21], v[22:23], 0x3c91a62633145c00, v[20:21]
	v_cvt_i32_f64_e32 v28, v[22:23]
	s_delay_alu instid0(VALU_DEP_3) | instskip(NEXT) | instid1(VALU_DEP_1)
	v_add_f64_e32 v[18:19], v[18:19], v[24:25]
	v_add_f64_e64 v[18:19], v[18:19], -v[20:21]
	s_delay_alu instid0(VALU_DEP_1) | instskip(NEXT) | instid1(VALU_DEP_1)
	v_fmamk_f64 v[20:21], v[22:23], 0xb97b839a252049c0, v[18:19]
	v_add_f64_e32 v[18:19], v[30:31], v[20:21]
	s_delay_alu instid0(VALU_DEP_1) | instskip(NEXT) | instid1(VALU_DEP_1)
	v_add_f64_e64 v[24:25], v[18:19], -v[30:31]
	v_add_f64_e64 v[20:21], v[20:21], -v[24:25]
.LBB1_13:
	s_or_b32 exec_lo, exec_lo, s0
	v_cmp_ngt_f64_e64 s0, 0x41d00000, |v[4:5]|
                                        ; implicit-def: $vgpr29
                                        ; implicit-def: $vgpr22_vgpr23
                                        ; implicit-def: $vgpr24_vgpr25
	s_and_saveexec_b32 s1, s0
	s_delay_alu instid0(SALU_CYCLE_1)
	s_xor_b32 s0, exec_lo, s1
	s_cbranch_execz .LBB1_15
; %bb.14:
	v_ldexp_f64 v[22:23], |v[4:5]|, 0xffffff80
	v_cmp_le_f64_e64 vcc_lo, 0x7b000000, |v[4:5]|
	v_trig_preop_f64 v[24:25], |v[4:5]|, 0
	v_and_b32_e32 v29, 0x7fffffff, v5
	v_trig_preop_f64 v[30:31], |v[4:5]|, 1
	v_trig_preop_f64 v[40:41], |v[4:5]|, 2
	s_mov_b64 s[2:3], 0x3ff921fb54442d18
	s_delay_alu instid0(VALU_DEP_3) | instskip(SKIP_1) | instid1(VALU_DEP_1)
	v_dual_mov_b32 v48, 0 :: v_dual_cndmask_b32 v23, v29, v23
	v_cndmask_b32_e32 v22, v4, v22, vcc_lo
	v_mul_f64_e32 v[32:33], v[24:25], v[22:23]
	v_mul_f64_e32 v[34:35], v[30:31], v[22:23]
	;; [unrolled: 1-line block ×3, first 2 shown]
	s_delay_alu instid0(VALU_DEP_3) | instskip(NEXT) | instid1(VALU_DEP_3)
	v_fma_f64 v[24:25], v[24:25], v[22:23], -v[32:33]
	v_fma_f64 v[30:31], v[30:31], v[22:23], -v[34:35]
	s_delay_alu instid0(VALU_DEP_3) | instskip(NEXT) | instid1(VALU_DEP_3)
	v_fma_f64 v[22:23], v[40:41], v[22:23], -v[46:47]
	v_add_f64_e32 v[36:37], v[34:35], v[24:25]
	s_delay_alu instid0(VALU_DEP_1) | instskip(SKIP_1) | instid1(VALU_DEP_2)
	v_add_f64_e64 v[38:39], v[36:37], -v[34:35]
	v_add_f64_e32 v[44:45], v[32:33], v[36:37]
	v_add_f64_e64 v[42:43], v[36:37], -v[38:39]
	v_add_f64_e64 v[24:25], v[24:25], -v[38:39]
	s_delay_alu instid0(VALU_DEP_3) | instskip(NEXT) | instid1(VALU_DEP_3)
	v_ldexp_f64 v[38:39], v[44:45], -2
	v_add_f64_e64 v[34:35], v[34:35], -v[42:43]
	v_add_f64_e32 v[42:43], v[46:47], v[30:31]
	s_delay_alu instid0(VALU_DEP_3) | instskip(NEXT) | instid1(VALU_DEP_3)
	v_cmp_neq_f64_e64 vcc_lo, 0x7ff00000, |v[38:39]|
	v_add_f64_e32 v[24:25], v[24:25], v[34:35]
	v_fract_f64_e32 v[34:35], v[38:39]
	s_delay_alu instid0(VALU_DEP_1) | instskip(NEXT) | instid1(VALU_DEP_1)
	v_ldexp_f64 v[34:35], v[34:35], 2
	v_dual_add_f64 v[32:33], v[44:45], -v[32:33] :: v_dual_cndmask_b32 v34, 0, v34, vcc_lo
	s_delay_alu instid0(VALU_DEP_1) | instskip(SKIP_1) | instid1(VALU_DEP_1)
	v_dual_add_f64 v[32:33], v[36:37], -v[32:33] :: v_dual_cndmask_b32 v35, 0, v35, vcc_lo
	v_add_f64_e32 v[36:37], v[42:43], v[24:25]
	v_add_f64_e32 v[38:39], v[32:33], v[36:37]
	v_add_f64_e64 v[50:51], v[36:37], -v[42:43]
	s_delay_alu instid0(VALU_DEP_2) | instskip(NEXT) | instid1(VALU_DEP_2)
	v_add_f64_e32 v[44:45], v[38:39], v[34:35]
	v_add_f64_e64 v[56:57], v[36:37], -v[50:51]
	v_add_f64_e64 v[24:25], v[24:25], -v[50:51]
	v_add_f64_e64 v[32:33], v[38:39], -v[32:33]
	s_delay_alu instid0(VALU_DEP_4) | instskip(SKIP_1) | instid1(VALU_DEP_3)
	v_cmp_gt_f64_e32 vcc_lo, 0, v[44:45]
	v_add_f64_e64 v[44:45], v[42:43], -v[46:47]
	v_add_f64_e64 v[32:33], v[36:37], -v[32:33]
	v_cndmask_b32_e64 v49, 0, 0x40100000, vcc_lo
	s_delay_alu instid0(VALU_DEP_3) | instskip(SKIP_2) | instid1(VALU_DEP_4)
	v_add_f64_e64 v[54:55], v[42:43], -v[44:45]
	v_add_f64_e64 v[30:31], v[30:31], -v[44:45]
	;; [unrolled: 1-line block ×3, first 2 shown]
	v_add_f64_e32 v[34:35], v[34:35], v[48:49]
	s_delay_alu instid0(VALU_DEP_4) | instskip(NEXT) | instid1(VALU_DEP_3)
	v_add_f64_e64 v[44:45], v[46:47], -v[54:55]
	v_add_f64_e32 v[24:25], v[24:25], v[42:43]
	s_delay_alu instid0(VALU_DEP_3) | instskip(NEXT) | instid1(VALU_DEP_3)
	v_add_f64_e32 v[52:53], v[38:39], v[34:35]
	v_add_f64_e32 v[30:31], v[30:31], v[44:45]
	s_delay_alu instid0(VALU_DEP_2) | instskip(NEXT) | instid1(VALU_DEP_2)
	v_cvt_i32_f64_e32 v29, v[52:53]
	v_add_f64_e32 v[24:25], v[30:31], v[24:25]
	s_delay_alu instid0(VALU_DEP_2) | instskip(NEXT) | instid1(VALU_DEP_2)
	v_cvt_f64_i32_e32 v[50:51], v29
	v_add_f64_e32 v[22:23], v[22:23], v[24:25]
	s_delay_alu instid0(VALU_DEP_2) | instskip(NEXT) | instid1(VALU_DEP_2)
	v_add_f64_e64 v[34:35], v[34:35], -v[50:51]
	v_add_f64_e32 v[22:23], v[32:33], v[22:23]
	s_delay_alu instid0(VALU_DEP_2) | instskip(NEXT) | instid1(VALU_DEP_1)
	v_add_f64_e32 v[30:31], v[38:39], v[34:35]
	v_add_f64_e64 v[24:25], v[30:31], -v[34:35]
	v_cmp_le_f64_e32 vcc_lo, 0.5, v[30:31]
	s_delay_alu instid0(VALU_DEP_2) | instskip(SKIP_2) | instid1(VALU_DEP_3)
	v_add_f64_e64 v[24:25], v[38:39], -v[24:25]
	v_cndmask_b32_e64 v49, 0, 0x3ff00000, vcc_lo
	v_add_co_ci_u32_e64 v29, null, 0, v29, vcc_lo
	v_add_f64_e32 v[22:23], v[22:23], v[24:25]
	s_delay_alu instid0(VALU_DEP_3) | instskip(NEXT) | instid1(VALU_DEP_1)
	v_add_f64_e64 v[24:25], v[30:31], -v[48:49]
	v_add_f64_e32 v[30:31], v[24:25], v[22:23]
	s_delay_alu instid0(VALU_DEP_1) | instskip(SKIP_1) | instid1(VALU_DEP_2)
	v_mul_f64_e32 v[32:33], 0x3ff921fb54442d18, v[30:31]
	v_add_f64_e64 v[24:25], v[30:31], -v[24:25]
	v_fma_f64 v[34:35], v[30:31], s[2:3], -v[32:33]
	s_delay_alu instid0(VALU_DEP_2) | instskip(NEXT) | instid1(VALU_DEP_2)
	v_add_f64_e64 v[22:23], v[22:23], -v[24:25]
	v_fmamk_f64 v[24:25], v[30:31], 0x3c91a62633145c07, v[34:35]
	s_delay_alu instid0(VALU_DEP_1) | instskip(NEXT) | instid1(VALU_DEP_1)
	v_fmac_f64_e32 v[24:25], 0x3ff921fb54442d18, v[22:23]
	v_add_f64_e32 v[22:23], v[32:33], v[24:25]
	s_delay_alu instid0(VALU_DEP_1) | instskip(NEXT) | instid1(VALU_DEP_1)
	v_add_f64_e64 v[30:31], v[22:23], -v[32:33]
	v_add_f64_e64 v[24:25], v[24:25], -v[30:31]
.LBB1_15:
	s_and_not1_saveexec_b32 s0, s0
	s_cbranch_execz .LBB1_17
; %bb.16:
	s_mov_b64 s[2:3], 0x3fe45f306dc9c883
	s_delay_alu instid0(SALU_CYCLE_1) | instskip(SKIP_1) | instid1(VALU_DEP_1)
	v_mul_f64_e64 v[22:23], |v[4:5]|, s[2:3]
	s_mov_b64 s[2:3], 0xbff921fb54442d18
	v_rndne_f64_e32 v[30:31], v[22:23]
	s_delay_alu instid0(VALU_DEP_1) | instskip(SKIP_2) | instid1(VALU_DEP_3)
	v_fma_f64 v[22:23], v[30:31], s[2:3], |v[4:5]|
	v_mul_f64_e32 v[24:25], 0xbc91a62633145c00, v[30:31]
	v_cvt_i32_f64_e32 v29, v[30:31]
	v_fmamk_f64 v[36:37], v[30:31], 0xbc91a62633145c00, v[22:23]
	s_delay_alu instid0(VALU_DEP_3) | instskip(NEXT) | instid1(VALU_DEP_1)
	v_add_f64_e32 v[32:33], v[22:23], v[24:25]
	v_add_f64_e64 v[34:35], v[22:23], -v[32:33]
	s_delay_alu instid0(VALU_DEP_3) | instskip(NEXT) | instid1(VALU_DEP_2)
	v_add_f64_e64 v[22:23], v[32:33], -v[36:37]
	v_add_f64_e32 v[32:33], v[34:35], v[24:25]
	v_fmamk_f64 v[24:25], v[30:31], 0x3c91a62633145c00, v[24:25]
	s_delay_alu instid0(VALU_DEP_2) | instskip(NEXT) | instid1(VALU_DEP_1)
	v_add_f64_e32 v[22:23], v[22:23], v[32:33]
	v_add_f64_e64 v[22:23], v[22:23], -v[24:25]
	s_delay_alu instid0(VALU_DEP_1) | instskip(NEXT) | instid1(VALU_DEP_1)
	v_fmamk_f64 v[24:25], v[30:31], 0xb97b839a252049c0, v[22:23]
	v_add_f64_e32 v[22:23], v[36:37], v[24:25]
	s_delay_alu instid0(VALU_DEP_1) | instskip(NEXT) | instid1(VALU_DEP_1)
	v_add_f64_e64 v[32:33], v[22:23], -v[36:37]
	v_add_f64_e64 v[24:25], v[24:25], -v[32:33]
.LBB1_17:
	s_or_b32 exec_lo, exec_lo, s0
	v_mul_f64_e32 v[32:33], v[14:15], v[14:15]
	v_mul_f64_e32 v[30:31], v[18:19], v[18:19]
	v_cmp_class_f64_e64 s0, v[2:3], 0x1f8
	v_lshlrev_b32_e32 v2, 30, v28
	v_mov_b64_e32 v[44:45], 0xbe5ae600b42fdfa7
	v_mul_f64_e32 v[46:47], 0.5, v[20:21]
	v_cmp_class_f64_e64 s6, v[4:5], 0x1f8
	v_cmp_class_f64_e64 s2, v[8:9], 0x1f8
	v_mov_b64_e32 v[56:57], 0x3e21eeb69037ab78
	v_cmp_class_f64_e64 s4, v[6:7], 0x1f8
	v_dual_lshlrev_b32 v8, 30, v29 :: v_dual_lshlrev_b32 v4, 30, v27
	v_dual_lshlrev_b32 v6, 30, v26 :: v_dual_bitop2_b32 v2, v2, v3 bitop3:0x14
	s_delay_alu instid0(VALU_DEP_2) | instskip(NEXT) | instid1(VALU_DEP_3)
	v_xor_b32_e32 v5, v8, v5
	v_xor_b32_e32 v4, v4, v9
	s_delay_alu instid0(VALU_DEP_3)
	v_dual_mul_f64 v[36:37], 0.5, v[32:33] :: v_dual_bitop2_b32 v6, v6, v7 bitop3:0x14
	v_mul_f64_e32 v[34:35], 0.5, v[30:31]
	v_mul_f64_e64 v[48:49], v[18:19], -v[30:31]
	v_fmamk_f64 v[50:51], v[30:31], 0x3de5e0b2f9a43bb8, v[44:45]
	v_fmamk_f64 v[58:59], v[30:31], 0xbda907db46cc5e42, v[56:57]
	v_mul_f64_e64 v[54:55], v[14:15], -v[32:33]
	s_delay_alu instid0(VALU_DEP_3) | instskip(NEXT) | instid1(VALU_DEP_3)
	v_fmaak_f64 v[50:51], v[30:31], v[50:51], 0x3ec71de3796cde01
	v_fmaak_f64 v[58:59], v[30:31], v[58:59], 0xbe927e4fa17f65f6
	s_delay_alu instid0(VALU_DEP_2) | instskip(NEXT) | instid1(VALU_DEP_2)
	v_fmaak_f64 v[50:51], v[30:31], v[50:51], 0xbf2a01a019e83e5c
	v_fmaak_f64 v[58:59], v[30:31], v[58:59], 0x3efa01a019f4ec90
	s_delay_alu instid0(VALU_DEP_1) | instskip(SKIP_2) | instid1(VALU_DEP_2)
	v_fmaak_f64 v[58:59], v[30:31], v[58:59], 0xbf56c16c16c16967
	v_add_f64_e64 v[40:41], -v[36:37], 1.0
	v_add_f64_e64 v[38:39], -v[34:35], 1.0
	;; [unrolled: 1-line block ×3, first 2 shown]
	s_delay_alu instid0(VALU_DEP_2) | instskip(NEXT) | instid1(VALU_DEP_2)
	v_add_f64_e64 v[42:43], -v[38:39], 1.0
	v_add_f64_e64 v[36:37], v[52:53], -v[36:37]
	s_delay_alu instid0(VALU_DEP_2) | instskip(SKIP_2) | instid1(VALU_DEP_2)
	v_add_f64_e64 v[34:35], v[42:43], -v[34:35]
	v_fmaak_f64 v[42:43], v[30:31], v[50:51], 0x3f81111111110bb3
	v_mul_f64_e32 v[52:53], v[30:31], v[30:31]
	v_fmac_f64_e32 v[46:47], v[48:49], v[42:43]
	v_fmamk_f64 v[42:43], v[32:33], 0x3de5e0b2f9a43bb8, v[44:45]
	s_delay_alu instid0(VALU_DEP_1) | instskip(NEXT) | instid1(VALU_DEP_1)
	v_fmaak_f64 v[42:43], v[32:33], v[42:43], 0x3ec71de3796cde01
	v_fmaak_f64 v[42:43], v[32:33], v[42:43], 0xbf2a01a019e83e5c
	s_delay_alu instid0(VALU_DEP_1)
	v_fmaak_f64 v[42:43], v[32:33], v[42:43], 0x3f81111111110bb3
	v_fma_f64 v[36:37], v[14:15], -v[16:17], v[36:37]
	v_fma_f64 v[34:35], v[18:19], -v[20:21], v[34:35]
	v_fma_f64 v[20:21], v[30:31], v[46:47], -v[20:21]
	v_fmaak_f64 v[30:31], v[30:31], v[58:59], 0x3fa5555555555555
	v_mul_f64_e32 v[46:47], v[22:23], v[22:23]
	v_fmamk_f64 v[58:59], v[32:33], 0xbda907db46cc5e42, v[56:57]
	s_delay_alu instid0(VALU_DEP_3) | instskip(SKIP_1) | instid1(VALU_DEP_3)
	v_fmac_f64_e32 v[34:35], v[52:53], v[30:31]
	v_mul_f64_e32 v[30:31], v[32:33], v[32:33]
	v_fmaak_f64 v[52:53], v[32:33], v[58:59], 0xbe927e4fa17f65f6
	v_fmac_f64_e32 v[20:21], 0xbfc5555555555555, v[48:49]
	s_delay_alu instid0(VALU_DEP_2) | instskip(SKIP_1) | instid1(VALU_DEP_2)
	v_fmaak_f64 v[52:53], v[32:33], v[52:53], 0x3efa01a019f4ec90
	v_mul_f64_e64 v[66:67], v[22:23], -v[46:47]
	v_fmaak_f64 v[52:53], v[32:33], v[52:53], 0xbf56c16c16c16967
	s_delay_alu instid0(VALU_DEP_4) | instskip(SKIP_2) | instid1(VALU_DEP_1)
	v_add_f64_e64 v[18:19], v[18:19], -v[20:21]
	v_add_f64_e32 v[20:21], v[38:39], v[34:35]
	v_mul_f64_e32 v[50:51], 0.5, v[16:17]
	v_fmac_f64_e32 v[50:51], v[54:55], v[42:43]
	v_mul_f64_e32 v[42:43], v[10:11], v[10:11]
	s_delay_alu instid0(VALU_DEP_2) | instskip(NEXT) | instid1(VALU_DEP_2)
	v_fma_f64 v[16:17], v[32:33], v[50:51], -v[16:17]
	v_fmamk_f64 v[58:59], v[42:43], 0xbda907db46cc5e42, v[56:57]
	v_fmac_f64_e32 v[56:57], 0xbda907db46cc5e42, v[46:47]
	v_fmamk_f64 v[50:51], v[42:43], 0x3de5e0b2f9a43bb8, v[44:45]
	v_fmac_f64_e32 v[44:45], 0x3de5e0b2f9a43bb8, v[46:47]
	v_fmaak_f64 v[32:33], v[32:33], v[52:53], 0x3fa5555555555555
	v_mul_f64_e32 v[52:53], 0.5, v[12:13]
	s_delay_alu instid0(VALU_DEP_4) | instskip(NEXT) | instid1(VALU_DEP_3)
	v_fmaak_f64 v[50:51], v[42:43], v[50:51], 0x3ec71de3796cde01
	v_fmac_f64_e32 v[36:37], v[30:31], v[32:33]
	v_mul_f64_e64 v[30:31], v[10:11], -v[42:43]
	v_mov_b64_e32 v[32:33], 0xbe927e4fa17f65f6
	s_delay_alu instid0(VALU_DEP_4) | instskip(NEXT) | instid1(VALU_DEP_1)
	v_fmaak_f64 v[50:51], v[42:43], v[50:51], 0xbf2a01a019e83e5c
	v_fmaak_f64 v[50:51], v[42:43], v[50:51], 0x3f81111111110bb3
	v_fmac_f64_e32 v[16:17], 0xbfc5555555555555, v[54:55]
	s_delay_alu instid0(VALU_DEP_4) | instskip(SKIP_1) | instid1(VALU_DEP_1)
	v_fmac_f64_e32 v[32:33], v[46:47], v[56:57]
	v_mov_b64_e32 v[56:57], 0x3ec71de3796cde01
	v_fmac_f64_e32 v[56:57], v[46:47], v[44:45]
	v_mul_f64_e32 v[44:45], 0.5, v[42:43]
	v_fmac_f64_e32 v[52:53], v[30:31], v[50:51]
	v_mov_b64_e32 v[50:51], 0x3efa01a019f4ec90
	v_add_f64_e64 v[14:15], v[14:15], -v[16:17]
	s_delay_alu instid0(VALU_DEP_2) | instskip(SKIP_1) | instid1(VALU_DEP_1)
	v_fmac_f64_e32 v[50:51], v[46:47], v[32:33]
	v_mov_b64_e32 v[32:33], 0xbf2a01a019e83e5c
	v_fmac_f64_e32 v[32:33], v[46:47], v[56:57]
	v_add_f64_e64 v[56:57], -v[44:45], 1.0
	s_delay_alu instid0(VALU_DEP_1) | instskip(NEXT) | instid1(VALU_DEP_1)
	v_add_f64_e64 v[60:61], -v[56:57], 1.0
	v_add_f64_e64 v[44:45], v[60:61], -v[44:45]
	v_mul_f64_e32 v[60:61], 0.5, v[46:47]
	s_delay_alu instid0(VALU_DEP_1) | instskip(NEXT) | instid1(VALU_DEP_1)
	v_add_f64_e64 v[62:63], -v[60:61], 1.0
	v_add_f64_e64 v[64:65], -v[62:63], 1.0
	s_delay_alu instid0(VALU_DEP_1) | instskip(SKIP_1) | instid1(VALU_DEP_1)
	v_add_f64_e64 v[60:61], v[64:65], -v[60:61]
	v_mov_b64_e32 v[64:65], 0xbf56c16c16c16967
	v_fmac_f64_e32 v[64:65], v[46:47], v[50:51]
	v_mov_b64_e32 v[50:51], 0x3f81111111110bb3
	s_delay_alu instid0(VALU_DEP_1) | instskip(SKIP_1) | instid1(VALU_DEP_1)
	v_fmac_f64_e32 v[50:51], v[46:47], v[32:33]
	v_mul_f64_e32 v[32:33], 0.5, v[24:25]
	v_fmac_f64_e32 v[32:33], v[66:67], v[50:51]
	v_fma_f64 v[50:51], v[22:23], -v[24:25], v[60:61]
	s_delay_alu instid0(VALU_DEP_2) | instskip(SKIP_1) | instid1(VALU_DEP_1)
	v_fma_f64 v[24:25], v[46:47], v[32:33], -v[24:25]
	v_fmaak_f64 v[32:33], v[42:43], v[58:59], 0xbe927e4fa17f65f6
	v_fmaak_f64 v[32:33], v[42:43], v[32:33], 0x3efa01a019f4ec90
	s_delay_alu instid0(VALU_DEP_1) | instskip(NEXT) | instid1(VALU_DEP_1)
	v_fmaak_f64 v[32:33], v[42:43], v[32:33], 0xbf56c16c16c16967
	v_fmaak_f64 v[32:33], v[42:43], v[32:33], 0x3fa5555555555555
	v_fmac_f64_e32 v[24:25], 0xbfc5555555555555, v[66:67]
	s_delay_alu instid0(VALU_DEP_1) | instskip(SKIP_2) | instid1(VALU_DEP_2)
	v_add_f64_e64 v[22:23], v[22:23], -v[24:25]
	v_dual_add_f64 v[16:17], v[40:41], v[36:37] :: v_dual_bitop2_b32 v25, 1, v27 bitop3:0x40
	v_and_b32_e32 v24, 1, v28
	v_cmp_eq_u32_e64 s1, 0, v25
	v_fma_f64 v[48:49], v[42:43], v[52:53], -v[12:13]
	v_mul_f64_e32 v[42:43], v[42:43], v[42:43]
	s_delay_alu instid0(VALU_DEP_4) | instskip(SKIP_1) | instid1(VALU_DEP_1)
	v_cmp_eq_u32_e32 vcc_lo, 0, v24
	v_dual_cndmask_b32 v3, v21, v19 :: v_dual_cndmask_b32 v18, v20, v18
	v_bitop3_b32 v3, v3, v2, 0x80000000 bitop3:0x78
	s_delay_alu instid0(VALU_DEP_2) | instskip(NEXT) | instid1(VALU_DEP_2)
	v_cndmask_b32_e64 v2, 0, v18, s0
	v_cndmask_b32_e64 v3, 0x7ff80000, v3, s0
	s_mov_b32 s0, 0
	v_dual_fma_f64 v[12:13], v[10:11], -v[12:13], v[44:45] :: v_dual_cndmask_b32 v14, v16, v14, s1
	v_cndmask_b32_e64 v7, v17, v15, s1
	v_mov_b64_e32 v[44:45], 0x3fa5555555555555
	s_delay_alu instid0(VALU_DEP_3) | instskip(SKIP_1) | instid1(VALU_DEP_4)
	v_cndmask_b32_e64 v8, 0, v14, s2
	v_fmac_f64_e32 v[48:49], 0xbfc5555555555555, v[30:31]
	v_bitop3_b32 v4, v7, v4, 0x80000000 bitop3:0x78
	s_delay_alu instid0(VALU_DEP_4)
	v_fmac_f64_e32 v[44:45], v[46:47], v[64:65]
	v_mul_f64_e32 v[46:47], v[46:47], v[46:47]
	v_fmac_f64_e32 v[12:13], v[42:43], v[32:33]
	v_and_b32_e32 v32, 1, v26
	v_and_b32_e32 v33, 1, v29
	v_add_f64_e64 v[10:11], v[10:11], -v[48:49]
	s_delay_alu instid0(VALU_DEP_3) | instskip(NEXT) | instid1(VALU_DEP_3)
	v_cmp_eq_u32_e64 s3, 0, v32
	v_cmp_eq_u32_e64 s5, 0, v33
	v_add_f64_e32 v[12:13], v[56:57], v[12:13]
	s_delay_alu instid0(VALU_DEP_1) | instskip(SKIP_1) | instid1(VALU_DEP_3)
	v_cndmask_b32_e64 v9, v13, v11, s3
	v_fmac_f64_e32 v[50:51], v[46:47], v[44:45]
	v_cndmask_b32_e64 v10, v12, v10, s3
	s_delay_alu instid0(VALU_DEP_3) | instskip(SKIP_1) | instid1(VALU_DEP_3)
	v_bitop3_b32 v7, v9, v6, 0x80000000 bitop3:0x78
	v_cndmask_b32_e64 v9, 0x7ff80000, v4, s2
	v_cndmask_b32_e64 v6, 0, v10, s4
	s_add_nc_u64 s[2:3], s[8:9], s[14:15]
	s_delay_alu instid0(VALU_DEP_3) | instskip(SKIP_1) | instid1(VALU_DEP_1)
	v_cndmask_b32_e64 v7, 0x7ff80000, v7, s4
	v_add_f64_e32 v[30:31], v[62:63], v[50:51]
	v_dual_cndmask_b32 v11, v31, v23, s5 :: v_dual_cndmask_b32 v12, v30, v22, s5
	s_delay_alu instid0(VALU_DEP_1) | instskip(NEXT) | instid1(VALU_DEP_2)
	v_bitop3_b32 v5, v11, v5, 0x80000000 bitop3:0x78
	v_cndmask_b32_e64 v4, 0, v12, s6
	s_delay_alu instid0(VALU_DEP_2)
	v_cndmask_b32_e64 v5, 0x7ff80000, v5, s6
	s_clause 0x1
	global_store_b128 v1, v[6:9], s[2:3]
	global_store_b128 v1, v[2:5], s[2:3] offset:16
.LBB1_18:
	s_and_b32 vcc_lo, exec_lo, s0
	s_cbranch_vccz .LBB1_51
; %bb.19:
	v_mov_b64_e32 v[14:15], 0
	v_mov_b64_e32 v[16:17], 0
	v_cmp_gt_i32_e32 vcc_lo, s7, v0
	s_wait_xcnt 0x0
	v_dual_mov_b32 v4, v0 :: v_dual_bitop2_b32 v1, s12, v0 bitop3:0x54
	v_or_b32_e32 v18, 0x100, v0
	s_and_saveexec_b32 s0, vcc_lo
	s_cbranch_execz .LBB1_21
; %bb.20:
	global_load_b64 v[16:17], v1, s[10:11] scale_offset
	v_or_b32_e32 v4, 0x100, v0
.LBB1_21:
	s_wait_xcnt 0x0
	s_or_b32 exec_lo, exec_lo, s0
	s_delay_alu instid0(SALU_CYCLE_1) | instskip(NEXT) | instid1(VALU_DEP_1)
	s_mov_b32 s1, exec_lo
	v_cmpx_gt_i32_e64 s7, v4
	s_cbranch_execz .LBB1_23
; %bb.22:
	v_add_nc_u32_e32 v2, s12, v4
	v_add_nc_u32_e32 v4, 0x100, v4
	global_load_b64 v[14:15], v2, s[10:11] scale_offset
.LBB1_23:
	s_wait_xcnt 0x0
	s_or_b32 exec_lo, exec_lo, s1
	v_mov_b64_e32 v[2:3], 0
	v_mov_b64_e32 v[6:7], 0
	s_mov_b32 s1, exec_lo
	v_cmpx_gt_i32_e64 s7, v4
	s_cbranch_execz .LBB1_25
; %bb.24:
	v_add_nc_u32_e32 v5, s12, v4
	v_add_nc_u32_e32 v4, 0x100, v4
	global_load_b64 v[6:7], v5, s[10:11] scale_offset
.LBB1_25:
	s_wait_xcnt 0x0
	s_or_b32 exec_lo, exec_lo, s1
	s_delay_alu instid0(SALU_CYCLE_1)
	s_mov_b32 s1, exec_lo
	v_cmpx_gt_i32_e64 s7, v4
	s_cbranch_execz .LBB1_27
; %bb.26:
	v_add_nc_u32_e32 v2, s12, v4
	global_load_b64 v[2:3], v2, s[10:11] scale_offset
.LBB1_27:
	s_wait_xcnt 0x0
	s_or_b32 exec_lo, exec_lo, s1
	v_mov_b32_e32 v4, 0
	s_delay_alu instid0(VALU_DEP_1)
	v_dual_mov_b32 v5, v4 :: v_dual_mov_b32 v12, v4
	v_dual_mov_b32 v13, v4 :: v_dual_mov_b32 v10, v4
	;; [unrolled: 1-line block ×3, first 2 shown]
	v_mov_b32_e32 v9, v4
	s_and_saveexec_b32 s2, vcc_lo
	s_cbranch_execz .LBB1_33
; %bb.28:
	s_mov_b32 s1, exec_lo
                                        ; implicit-def: $vgpr10
                                        ; implicit-def: $vgpr4_vgpr5
                                        ; implicit-def: $vgpr8_vgpr9
	s_wait_loadcnt 0x0
	v_cmpx_ngt_f64_e64 0x41d00000, |v[16:17]|
	s_xor_b32 s1, exec_lo, s1
	s_cbranch_execz .LBB1_30
; %bb.29:
	v_ldexp_f64 v[4:5], |v[16:17]|, 0xffffff80
	v_cmp_le_f64_e64 s0, 0x7b000000, |v[16:17]|
	v_trig_preop_f64 v[8:9], |v[16:17]|, 0
	v_and_b32_e32 v10, 0x7fffffff, v17
	v_trig_preop_f64 v[26:27], |v[16:17]|, 2
	s_mov_b64 s[4:5], 0x3ff921fb54442d18
	s_delay_alu instid0(VALU_DEP_2) | instskip(SKIP_2) | instid1(VALU_DEP_2)
	v_dual_mov_b32 v34, 0 :: v_dual_cndmask_b32 v5, v10, v5, s0
	v_cndmask_b32_e64 v4, v16, v4, s0
	v_trig_preop_f64 v[10:11], |v[16:17]|, 1
	v_mul_f64_e32 v[12:13], v[8:9], v[4:5]
	v_mul_f64_e32 v[32:33], v[26:27], v[4:5]
	s_delay_alu instid0(VALU_DEP_3) | instskip(NEXT) | instid1(VALU_DEP_3)
	v_mul_f64_e32 v[20:21], v[10:11], v[4:5]
	v_fma_f64 v[8:9], v[8:9], v[4:5], -v[12:13]
	s_delay_alu instid0(VALU_DEP_2) | instskip(NEXT) | instid1(VALU_DEP_4)
	v_fma_f64 v[10:11], v[10:11], v[4:5], -v[20:21]
	v_fma_f64 v[4:5], v[26:27], v[4:5], -v[32:33]
	s_delay_alu instid0(VALU_DEP_3) | instskip(NEXT) | instid1(VALU_DEP_1)
	v_add_f64_e32 v[22:23], v[20:21], v[8:9]
	v_add_f64_e64 v[24:25], v[22:23], -v[20:21]
	v_add_f64_e32 v[30:31], v[12:13], v[22:23]
	s_delay_alu instid0(VALU_DEP_2) | instskip(SKIP_1) | instid1(VALU_DEP_3)
	v_add_f64_e64 v[28:29], v[22:23], -v[24:25]
	v_add_f64_e64 v[8:9], v[8:9], -v[24:25]
	v_ldexp_f64 v[24:25], v[30:31], -2
	s_delay_alu instid0(VALU_DEP_3) | instskip(NEXT) | instid1(VALU_DEP_2)
	v_add_f64_e64 v[20:21], v[20:21], -v[28:29]
	v_cmp_neq_f64_e64 s0, 0x7ff00000, |v[24:25]|
	s_delay_alu instid0(VALU_DEP_2) | instskip(SKIP_1) | instid1(VALU_DEP_1)
	v_add_f64_e32 v[8:9], v[8:9], v[20:21]
	v_fract_f64_e32 v[20:21], v[24:25]
	v_ldexp_f64 v[20:21], v[20:21], 2
	s_delay_alu instid0(VALU_DEP_1) | instskip(NEXT) | instid1(VALU_DEP_2)
	v_dual_add_f64 v[28:29], v[32:33], v[10:11] :: v_dual_cndmask_b32 v20, 0, v20, s0
	v_cndmask_b32_e64 v21, 0, v21, s0
	v_add_f64_e64 v[12:13], v[30:31], -v[12:13]
	s_delay_alu instid0(VALU_DEP_1) | instskip(NEXT) | instid1(VALU_DEP_4)
	v_add_f64_e64 v[12:13], v[22:23], -v[12:13]
	v_add_f64_e32 v[22:23], v[28:29], v[8:9]
	s_delay_alu instid0(VALU_DEP_1) | instskip(SKIP_1) | instid1(VALU_DEP_2)
	v_add_f64_e32 v[24:25], v[12:13], v[22:23]
	v_add_f64_e64 v[36:37], v[22:23], -v[28:29]
	v_add_f64_e32 v[30:31], v[24:25], v[20:21]
	s_delay_alu instid0(VALU_DEP_2) | instskip(SKIP_2) | instid1(VALU_DEP_4)
	v_add_f64_e64 v[42:43], v[22:23], -v[36:37]
	v_add_f64_e64 v[8:9], v[8:9], -v[36:37]
	;; [unrolled: 1-line block ×3, first 2 shown]
	v_cmp_gt_f64_e64 s0, 0, v[30:31]
	v_add_f64_e64 v[30:31], v[28:29], -v[32:33]
	s_delay_alu instid0(VALU_DEP_2) | instskip(NEXT) | instid1(VALU_DEP_2)
	v_cndmask_b32_e64 v35, 0, 0x40100000, s0
	v_add_f64_e64 v[40:41], v[28:29], -v[30:31]
	v_add_f64_e64 v[10:11], v[10:11], -v[30:31]
	;; [unrolled: 1-line block ×3, first 2 shown]
	s_delay_alu instid0(VALU_DEP_4) | instskip(NEXT) | instid1(VALU_DEP_4)
	v_add_f64_e32 v[20:21], v[20:21], v[34:35]
	v_add_f64_e64 v[30:31], v[32:33], -v[40:41]
	s_delay_alu instid0(VALU_DEP_3) | instskip(NEXT) | instid1(VALU_DEP_3)
	v_add_f64_e32 v[8:9], v[8:9], v[28:29]
	v_add_f64_e32 v[38:39], v[24:25], v[20:21]
	s_delay_alu instid0(VALU_DEP_3) | instskip(NEXT) | instid1(VALU_DEP_2)
	v_add_f64_e32 v[10:11], v[10:11], v[30:31]
	v_cvt_i32_f64_e32 v19, v[38:39]
	s_delay_alu instid0(VALU_DEP_2) | instskip(SKIP_1) | instid1(VALU_DEP_3)
	v_add_f64_e32 v[8:9], v[10:11], v[8:9]
	v_add_f64_e64 v[10:11], v[22:23], -v[12:13]
	v_cvt_f64_i32_e32 v[36:37], v19
	s_delay_alu instid0(VALU_DEP_3) | instskip(NEXT) | instid1(VALU_DEP_2)
	v_add_f64_e32 v[4:5], v[4:5], v[8:9]
	v_add_f64_e64 v[20:21], v[20:21], -v[36:37]
	s_delay_alu instid0(VALU_DEP_2) | instskip(NEXT) | instid1(VALU_DEP_2)
	v_add_f64_e32 v[4:5], v[10:11], v[4:5]
	v_add_f64_e32 v[26:27], v[24:25], v[20:21]
	s_delay_alu instid0(VALU_DEP_1) | instskip(SKIP_1) | instid1(VALU_DEP_2)
	v_add_f64_e64 v[8:9], v[26:27], -v[20:21]
	v_cmp_le_f64_e64 s0, 0.5, v[26:27]
	v_add_f64_e64 v[8:9], v[24:25], -v[8:9]
	s_delay_alu instid0(VALU_DEP_2) | instskip(SKIP_1) | instid1(VALU_DEP_3)
	v_cndmask_b32_e64 v35, 0, 0x3ff00000, s0
	v_add_co_ci_u32_e64 v10, null, 0, v19, s0
	v_add_f64_e32 v[4:5], v[4:5], v[8:9]
	s_delay_alu instid0(VALU_DEP_3) | instskip(NEXT) | instid1(VALU_DEP_1)
	v_add_f64_e64 v[8:9], v[26:27], -v[34:35]
	v_add_f64_e32 v[12:13], v[8:9], v[4:5]
	s_delay_alu instid0(VALU_DEP_1) | instskip(SKIP_1) | instid1(VALU_DEP_2)
	v_mul_f64_e32 v[20:21], 0x3ff921fb54442d18, v[12:13]
	v_add_f64_e64 v[8:9], v[12:13], -v[8:9]
	v_fma_f64 v[22:23], v[12:13], s[4:5], -v[20:21]
	s_delay_alu instid0(VALU_DEP_2) | instskip(NEXT) | instid1(VALU_DEP_2)
	v_add_f64_e64 v[4:5], v[4:5], -v[8:9]
	v_fmamk_f64 v[8:9], v[12:13], 0x3c91a62633145c07, v[22:23]
	s_delay_alu instid0(VALU_DEP_1) | instskip(NEXT) | instid1(VALU_DEP_1)
	v_fmac_f64_e32 v[8:9], 0x3ff921fb54442d18, v[4:5]
	v_add_f64_e32 v[4:5], v[20:21], v[8:9]
	s_delay_alu instid0(VALU_DEP_1) | instskip(NEXT) | instid1(VALU_DEP_1)
	v_add_f64_e64 v[12:13], v[4:5], -v[20:21]
	v_add_f64_e64 v[8:9], v[8:9], -v[12:13]
.LBB1_30:
	s_and_not1_saveexec_b32 s0, s1
	s_cbranch_execz .LBB1_32
; %bb.31:
	s_mov_b64 s[4:5], 0x3fe45f306dc9c883
	s_delay_alu instid0(SALU_CYCLE_1) | instskip(SKIP_1) | instid1(VALU_DEP_1)
	v_mul_f64_e64 v[4:5], |v[16:17]|, s[4:5]
	s_mov_b64 s[4:5], 0xbff921fb54442d18
	v_rndne_f64_e32 v[10:11], v[4:5]
	s_delay_alu instid0(VALU_DEP_1) | instskip(SKIP_1) | instid1(VALU_DEP_2)
	v_fma_f64 v[4:5], v[10:11], s[4:5], |v[16:17]|
	v_mul_f64_e32 v[8:9], 0xbc91a62633145c00, v[10:11]
	v_fmamk_f64 v[22:23], v[10:11], 0xbc91a62633145c00, v[4:5]
	s_delay_alu instid0(VALU_DEP_2) | instskip(NEXT) | instid1(VALU_DEP_1)
	v_add_f64_e32 v[12:13], v[4:5], v[8:9]
	v_add_f64_e64 v[20:21], v[4:5], -v[12:13]
	s_delay_alu instid0(VALU_DEP_3) | instskip(NEXT) | instid1(VALU_DEP_2)
	v_add_f64_e64 v[4:5], v[12:13], -v[22:23]
	v_add_f64_e32 v[12:13], v[20:21], v[8:9]
	v_fmamk_f64 v[8:9], v[10:11], 0x3c91a62633145c00, v[8:9]
	s_delay_alu instid0(VALU_DEP_2) | instskip(NEXT) | instid1(VALU_DEP_1)
	v_add_f64_e32 v[4:5], v[4:5], v[12:13]
	v_add_f64_e64 v[4:5], v[4:5], -v[8:9]
	s_delay_alu instid0(VALU_DEP_1) | instskip(SKIP_1) | instid1(VALU_DEP_2)
	v_fmamk_f64 v[8:9], v[10:11], 0xb97b839a252049c0, v[4:5]
	v_cvt_i32_f64_e32 v10, v[10:11]
	v_add_f64_e32 v[4:5], v[22:23], v[8:9]
	s_delay_alu instid0(VALU_DEP_1) | instskip(NEXT) | instid1(VALU_DEP_1)
	v_add_f64_e64 v[12:13], v[4:5], -v[22:23]
	v_add_f64_e64 v[8:9], v[8:9], -v[12:13]
.LBB1_32:
	s_or_b32 exec_lo, exec_lo, s0
	s_delay_alu instid0(VALU_DEP_4) | instskip(NEXT) | instid1(VALU_DEP_2)
	v_dual_mul_f64 v[12:13], v[4:5], v[4:5] :: v_dual_bitop2_b32 v11, 1, v10 bitop3:0x40
	v_mul_f64_e32 v[26:27], 0.5, v[8:9]
	s_mov_b64 s[0:1], 0x3de5e0b2f9a43bb8
	s_delay_alu instid0(VALU_DEP_2) | instskip(SKIP_3) | instid1(VALU_DEP_3)
	v_mul_f64_e32 v[20:21], 0.5, v[12:13]
	v_mul_f64_e64 v[28:29], v[4:5], -v[12:13]
	v_fmaak_f64 v[30:31], s[0:1], v[12:13], 0xbe5ae600b42fdfa7
	s_mov_b64 s[0:1], 0xbda907db46cc5e42
	v_add_f64_e64 v[22:23], -v[20:21], 1.0
	s_delay_alu instid0(VALU_DEP_1) | instskip(NEXT) | instid1(VALU_DEP_1)
	v_add_f64_e64 v[24:25], -v[22:23], 1.0
	v_add_f64_e64 v[20:21], v[24:25], -v[20:21]
	s_delay_alu instid0(VALU_DEP_4) | instskip(SKIP_1) | instid1(VALU_DEP_2)
	v_fmaak_f64 v[24:25], v[12:13], v[30:31], 0x3ec71de3796cde01
	v_mul_f64_e32 v[30:31], v[12:13], v[12:13]
	v_fmaak_f64 v[24:25], v[12:13], v[24:25], 0xbf2a01a019e83e5c
	s_delay_alu instid0(VALU_DEP_1) | instskip(NEXT) | instid1(VALU_DEP_1)
	v_fmaak_f64 v[24:25], v[12:13], v[24:25], 0x3f81111111110bb3
	v_fmac_f64_e32 v[26:27], v[28:29], v[24:25]
	v_fmaak_f64 v[24:25], s[0:1], v[12:13], 0x3e21eeb69037ab78
	v_cmp_class_f64_e64 s1, v[16:17], 0x1f8
	v_cmp_eq_u32_e64 s0, 0, v11
	s_delay_alu instid0(VALU_DEP_3) | instskip(SKIP_1) | instid1(VALU_DEP_2)
	v_fmaak_f64 v[24:25], v[12:13], v[24:25], 0xbe927e4fa17f65f6
	v_fma_f64 v[20:21], v[4:5], -v[8:9], v[20:21]
	v_fmaak_f64 v[24:25], v[12:13], v[24:25], 0x3efa01a019f4ec90
	s_delay_alu instid0(VALU_DEP_1) | instskip(SKIP_1) | instid1(VALU_DEP_2)
	v_fmaak_f64 v[24:25], v[12:13], v[24:25], 0xbf56c16c16c16967
	v_fma_f64 v[8:9], v[12:13], v[26:27], -v[8:9]
	v_fmaak_f64 v[12:13], v[12:13], v[24:25], 0x3fa5555555555555
	s_delay_alu instid0(VALU_DEP_1) | instskip(SKIP_1) | instid1(VALU_DEP_1)
	v_fmac_f64_e32 v[20:21], v[30:31], v[12:13]
	v_mov_b32_e32 v12, 0
	v_dual_mov_b32 v11, v12 :: v_dual_mov_b32 v13, v12
	v_fmamk_f64 v[8:9], v[28:29], 0xbfc5555555555555, v[8:9]
	s_delay_alu instid0(VALU_DEP_1) | instskip(SKIP_1) | instid1(VALU_DEP_1)
	v_add_f64_e64 v[4:5], v[4:5], -v[8:9]
	v_add_f64_e32 v[8:9], v[22:23], v[20:21]
	v_dual_cndmask_b32 v4, v8, v4, s0 :: v_dual_lshlrev_b32 v8, 30, v10
	s_delay_alu instid0(VALU_DEP_2) | instskip(SKIP_1) | instid1(VALU_DEP_3)
	v_dual_cndmask_b32 v5, v9, v5, s0 :: v_dual_mov_b32 v10, v12
	v_mov_b32_e32 v9, v12
	v_dual_cndmask_b32 v4, 0, v4, s1 :: v_dual_bitop2_b32 v8, v8, v17 bitop3:0x14
	s_delay_alu instid0(VALU_DEP_1) | instskip(SKIP_1) | instid1(VALU_DEP_2)
	v_bitop3_b32 v5, v5, v8, 0x80000000 bitop3:0x78
	v_mov_b32_e32 v8, v12
	v_cndmask_b32_e64 v5, 0x7ff80000, v5, s1
.LBB1_33:
	s_or_b32 exec_lo, exec_lo, s2
	s_delay_alu instid0(SALU_CYCLE_1)
	s_mov_b32 s1, exec_lo
	v_cmpx_gt_i32_e64 s7, v18
	s_cbranch_execz .LBB1_39
; %bb.34:
	s_mov_b32 s2, exec_lo
                                        ; implicit-def: $vgpr19
                                        ; implicit-def: $vgpr12_vgpr13
                                        ; implicit-def: $vgpr16_vgpr17
	s_wait_loadcnt 0x0
	v_cmpx_ngt_f64_e64 0x41d00000, |v[14:15]|
	s_xor_b32 s2, exec_lo, s2
	s_cbranch_execz .LBB1_36
; %bb.35:
	v_ldexp_f64 v[12:13], |v[14:15]|, 0xffffff80
	v_cmp_le_f64_e64 s0, 0x7b000000, |v[14:15]|
	v_trig_preop_f64 v[16:17], |v[14:15]|, 0
	v_and_b32_e32 v19, 0x7fffffff, v15
	v_trig_preop_f64 v[20:21], |v[14:15]|, 1
	v_trig_preop_f64 v[30:31], |v[14:15]|, 2
	s_mov_b64 s[4:5], 0x3ff921fb54442d18
	s_delay_alu instid0(VALU_DEP_3) | instskip(SKIP_1) | instid1(VALU_DEP_1)
	v_dual_mov_b32 v38, 0 :: v_dual_cndmask_b32 v13, v19, v13, s0
	v_cndmask_b32_e64 v12, v14, v12, s0
	v_mul_f64_e32 v[22:23], v[16:17], v[12:13]
	v_mul_f64_e32 v[24:25], v[20:21], v[12:13]
	v_mul_f64_e32 v[36:37], v[30:31], v[12:13]
	s_delay_alu instid0(VALU_DEP_3) | instskip(NEXT) | instid1(VALU_DEP_3)
	v_fma_f64 v[16:17], v[16:17], v[12:13], -v[22:23]
	v_fma_f64 v[20:21], v[20:21], v[12:13], -v[24:25]
	s_delay_alu instid0(VALU_DEP_3) | instskip(NEXT) | instid1(VALU_DEP_3)
	v_fma_f64 v[12:13], v[30:31], v[12:13], -v[36:37]
	v_add_f64_e32 v[26:27], v[24:25], v[16:17]
	s_delay_alu instid0(VALU_DEP_1) | instskip(SKIP_1) | instid1(VALU_DEP_2)
	v_add_f64_e64 v[28:29], v[26:27], -v[24:25]
	v_add_f64_e32 v[34:35], v[22:23], v[26:27]
	v_add_f64_e64 v[32:33], v[26:27], -v[28:29]
	v_add_f64_e64 v[16:17], v[16:17], -v[28:29]
	s_delay_alu instid0(VALU_DEP_3) | instskip(NEXT) | instid1(VALU_DEP_3)
	v_ldexp_f64 v[28:29], v[34:35], -2
	v_add_f64_e64 v[24:25], v[24:25], -v[32:33]
	v_add_f64_e32 v[32:33], v[36:37], v[20:21]
	s_delay_alu instid0(VALU_DEP_3) | instskip(NEXT) | instid1(VALU_DEP_3)
	v_cmp_neq_f64_e64 s0, 0x7ff00000, |v[28:29]|
	v_add_f64_e32 v[16:17], v[16:17], v[24:25]
	v_fract_f64_e32 v[24:25], v[28:29]
	s_delay_alu instid0(VALU_DEP_1) | instskip(NEXT) | instid1(VALU_DEP_1)
	v_ldexp_f64 v[24:25], v[24:25], 2
	v_dual_add_f64 v[22:23], v[34:35], -v[22:23] :: v_dual_cndmask_b32 v25, 0, v25, s0
	s_delay_alu instid0(VALU_DEP_1) | instskip(SKIP_1) | instid1(VALU_DEP_1)
	v_dual_add_f64 v[22:23], v[26:27], -v[22:23] :: v_dual_cndmask_b32 v24, 0, v24, s0
	v_add_f64_e32 v[26:27], v[32:33], v[16:17]
	v_add_f64_e32 v[28:29], v[22:23], v[26:27]
	v_add_f64_e64 v[40:41], v[26:27], -v[32:33]
	s_delay_alu instid0(VALU_DEP_2) | instskip(NEXT) | instid1(VALU_DEP_2)
	v_add_f64_e32 v[34:35], v[28:29], v[24:25]
	v_add_f64_e64 v[46:47], v[26:27], -v[40:41]
	v_add_f64_e64 v[16:17], v[16:17], -v[40:41]
	v_add_f64_e64 v[22:23], v[28:29], -v[22:23]
	s_delay_alu instid0(VALU_DEP_4) | instskip(SKIP_1) | instid1(VALU_DEP_3)
	v_cmp_gt_f64_e64 s0, 0, v[34:35]
	v_add_f64_e64 v[34:35], v[32:33], -v[36:37]
	v_add_f64_e64 v[22:23], v[26:27], -v[22:23]
	s_delay_alu instid0(VALU_DEP_3) | instskip(NEXT) | instid1(VALU_DEP_3)
	v_cndmask_b32_e64 v39, 0, 0x40100000, s0
	v_add_f64_e64 v[44:45], v[32:33], -v[34:35]
	v_add_f64_e64 v[20:21], v[20:21], -v[34:35]
	;; [unrolled: 1-line block ×3, first 2 shown]
	s_delay_alu instid0(VALU_DEP_4) | instskip(NEXT) | instid1(VALU_DEP_4)
	v_add_f64_e32 v[24:25], v[24:25], v[38:39]
	v_add_f64_e64 v[34:35], v[36:37], -v[44:45]
	s_delay_alu instid0(VALU_DEP_3) | instskip(NEXT) | instid1(VALU_DEP_3)
	v_add_f64_e32 v[16:17], v[16:17], v[32:33]
	v_add_f64_e32 v[42:43], v[28:29], v[24:25]
	s_delay_alu instid0(VALU_DEP_3) | instskip(NEXT) | instid1(VALU_DEP_2)
	v_add_f64_e32 v[20:21], v[20:21], v[34:35]
	v_cvt_i32_f64_e32 v19, v[42:43]
	s_delay_alu instid0(VALU_DEP_2) | instskip(NEXT) | instid1(VALU_DEP_2)
	v_add_f64_e32 v[16:17], v[20:21], v[16:17]
	v_cvt_f64_i32_e32 v[40:41], v19
	s_delay_alu instid0(VALU_DEP_2) | instskip(NEXT) | instid1(VALU_DEP_2)
	v_add_f64_e32 v[12:13], v[12:13], v[16:17]
	v_add_f64_e64 v[24:25], v[24:25], -v[40:41]
	s_delay_alu instid0(VALU_DEP_2) | instskip(NEXT) | instid1(VALU_DEP_2)
	v_add_f64_e32 v[12:13], v[22:23], v[12:13]
	v_add_f64_e32 v[20:21], v[28:29], v[24:25]
	s_delay_alu instid0(VALU_DEP_1) | instskip(SKIP_1) | instid1(VALU_DEP_2)
	v_add_f64_e64 v[16:17], v[20:21], -v[24:25]
	v_cmp_le_f64_e64 s0, 0.5, v[20:21]
	v_add_f64_e64 v[16:17], v[28:29], -v[16:17]
	s_delay_alu instid0(VALU_DEP_2) | instskip(SKIP_1) | instid1(VALU_DEP_3)
	v_cndmask_b32_e64 v39, 0, 0x3ff00000, s0
	v_add_co_ci_u32_e64 v19, null, 0, v19, s0
	v_add_f64_e32 v[12:13], v[12:13], v[16:17]
	s_delay_alu instid0(VALU_DEP_3) | instskip(NEXT) | instid1(VALU_DEP_1)
	v_add_f64_e64 v[16:17], v[20:21], -v[38:39]
	v_add_f64_e32 v[20:21], v[16:17], v[12:13]
	s_delay_alu instid0(VALU_DEP_1) | instskip(SKIP_1) | instid1(VALU_DEP_2)
	v_mul_f64_e32 v[22:23], 0x3ff921fb54442d18, v[20:21]
	v_add_f64_e64 v[16:17], v[20:21], -v[16:17]
	v_fma_f64 v[24:25], v[20:21], s[4:5], -v[22:23]
	s_delay_alu instid0(VALU_DEP_2) | instskip(NEXT) | instid1(VALU_DEP_2)
	v_add_f64_e64 v[12:13], v[12:13], -v[16:17]
	v_fmamk_f64 v[16:17], v[20:21], 0x3c91a62633145c07, v[24:25]
	s_delay_alu instid0(VALU_DEP_1) | instskip(NEXT) | instid1(VALU_DEP_1)
	v_fmac_f64_e32 v[16:17], 0x3ff921fb54442d18, v[12:13]
	v_add_f64_e32 v[12:13], v[22:23], v[16:17]
	s_delay_alu instid0(VALU_DEP_1) | instskip(NEXT) | instid1(VALU_DEP_1)
	v_add_f64_e64 v[20:21], v[12:13], -v[22:23]
	v_add_f64_e64 v[16:17], v[16:17], -v[20:21]
.LBB1_36:
	s_and_not1_saveexec_b32 s0, s2
	s_cbranch_execz .LBB1_38
; %bb.37:
	s_mov_b64 s[2:3], 0x3fe45f306dc9c883
	s_delay_alu instid0(SALU_CYCLE_1) | instskip(SKIP_1) | instid1(VALU_DEP_1)
	v_mul_f64_e64 v[12:13], |v[14:15]|, s[2:3]
	s_mov_b64 s[2:3], 0xbff921fb54442d18
	v_rndne_f64_e32 v[20:21], v[12:13]
	s_delay_alu instid0(VALU_DEP_1) | instskip(SKIP_2) | instid1(VALU_DEP_3)
	v_fma_f64 v[12:13], v[20:21], s[2:3], |v[14:15]|
	v_mul_f64_e32 v[16:17], 0xbc91a62633145c00, v[20:21]
	v_cvt_i32_f64_e32 v19, v[20:21]
	v_fmamk_f64 v[26:27], v[20:21], 0xbc91a62633145c00, v[12:13]
	s_delay_alu instid0(VALU_DEP_3) | instskip(NEXT) | instid1(VALU_DEP_1)
	v_add_f64_e32 v[22:23], v[12:13], v[16:17]
	v_add_f64_e64 v[24:25], v[12:13], -v[22:23]
	s_delay_alu instid0(VALU_DEP_3) | instskip(NEXT) | instid1(VALU_DEP_2)
	v_add_f64_e64 v[12:13], v[22:23], -v[26:27]
	v_add_f64_e32 v[22:23], v[24:25], v[16:17]
	v_fmamk_f64 v[16:17], v[20:21], 0x3c91a62633145c00, v[16:17]
	s_delay_alu instid0(VALU_DEP_2) | instskip(NEXT) | instid1(VALU_DEP_1)
	v_add_f64_e32 v[12:13], v[12:13], v[22:23]
	v_add_f64_e64 v[12:13], v[12:13], -v[16:17]
	s_delay_alu instid0(VALU_DEP_1) | instskip(NEXT) | instid1(VALU_DEP_1)
	v_fmamk_f64 v[16:17], v[20:21], 0xb97b839a252049c0, v[12:13]
	v_add_f64_e32 v[12:13], v[26:27], v[16:17]
	s_delay_alu instid0(VALU_DEP_1) | instskip(NEXT) | instid1(VALU_DEP_1)
	v_add_f64_e64 v[22:23], v[12:13], -v[26:27]
	v_add_f64_e64 v[16:17], v[16:17], -v[22:23]
.LBB1_38:
	s_or_b32 exec_lo, exec_lo, s0
	v_mul_f64_e32 v[20:21], v[12:13], v[12:13]
	s_delay_alu instid0(VALU_DEP_2) | instskip(SKIP_1) | instid1(VALU_DEP_2)
	v_mul_f64_e32 v[28:29], 0.5, v[16:17]
	s_mov_b64 s[2:3], 0x3de5e0b2f9a43bb8
	v_mul_f64_e32 v[22:23], 0.5, v[20:21]
	v_mul_f64_e64 v[30:31], v[12:13], -v[20:21]
	v_fmaak_f64 v[32:33], s[2:3], v[20:21], 0xbe5ae600b42fdfa7
	s_mov_b64 s[2:3], 0xbda907db46cc5e42
	s_delay_alu instid0(VALU_DEP_3) | instskip(NEXT) | instid1(VALU_DEP_1)
	v_add_f64_e64 v[24:25], -v[22:23], 1.0
	v_add_f64_e64 v[26:27], -v[24:25], 1.0
	s_delay_alu instid0(VALU_DEP_1) | instskip(NEXT) | instid1(VALU_DEP_4)
	v_add_f64_e64 v[22:23], v[26:27], -v[22:23]
	v_fmaak_f64 v[26:27], v[20:21], v[32:33], 0x3ec71de3796cde01
	v_mul_f64_e32 v[32:33], v[20:21], v[20:21]
	s_delay_alu instid0(VALU_DEP_2) | instskip(NEXT) | instid1(VALU_DEP_1)
	v_fmaak_f64 v[26:27], v[20:21], v[26:27], 0xbf2a01a019e83e5c
	v_fmaak_f64 v[26:27], v[20:21], v[26:27], 0x3f81111111110bb3
	s_delay_alu instid0(VALU_DEP_1) | instskip(SKIP_1) | instid1(VALU_DEP_1)
	v_fmac_f64_e32 v[28:29], v[30:31], v[26:27]
	v_fmaak_f64 v[26:27], s[2:3], v[20:21], 0x3e21eeb69037ab78
	v_fmaak_f64 v[26:27], v[20:21], v[26:27], 0xbe927e4fa17f65f6
	v_fma_f64 v[22:23], v[12:13], -v[16:17], v[22:23]
	s_delay_alu instid0(VALU_DEP_2) | instskip(NEXT) | instid1(VALU_DEP_1)
	v_fmaak_f64 v[26:27], v[20:21], v[26:27], 0x3efa01a019f4ec90
	v_fmaak_f64 v[26:27], v[20:21], v[26:27], 0xbf56c16c16c16967
	v_fma_f64 v[16:17], v[20:21], v[28:29], -v[16:17]
	s_delay_alu instid0(VALU_DEP_2) | instskip(NEXT) | instid1(VALU_DEP_1)
	v_fmaak_f64 v[20:21], v[20:21], v[26:27], 0x3fa5555555555555
	v_fmac_f64_e32 v[22:23], v[32:33], v[20:21]
	v_dual_lshlrev_b32 v19, 30, v19 :: v_dual_bitop2_b32 v20, 1, v19 bitop3:0x40
	s_delay_alu instid0(VALU_DEP_1) | instskip(NEXT) | instid1(VALU_DEP_2)
	v_cmp_eq_u32_e64 s0, 0, v20
	v_xor_b32_e32 v19, v19, v15
	v_fmamk_f64 v[16:17], v[30:31], 0xbfc5555555555555, v[16:17]
	s_delay_alu instid0(VALU_DEP_1) | instskip(SKIP_1) | instid1(VALU_DEP_1)
	v_add_f64_e64 v[12:13], v[12:13], -v[16:17]
	v_add_f64_e32 v[16:17], v[24:25], v[22:23]
	v_dual_cndmask_b32 v12, v16, v12, s0 :: v_dual_cndmask_b32 v13, v17, v13, s0
	v_cmp_class_f64_e64 s0, v[14:15], 0x1f8
	s_delay_alu instid0(VALU_DEP_2) | instskip(NEXT) | instid1(VALU_DEP_1)
	v_bitop3_b32 v13, v13, v19, 0x80000000 bitop3:0x78
	v_cndmask_b32_e64 v13, 0x7ff80000, v13, s0
	s_delay_alu instid0(VALU_DEP_4)
	v_cndmask_b32_e64 v12, 0, v12, s0
.LBB1_39:
	s_or_b32 exec_lo, exec_lo, s1
	s_wait_loadcnt 0x0
	v_or_b32_e32 v14, 0x200, v0
	s_mov_b32 s1, exec_lo
	s_delay_alu instid0(VALU_DEP_1)
	v_cmpx_gt_i32_e64 s7, v14
	s_cbranch_execz .LBB1_45
; %bb.40:
	s_mov_b32 s2, exec_lo
                                        ; implicit-def: $vgpr16
                                        ; implicit-def: $vgpr10_vgpr11
                                        ; implicit-def: $vgpr14_vgpr15
	v_cmpx_ngt_f64_e64 0x41d00000, |v[6:7]|
	s_xor_b32 s2, exec_lo, s2
	s_cbranch_execz .LBB1_42
; %bb.41:
	v_ldexp_f64 v[10:11], |v[6:7]|, 0xffffff80
	v_cmp_le_f64_e64 s0, 0x7b000000, |v[6:7]|
	v_trig_preop_f64 v[14:15], |v[6:7]|, 0
	v_and_b32_e32 v16, 0x7fffffff, v7
	v_trig_preop_f64 v[28:29], |v[6:7]|, 2
	s_mov_b64 s[4:5], 0x3ff921fb54442d18
	s_delay_alu instid0(VALU_DEP_2) | instskip(SKIP_2) | instid1(VALU_DEP_2)
	v_dual_mov_b32 v36, 0 :: v_dual_cndmask_b32 v11, v16, v11, s0
	v_cndmask_b32_e64 v10, v6, v10, s0
	v_trig_preop_f64 v[16:17], |v[6:7]|, 1
	v_mul_f64_e32 v[20:21], v[14:15], v[10:11]
	v_mul_f64_e32 v[34:35], v[28:29], v[10:11]
	s_delay_alu instid0(VALU_DEP_3) | instskip(NEXT) | instid1(VALU_DEP_3)
	v_mul_f64_e32 v[22:23], v[16:17], v[10:11]
	v_fma_f64 v[14:15], v[14:15], v[10:11], -v[20:21]
	s_delay_alu instid0(VALU_DEP_2) | instskip(NEXT) | instid1(VALU_DEP_4)
	v_fma_f64 v[16:17], v[16:17], v[10:11], -v[22:23]
	v_fma_f64 v[10:11], v[28:29], v[10:11], -v[34:35]
	s_delay_alu instid0(VALU_DEP_3) | instskip(NEXT) | instid1(VALU_DEP_1)
	v_add_f64_e32 v[24:25], v[22:23], v[14:15]
	v_add_f64_e64 v[26:27], v[24:25], -v[22:23]
	v_add_f64_e32 v[32:33], v[20:21], v[24:25]
	s_delay_alu instid0(VALU_DEP_2) | instskip(SKIP_1) | instid1(VALU_DEP_3)
	v_add_f64_e64 v[30:31], v[24:25], -v[26:27]
	v_add_f64_e64 v[14:15], v[14:15], -v[26:27]
	v_ldexp_f64 v[26:27], v[32:33], -2
	s_delay_alu instid0(VALU_DEP_3) | instskip(NEXT) | instid1(VALU_DEP_2)
	v_add_f64_e64 v[22:23], v[22:23], -v[30:31]
	v_cmp_neq_f64_e64 s0, 0x7ff00000, |v[26:27]|
	s_delay_alu instid0(VALU_DEP_2) | instskip(SKIP_1) | instid1(VALU_DEP_1)
	v_add_f64_e32 v[14:15], v[14:15], v[22:23]
	v_fract_f64_e32 v[22:23], v[26:27]
	v_ldexp_f64 v[22:23], v[22:23], 2
	s_delay_alu instid0(VALU_DEP_1) | instskip(NEXT) | instid1(VALU_DEP_2)
	v_dual_add_f64 v[30:31], v[34:35], v[16:17] :: v_dual_cndmask_b32 v22, 0, v22, s0
	v_dual_add_f64 v[20:21], v[32:33], -v[20:21] :: v_dual_cndmask_b32 v23, 0, v23, s0
	s_delay_alu instid0(VALU_DEP_1) | instskip(NEXT) | instid1(VALU_DEP_3)
	v_add_f64_e64 v[20:21], v[24:25], -v[20:21]
	v_add_f64_e32 v[24:25], v[30:31], v[14:15]
	s_delay_alu instid0(VALU_DEP_1) | instskip(SKIP_1) | instid1(VALU_DEP_2)
	v_add_f64_e32 v[26:27], v[20:21], v[24:25]
	v_add_f64_e64 v[38:39], v[24:25], -v[30:31]
	v_add_f64_e32 v[32:33], v[26:27], v[22:23]
	s_delay_alu instid0(VALU_DEP_2) | instskip(SKIP_2) | instid1(VALU_DEP_4)
	v_add_f64_e64 v[44:45], v[24:25], -v[38:39]
	v_add_f64_e64 v[14:15], v[14:15], -v[38:39]
	;; [unrolled: 1-line block ×3, first 2 shown]
	v_cmp_gt_f64_e64 s0, 0, v[32:33]
	v_add_f64_e64 v[32:33], v[30:31], -v[34:35]
	s_delay_alu instid0(VALU_DEP_2) | instskip(NEXT) | instid1(VALU_DEP_2)
	v_cndmask_b32_e64 v37, 0, 0x40100000, s0
	v_add_f64_e64 v[42:43], v[30:31], -v[32:33]
	v_add_f64_e64 v[16:17], v[16:17], -v[32:33]
	;; [unrolled: 1-line block ×3, first 2 shown]
	s_delay_alu instid0(VALU_DEP_4) | instskip(NEXT) | instid1(VALU_DEP_4)
	v_add_f64_e32 v[22:23], v[22:23], v[36:37]
	v_add_f64_e64 v[32:33], v[34:35], -v[42:43]
	s_delay_alu instid0(VALU_DEP_3) | instskip(NEXT) | instid1(VALU_DEP_3)
	v_add_f64_e32 v[14:15], v[14:15], v[30:31]
	v_add_f64_e32 v[40:41], v[26:27], v[22:23]
	s_delay_alu instid0(VALU_DEP_3) | instskip(NEXT) | instid1(VALU_DEP_2)
	v_add_f64_e32 v[16:17], v[16:17], v[32:33]
	v_cvt_i32_f64_e32 v19, v[40:41]
	s_delay_alu instid0(VALU_DEP_2) | instskip(SKIP_1) | instid1(VALU_DEP_3)
	v_add_f64_e32 v[14:15], v[16:17], v[14:15]
	v_add_f64_e64 v[16:17], v[24:25], -v[20:21]
	v_cvt_f64_i32_e32 v[38:39], v19
	s_delay_alu instid0(VALU_DEP_3) | instskip(NEXT) | instid1(VALU_DEP_2)
	v_add_f64_e32 v[10:11], v[10:11], v[14:15]
	v_add_f64_e64 v[22:23], v[22:23], -v[38:39]
	s_delay_alu instid0(VALU_DEP_2) | instskip(NEXT) | instid1(VALU_DEP_2)
	v_add_f64_e32 v[10:11], v[16:17], v[10:11]
	v_add_f64_e32 v[28:29], v[26:27], v[22:23]
	s_delay_alu instid0(VALU_DEP_1) | instskip(SKIP_1) | instid1(VALU_DEP_2)
	v_add_f64_e64 v[14:15], v[28:29], -v[22:23]
	v_cmp_le_f64_e64 s0, 0.5, v[28:29]
	v_add_f64_e64 v[14:15], v[26:27], -v[14:15]
	s_delay_alu instid0(VALU_DEP_2) | instskip(SKIP_1) | instid1(VALU_DEP_3)
	v_cndmask_b32_e64 v37, 0, 0x3ff00000, s0
	v_add_co_ci_u32_e64 v16, null, 0, v19, s0
	v_add_f64_e32 v[10:11], v[10:11], v[14:15]
	s_delay_alu instid0(VALU_DEP_3) | instskip(NEXT) | instid1(VALU_DEP_1)
	v_add_f64_e64 v[14:15], v[28:29], -v[36:37]
	v_add_f64_e32 v[20:21], v[14:15], v[10:11]
	s_delay_alu instid0(VALU_DEP_1) | instskip(SKIP_1) | instid1(VALU_DEP_2)
	v_mul_f64_e32 v[22:23], 0x3ff921fb54442d18, v[20:21]
	v_add_f64_e64 v[14:15], v[20:21], -v[14:15]
	v_fma_f64 v[24:25], v[20:21], s[4:5], -v[22:23]
	s_delay_alu instid0(VALU_DEP_2) | instskip(NEXT) | instid1(VALU_DEP_2)
	v_add_f64_e64 v[10:11], v[10:11], -v[14:15]
	v_fmamk_f64 v[14:15], v[20:21], 0x3c91a62633145c07, v[24:25]
	s_delay_alu instid0(VALU_DEP_1) | instskip(NEXT) | instid1(VALU_DEP_1)
	v_fmac_f64_e32 v[14:15], 0x3ff921fb54442d18, v[10:11]
	v_add_f64_e32 v[10:11], v[22:23], v[14:15]
	s_delay_alu instid0(VALU_DEP_1) | instskip(NEXT) | instid1(VALU_DEP_1)
	v_add_f64_e64 v[20:21], v[10:11], -v[22:23]
	v_add_f64_e64 v[14:15], v[14:15], -v[20:21]
.LBB1_42:
	s_and_not1_saveexec_b32 s0, s2
	s_cbranch_execz .LBB1_44
; %bb.43:
	s_mov_b64 s[2:3], 0x3fe45f306dc9c883
	s_delay_alu instid0(SALU_CYCLE_1) | instskip(SKIP_1) | instid1(VALU_DEP_1)
	v_mul_f64_e64 v[10:11], |v[6:7]|, s[2:3]
	s_mov_b64 s[2:3], 0xbff921fb54442d18
	v_rndne_f64_e32 v[16:17], v[10:11]
	s_delay_alu instid0(VALU_DEP_1) | instskip(SKIP_1) | instid1(VALU_DEP_2)
	v_fma_f64 v[10:11], v[16:17], s[2:3], |v[6:7]|
	v_mul_f64_e32 v[14:15], 0xbc91a62633145c00, v[16:17]
	v_fmamk_f64 v[24:25], v[16:17], 0xbc91a62633145c00, v[10:11]
	s_delay_alu instid0(VALU_DEP_2) | instskip(NEXT) | instid1(VALU_DEP_1)
	v_add_f64_e32 v[20:21], v[10:11], v[14:15]
	v_add_f64_e64 v[22:23], v[10:11], -v[20:21]
	s_delay_alu instid0(VALU_DEP_3) | instskip(NEXT) | instid1(VALU_DEP_2)
	v_add_f64_e64 v[10:11], v[20:21], -v[24:25]
	v_add_f64_e32 v[20:21], v[22:23], v[14:15]
	v_fmamk_f64 v[14:15], v[16:17], 0x3c91a62633145c00, v[14:15]
	s_delay_alu instid0(VALU_DEP_2) | instskip(NEXT) | instid1(VALU_DEP_1)
	v_add_f64_e32 v[10:11], v[10:11], v[20:21]
	v_add_f64_e64 v[10:11], v[10:11], -v[14:15]
	s_delay_alu instid0(VALU_DEP_1) | instskip(SKIP_1) | instid1(VALU_DEP_2)
	v_fmamk_f64 v[14:15], v[16:17], 0xb97b839a252049c0, v[10:11]
	v_cvt_i32_f64_e32 v16, v[16:17]
	v_add_f64_e32 v[10:11], v[24:25], v[14:15]
	s_delay_alu instid0(VALU_DEP_1) | instskip(NEXT) | instid1(VALU_DEP_1)
	v_add_f64_e64 v[20:21], v[10:11], -v[24:25]
	v_add_f64_e64 v[14:15], v[14:15], -v[20:21]
.LBB1_44:
	s_or_b32 exec_lo, exec_lo, s0
	s_delay_alu instid0(VALU_DEP_4) | instskip(NEXT) | instid1(VALU_DEP_2)
	v_dual_mul_f64 v[20:21], v[10:11], v[10:11] :: v_dual_bitop2_b32 v17, 1, v16 bitop3:0x40
	v_dual_mul_f64 v[28:29], 0.5, v[14:15] :: v_dual_lshlrev_b32 v16, 30, v16
	s_mov_b64 s[2:3], 0x3de5e0b2f9a43bb8
	s_delay_alu instid0(VALU_DEP_2) | instskip(NEXT) | instid1(VALU_DEP_2)
	v_cmp_eq_u32_e64 s0, 0, v17
	v_dual_mul_f64 v[22:23], 0.5, v[20:21] :: v_dual_bitop2_b32 v16, v16, v7 bitop3:0x14
	v_mul_f64_e64 v[30:31], v[10:11], -v[20:21]
	v_fmaak_f64 v[32:33], s[2:3], v[20:21], 0xbe5ae600b42fdfa7
	s_mov_b64 s[2:3], 0xbda907db46cc5e42
	s_delay_alu instid0(VALU_DEP_3) | instskip(NEXT) | instid1(VALU_DEP_1)
	v_add_f64_e64 v[24:25], -v[22:23], 1.0
	v_add_f64_e64 v[26:27], -v[24:25], 1.0
	s_delay_alu instid0(VALU_DEP_1) | instskip(NEXT) | instid1(VALU_DEP_4)
	v_add_f64_e64 v[22:23], v[26:27], -v[22:23]
	v_fmaak_f64 v[26:27], v[20:21], v[32:33], 0x3ec71de3796cde01
	s_delay_alu instid0(VALU_DEP_1) | instskip(NEXT) | instid1(VALU_DEP_1)
	v_fmaak_f64 v[26:27], v[20:21], v[26:27], 0xbf2a01a019e83e5c
	v_fmaak_f64 v[26:27], v[20:21], v[26:27], 0x3f81111111110bb3
	s_delay_alu instid0(VALU_DEP_1) | instskip(SKIP_1) | instid1(VALU_DEP_1)
	v_fmac_f64_e32 v[28:29], v[30:31], v[26:27]
	v_fmaak_f64 v[26:27], s[2:3], v[20:21], 0x3e21eeb69037ab78
	v_fmaak_f64 v[26:27], v[20:21], v[26:27], 0xbe927e4fa17f65f6
	v_fma_f64 v[22:23], v[10:11], -v[14:15], v[22:23]
	s_delay_alu instid0(VALU_DEP_2) | instskip(NEXT) | instid1(VALU_DEP_1)
	v_fmaak_f64 v[26:27], v[20:21], v[26:27], 0x3efa01a019f4ec90
	v_fmaak_f64 v[26:27], v[20:21], v[26:27], 0xbf56c16c16c16967
	v_fma_f64 v[14:15], v[20:21], v[28:29], -v[14:15]
	s_delay_alu instid0(VALU_DEP_1) | instskip(NEXT) | instid1(VALU_DEP_1)
	v_fmamk_f64 v[14:15], v[30:31], 0xbfc5555555555555, v[14:15]
	v_add_f64_e64 v[10:11], v[10:11], -v[14:15]
	v_mul_f64_e32 v[32:33], v[20:21], v[20:21]
	v_fmaak_f64 v[20:21], v[20:21], v[26:27], 0x3fa5555555555555
	s_delay_alu instid0(VALU_DEP_1) | instskip(NEXT) | instid1(VALU_DEP_1)
	v_fmac_f64_e32 v[22:23], v[32:33], v[20:21]
	v_add_f64_e32 v[14:15], v[24:25], v[22:23]
	s_delay_alu instid0(VALU_DEP_1) | instskip(SKIP_1) | instid1(VALU_DEP_2)
	v_dual_cndmask_b32 v10, v14, v10, s0 :: v_dual_cndmask_b32 v11, v15, v11, s0
	v_cmp_class_f64_e64 s0, v[6:7], 0x1f8
	v_bitop3_b32 v11, v11, v16, 0x80000000 bitop3:0x78
	s_delay_alu instid0(VALU_DEP_1) | instskip(NEXT) | instid1(VALU_DEP_4)
	v_cndmask_b32_e64 v11, 0x7ff80000, v11, s0
	v_cndmask_b32_e64 v10, 0, v10, s0
.LBB1_45:
	s_or_b32 exec_lo, exec_lo, s1
	v_or_b32_e32 v6, 0x300, v0
	s_mov_b32 s1, exec_lo
	s_delay_alu instid0(VALU_DEP_1)
	v_cmpx_gt_i32_e64 s7, v6
	s_cbranch_execnz .LBB1_52
; %bb.46:
	s_or_b32 exec_lo, exec_lo, s1
	s_and_saveexec_b32 s0, vcc_lo
	s_delay_alu instid0(SALU_CYCLE_1)
	s_xor_b32 s0, exec_lo, s0
	s_cbranch_execnz .LBB1_57
.LBB1_47:
	s_or_b32 exec_lo, exec_lo, s0
	s_delay_alu instid0(SALU_CYCLE_1)
	s_mov_b32 s0, exec_lo
	v_cmpx_gt_i32_e64 s7, v0
	s_cbranch_execnz .LBB1_58
.LBB1_48:
	s_or_b32 exec_lo, exec_lo, s0
	s_delay_alu instid0(SALU_CYCLE_1)
	s_mov_b32 s0, exec_lo
	v_cmpx_gt_i32_e64 s7, v0
	s_cbranch_execnz .LBB1_59
.LBB1_49:
	s_or_b32 exec_lo, exec_lo, s0
	s_delay_alu instid0(SALU_CYCLE_1)
	s_mov_b32 s0, exec_lo
	v_cmpx_gt_i32_e64 s7, v0
	s_cbranch_execz .LBB1_51
.LBB1_50:
	v_add_nc_u32_e32 v0, s12, v0
	global_store_b64 v0, v[8:9], s[8:9] scale_offset
.LBB1_51:
	s_sendmsg sendmsg(MSG_DEALLOC_VGPRS)
	s_endpgm
.LBB1_52:
	s_mov_b32 s2, exec_lo
                                        ; implicit-def: $vgpr14
                                        ; implicit-def: $vgpr6_vgpr7
                                        ; implicit-def: $vgpr8_vgpr9
	v_cmpx_ngt_f64_e64 0x41d00000, |v[2:3]|
	s_xor_b32 s2, exec_lo, s2
	s_cbranch_execz .LBB1_54
; %bb.53:
	v_ldexp_f64 v[6:7], |v[2:3]|, 0xffffff80
	v_cmp_le_f64_e64 s0, 0x7b000000, |v[2:3]|
	v_trig_preop_f64 v[8:9], |v[2:3]|, 0
	v_and_b32_e32 v14, 0x7fffffff, v3
	v_trig_preop_f64 v[26:27], |v[2:3]|, 2
	s_mov_b64 s[4:5], 0x3ff921fb54442d18
	s_delay_alu instid0(VALU_DEP_2) | instskip(SKIP_2) | instid1(VALU_DEP_2)
	v_dual_mov_b32 v34, 0 :: v_dual_cndmask_b32 v7, v14, v7, s0
	v_cndmask_b32_e64 v6, v2, v6, s0
	v_trig_preop_f64 v[14:15], |v[2:3]|, 1
	v_mul_f64_e32 v[16:17], v[8:9], v[6:7]
	s_delay_alu instid0(VALU_DEP_2) | instskip(NEXT) | instid1(VALU_DEP_2)
	v_mul_f64_e32 v[20:21], v[14:15], v[6:7]
	v_fma_f64 v[8:9], v[8:9], v[6:7], -v[16:17]
	s_delay_alu instid0(VALU_DEP_1) | instskip(NEXT) | instid1(VALU_DEP_1)
	v_add_f64_e32 v[22:23], v[20:21], v[8:9]
	v_add_f64_e64 v[24:25], v[22:23], -v[20:21]
	v_add_f64_e32 v[30:31], v[16:17], v[22:23]
	s_delay_alu instid0(VALU_DEP_2) | instskip(SKIP_2) | instid1(VALU_DEP_4)
	v_add_f64_e64 v[28:29], v[22:23], -v[24:25]
	v_add_f64_e64 v[8:9], v[8:9], -v[24:25]
	v_fma_f64 v[14:15], v[14:15], v[6:7], -v[20:21]
	v_ldexp_f64 v[24:25], v[30:31], -2
	v_mul_f64_e32 v[32:33], v[26:27], v[6:7]
	v_add_f64_e64 v[20:21], v[20:21], -v[28:29]
	s_delay_alu instid0(VALU_DEP_3) | instskip(NEXT) | instid1(VALU_DEP_3)
	v_cmp_neq_f64_e64 s0, 0x7ff00000, |v[24:25]|
	v_add_f64_e32 v[28:29], v[32:33], v[14:15]
	v_fma_f64 v[6:7], v[26:27], v[6:7], -v[32:33]
	s_delay_alu instid0(VALU_DEP_4) | instskip(SKIP_1) | instid1(VALU_DEP_1)
	v_add_f64_e32 v[8:9], v[8:9], v[20:21]
	v_fract_f64_e32 v[20:21], v[24:25]
	v_ldexp_f64 v[20:21], v[20:21], 2
	s_delay_alu instid0(VALU_DEP_1) | instskip(SKIP_1) | instid1(VALU_DEP_3)
	v_cndmask_b32_e64 v21, 0, v21, s0
	v_add_f64_e64 v[16:17], v[30:31], -v[16:17]
	v_cndmask_b32_e64 v20, 0, v20, s0
	s_delay_alu instid0(VALU_DEP_2) | instskip(SKIP_1) | instid1(VALU_DEP_1)
	v_add_f64_e64 v[16:17], v[22:23], -v[16:17]
	v_add_f64_e32 v[22:23], v[28:29], v[8:9]
	v_add_f64_e32 v[24:25], v[16:17], v[22:23]
	v_add_f64_e64 v[36:37], v[22:23], -v[28:29]
	s_delay_alu instid0(VALU_DEP_2) | instskip(NEXT) | instid1(VALU_DEP_2)
	v_add_f64_e32 v[30:31], v[24:25], v[20:21]
	v_add_f64_e64 v[42:43], v[22:23], -v[36:37]
	v_add_f64_e64 v[8:9], v[8:9], -v[36:37]
	;; [unrolled: 1-line block ×3, first 2 shown]
	s_delay_alu instid0(VALU_DEP_4) | instskip(SKIP_1) | instid1(VALU_DEP_2)
	v_cmp_gt_f64_e64 s0, 0, v[30:31]
	v_add_f64_e64 v[30:31], v[28:29], -v[32:33]
	v_cndmask_b32_e64 v35, 0, 0x40100000, s0
	s_delay_alu instid0(VALU_DEP_2) | instskip(SKIP_2) | instid1(VALU_DEP_4)
	v_add_f64_e64 v[40:41], v[28:29], -v[30:31]
	v_add_f64_e64 v[14:15], v[14:15], -v[30:31]
	;; [unrolled: 1-line block ×3, first 2 shown]
	v_add_f64_e32 v[20:21], v[20:21], v[34:35]
	s_delay_alu instid0(VALU_DEP_4) | instskip(NEXT) | instid1(VALU_DEP_3)
	v_add_f64_e64 v[30:31], v[32:33], -v[40:41]
	v_add_f64_e32 v[8:9], v[8:9], v[28:29]
	s_delay_alu instid0(VALU_DEP_3) | instskip(NEXT) | instid1(VALU_DEP_3)
	v_add_f64_e32 v[38:39], v[24:25], v[20:21]
	v_add_f64_e32 v[14:15], v[14:15], v[30:31]
	s_delay_alu instid0(VALU_DEP_2) | instskip(NEXT) | instid1(VALU_DEP_2)
	v_cvt_i32_f64_e32 v19, v[38:39]
	v_add_f64_e32 v[8:9], v[14:15], v[8:9]
	v_add_f64_e64 v[14:15], v[22:23], -v[16:17]
	s_delay_alu instid0(VALU_DEP_3) | instskip(NEXT) | instid1(VALU_DEP_3)
	v_cvt_f64_i32_e32 v[36:37], v19
	v_add_f64_e32 v[6:7], v[6:7], v[8:9]
	s_delay_alu instid0(VALU_DEP_2) | instskip(NEXT) | instid1(VALU_DEP_2)
	v_add_f64_e64 v[20:21], v[20:21], -v[36:37]
	v_add_f64_e32 v[6:7], v[14:15], v[6:7]
	s_delay_alu instid0(VALU_DEP_2) | instskip(NEXT) | instid1(VALU_DEP_1)
	v_add_f64_e32 v[26:27], v[24:25], v[20:21]
	v_add_f64_e64 v[8:9], v[26:27], -v[20:21]
	v_cmp_le_f64_e64 s0, 0.5, v[26:27]
	s_delay_alu instid0(VALU_DEP_2) | instskip(NEXT) | instid1(VALU_DEP_2)
	v_add_f64_e64 v[8:9], v[24:25], -v[8:9]
	v_cndmask_b32_e64 v35, 0, 0x3ff00000, s0
	v_add_co_ci_u32_e64 v14, null, 0, v19, s0
	s_delay_alu instid0(VALU_DEP_3) | instskip(NEXT) | instid1(VALU_DEP_3)
	v_add_f64_e32 v[6:7], v[6:7], v[8:9]
	v_add_f64_e64 v[8:9], v[26:27], -v[34:35]
	s_delay_alu instid0(VALU_DEP_1) | instskip(NEXT) | instid1(VALU_DEP_1)
	v_add_f64_e32 v[16:17], v[8:9], v[6:7]
	v_mul_f64_e32 v[20:21], 0x3ff921fb54442d18, v[16:17]
	v_add_f64_e64 v[8:9], v[16:17], -v[8:9]
	s_delay_alu instid0(VALU_DEP_2) | instskip(NEXT) | instid1(VALU_DEP_2)
	v_fma_f64 v[22:23], v[16:17], s[4:5], -v[20:21]
	v_add_f64_e64 v[6:7], v[6:7], -v[8:9]
	s_delay_alu instid0(VALU_DEP_2) | instskip(NEXT) | instid1(VALU_DEP_1)
	v_fmamk_f64 v[8:9], v[16:17], 0x3c91a62633145c07, v[22:23]
	v_fmac_f64_e32 v[8:9], 0x3ff921fb54442d18, v[6:7]
	s_delay_alu instid0(VALU_DEP_1) | instskip(NEXT) | instid1(VALU_DEP_1)
	v_add_f64_e32 v[6:7], v[20:21], v[8:9]
	v_add_f64_e64 v[16:17], v[6:7], -v[20:21]
	s_delay_alu instid0(VALU_DEP_1)
	v_add_f64_e64 v[8:9], v[8:9], -v[16:17]
.LBB1_54:
	s_and_not1_saveexec_b32 s0, s2
	s_cbranch_execz .LBB1_56
; %bb.55:
	s_mov_b64 s[2:3], 0x3fe45f306dc9c883
	s_delay_alu instid0(SALU_CYCLE_1) | instskip(SKIP_1) | instid1(VALU_DEP_1)
	v_mul_f64_e64 v[6:7], |v[2:3]|, s[2:3]
	s_mov_b64 s[2:3], 0xbff921fb54442d18
	v_rndne_f64_e32 v[14:15], v[6:7]
	s_delay_alu instid0(VALU_DEP_1) | instskip(SKIP_1) | instid1(VALU_DEP_2)
	v_fma_f64 v[6:7], v[14:15], s[2:3], |v[2:3]|
	v_mul_f64_e32 v[8:9], 0xbc91a62633145c00, v[14:15]
	v_fmamk_f64 v[22:23], v[14:15], 0xbc91a62633145c00, v[6:7]
	s_delay_alu instid0(VALU_DEP_2) | instskip(NEXT) | instid1(VALU_DEP_1)
	v_add_f64_e32 v[16:17], v[6:7], v[8:9]
	v_add_f64_e64 v[20:21], v[6:7], -v[16:17]
	s_delay_alu instid0(VALU_DEP_3) | instskip(NEXT) | instid1(VALU_DEP_2)
	v_add_f64_e64 v[6:7], v[16:17], -v[22:23]
	v_add_f64_e32 v[16:17], v[20:21], v[8:9]
	v_fmamk_f64 v[8:9], v[14:15], 0x3c91a62633145c00, v[8:9]
	s_delay_alu instid0(VALU_DEP_2) | instskip(NEXT) | instid1(VALU_DEP_1)
	v_add_f64_e32 v[6:7], v[6:7], v[16:17]
	v_add_f64_e64 v[6:7], v[6:7], -v[8:9]
	s_delay_alu instid0(VALU_DEP_1) | instskip(SKIP_1) | instid1(VALU_DEP_2)
	v_fmamk_f64 v[8:9], v[14:15], 0xb97b839a252049c0, v[6:7]
	v_cvt_i32_f64_e32 v14, v[14:15]
	v_add_f64_e32 v[6:7], v[22:23], v[8:9]
	s_delay_alu instid0(VALU_DEP_1) | instskip(NEXT) | instid1(VALU_DEP_1)
	v_add_f64_e64 v[16:17], v[6:7], -v[22:23]
	v_add_f64_e64 v[8:9], v[8:9], -v[16:17]
.LBB1_56:
	s_or_b32 exec_lo, exec_lo, s0
	v_mul_f64_e32 v[16:17], v[6:7], v[6:7]
	s_delay_alu instid0(VALU_DEP_2) | instskip(SKIP_2) | instid1(VALU_DEP_1)
	v_mul_f64_e32 v[26:27], 0.5, v[8:9]
	s_mov_b64 s[2:3], 0x3de5e0b2f9a43bb8
	v_dual_lshlrev_b32 v14, 30, v14 :: v_dual_bitop2_b32 v15, 1, v14 bitop3:0x40
	v_cmp_eq_u32_e64 s0, 0, v15
	s_delay_alu instid0(VALU_DEP_2) | instskip(SKIP_3) | instid1(VALU_DEP_3)
	v_dual_mul_f64 v[20:21], 0.5, v[16:17] :: v_dual_bitop2_b32 v14, v14, v3 bitop3:0x14
	v_mul_f64_e64 v[28:29], v[6:7], -v[16:17]
	v_fmaak_f64 v[30:31], s[2:3], v[16:17], 0xbe5ae600b42fdfa7
	s_mov_b64 s[2:3], 0xbda907db46cc5e42
	v_add_f64_e64 v[22:23], -v[20:21], 1.0
	s_delay_alu instid0(VALU_DEP_1) | instskip(NEXT) | instid1(VALU_DEP_1)
	v_add_f64_e64 v[24:25], -v[22:23], 1.0
	v_add_f64_e64 v[20:21], v[24:25], -v[20:21]
	s_delay_alu instid0(VALU_DEP_4) | instskip(SKIP_1) | instid1(VALU_DEP_2)
	v_fmaak_f64 v[24:25], v[16:17], v[30:31], 0x3ec71de3796cde01
	v_mul_f64_e32 v[30:31], v[16:17], v[16:17]
	v_fmaak_f64 v[24:25], v[16:17], v[24:25], 0xbf2a01a019e83e5c
	s_delay_alu instid0(VALU_DEP_1) | instskip(NEXT) | instid1(VALU_DEP_1)
	v_fmaak_f64 v[24:25], v[16:17], v[24:25], 0x3f81111111110bb3
	v_fmac_f64_e32 v[26:27], v[28:29], v[24:25]
	v_fmaak_f64 v[24:25], s[2:3], v[16:17], 0x3e21eeb69037ab78
	s_delay_alu instid0(VALU_DEP_1) | instskip(SKIP_1) | instid1(VALU_DEP_2)
	v_fmaak_f64 v[24:25], v[16:17], v[24:25], 0xbe927e4fa17f65f6
	v_fma_f64 v[20:21], v[6:7], -v[8:9], v[20:21]
	v_fmaak_f64 v[24:25], v[16:17], v[24:25], 0x3efa01a019f4ec90
	s_delay_alu instid0(VALU_DEP_1) | instskip(SKIP_1) | instid1(VALU_DEP_2)
	v_fmaak_f64 v[24:25], v[16:17], v[24:25], 0xbf56c16c16c16967
	v_fma_f64 v[8:9], v[16:17], v[26:27], -v[8:9]
	v_fmaak_f64 v[16:17], v[16:17], v[24:25], 0x3fa5555555555555
	s_delay_alu instid0(VALU_DEP_1) | instskip(NEXT) | instid1(VALU_DEP_3)
	v_fmac_f64_e32 v[20:21], v[30:31], v[16:17]
	v_fmamk_f64 v[8:9], v[28:29], 0xbfc5555555555555, v[8:9]
	s_delay_alu instid0(VALU_DEP_1) | instskip(NEXT) | instid1(VALU_DEP_3)
	v_add_f64_e64 v[6:7], v[6:7], -v[8:9]
	v_add_f64_e32 v[8:9], v[22:23], v[20:21]
	s_delay_alu instid0(VALU_DEP_1) | instskip(SKIP_1) | instid1(VALU_DEP_2)
	v_dual_cndmask_b32 v6, v8, v6, s0 :: v_dual_cndmask_b32 v7, v9, v7, s0
	v_cmp_class_f64_e64 s0, v[2:3], 0x1f8
	v_bitop3_b32 v7, v7, v14, 0x80000000 bitop3:0x78
	s_delay_alu instid0(VALU_DEP_1) | instskip(NEXT) | instid1(VALU_DEP_4)
	v_cndmask_b32_e64 v9, 0x7ff80000, v7, s0
	v_cndmask_b32_e64 v8, 0, v6, s0
	s_or_b32 exec_lo, exec_lo, s1
	s_and_saveexec_b32 s0, vcc_lo
	s_delay_alu instid0(SALU_CYCLE_1)
	s_xor_b32 s0, exec_lo, s0
	s_cbranch_execz .LBB1_47
.LBB1_57:
	v_mov_b32_e32 v0, v18
	global_store_b64 v1, v[4:5], s[8:9] scale_offset
	s_wait_xcnt 0x0
	s_or_b32 exec_lo, exec_lo, s0
	s_delay_alu instid0(SALU_CYCLE_1)
	s_mov_b32 s0, exec_lo
	v_cmpx_gt_i32_e64 s7, v0
	s_cbranch_execz .LBB1_48
.LBB1_58:
	v_add_nc_u32_e32 v1, s12, v0
	v_add_nc_u32_e32 v0, 0x100, v0
	global_store_b64 v1, v[12:13], s[8:9] scale_offset
	s_wait_xcnt 0x0
	s_or_b32 exec_lo, exec_lo, s0
	s_delay_alu instid0(SALU_CYCLE_1)
	s_mov_b32 s0, exec_lo
	v_cmpx_gt_i32_e64 s7, v0
	s_cbranch_execz .LBB1_49
.LBB1_59:
	v_add_nc_u32_e32 v1, s12, v0
	v_add_nc_u32_e32 v0, 0x100, v0
	global_store_b64 v1, v[10:11], s[8:9] scale_offset
	s_wait_xcnt 0x0
	s_or_b32 exec_lo, exec_lo, s0
	s_delay_alu instid0(SALU_CYCLE_1)
	s_mov_b32 s0, exec_lo
	v_cmpx_gt_i32_e64 s7, v0
	s_cbranch_execnz .LBB1_50
	s_branch .LBB1_51
	.section	.rodata,"a",@progbits
	.p2align	6, 0x0
	.amdhsa_kernel _ZN2at6native29vectorized_elementwise_kernelILi8EZZZNS0_15sin_kernel_cudaERNS_18TensorIteratorBaseEENKUlvE0_clEvENKUlvE_clEvEUldE_St5arrayIPcLm2EEEEviT0_T1_
		.amdhsa_group_segment_fixed_size 0
		.amdhsa_private_segment_fixed_size 0
		.amdhsa_kernarg_size 24
		.amdhsa_user_sgpr_count 2
		.amdhsa_user_sgpr_dispatch_ptr 0
		.amdhsa_user_sgpr_queue_ptr 0
		.amdhsa_user_sgpr_kernarg_segment_ptr 1
		.amdhsa_user_sgpr_dispatch_id 0
		.amdhsa_user_sgpr_kernarg_preload_length 0
		.amdhsa_user_sgpr_kernarg_preload_offset 0
		.amdhsa_user_sgpr_private_segment_size 0
		.amdhsa_wavefront_size32 1
		.amdhsa_uses_dynamic_stack 0
		.amdhsa_enable_private_segment 0
		.amdhsa_system_sgpr_workgroup_id_x 1
		.amdhsa_system_sgpr_workgroup_id_y 0
		.amdhsa_system_sgpr_workgroup_id_z 0
		.amdhsa_system_sgpr_workgroup_info 0
		.amdhsa_system_vgpr_workitem_id 0
		.amdhsa_next_free_vgpr 68
		.amdhsa_next_free_sgpr 16
		.amdhsa_named_barrier_count 0
		.amdhsa_reserve_vcc 1
		.amdhsa_float_round_mode_32 0
		.amdhsa_float_round_mode_16_64 0
		.amdhsa_float_denorm_mode_32 3
		.amdhsa_float_denorm_mode_16_64 3
		.amdhsa_fp16_overflow 0
		.amdhsa_memory_ordered 1
		.amdhsa_forward_progress 1
		.amdhsa_inst_pref_size 81
		.amdhsa_round_robin_scheduling 0
		.amdhsa_exception_fp_ieee_invalid_op 0
		.amdhsa_exception_fp_denorm_src 0
		.amdhsa_exception_fp_ieee_div_zero 0
		.amdhsa_exception_fp_ieee_overflow 0
		.amdhsa_exception_fp_ieee_underflow 0
		.amdhsa_exception_fp_ieee_inexact 0
		.amdhsa_exception_int_div_zero 0
	.end_amdhsa_kernel
	.section	.text._ZN2at6native29vectorized_elementwise_kernelILi8EZZZNS0_15sin_kernel_cudaERNS_18TensorIteratorBaseEENKUlvE0_clEvENKUlvE_clEvEUldE_St5arrayIPcLm2EEEEviT0_T1_,"axG",@progbits,_ZN2at6native29vectorized_elementwise_kernelILi8EZZZNS0_15sin_kernel_cudaERNS_18TensorIteratorBaseEENKUlvE0_clEvENKUlvE_clEvEUldE_St5arrayIPcLm2EEEEviT0_T1_,comdat
.Lfunc_end1:
	.size	_ZN2at6native29vectorized_elementwise_kernelILi8EZZZNS0_15sin_kernel_cudaERNS_18TensorIteratorBaseEENKUlvE0_clEvENKUlvE_clEvEUldE_St5arrayIPcLm2EEEEviT0_T1_, .Lfunc_end1-_ZN2at6native29vectorized_elementwise_kernelILi8EZZZNS0_15sin_kernel_cudaERNS_18TensorIteratorBaseEENKUlvE0_clEvENKUlvE_clEvEUldE_St5arrayIPcLm2EEEEviT0_T1_
                                        ; -- End function
	.set _ZN2at6native29vectorized_elementwise_kernelILi8EZZZNS0_15sin_kernel_cudaERNS_18TensorIteratorBaseEENKUlvE0_clEvENKUlvE_clEvEUldE_St5arrayIPcLm2EEEEviT0_T1_.num_vgpr, 68
	.set _ZN2at6native29vectorized_elementwise_kernelILi8EZZZNS0_15sin_kernel_cudaERNS_18TensorIteratorBaseEENKUlvE0_clEvENKUlvE_clEvEUldE_St5arrayIPcLm2EEEEviT0_T1_.num_agpr, 0
	.set _ZN2at6native29vectorized_elementwise_kernelILi8EZZZNS0_15sin_kernel_cudaERNS_18TensorIteratorBaseEENKUlvE0_clEvENKUlvE_clEvEUldE_St5arrayIPcLm2EEEEviT0_T1_.numbered_sgpr, 16
	.set _ZN2at6native29vectorized_elementwise_kernelILi8EZZZNS0_15sin_kernel_cudaERNS_18TensorIteratorBaseEENKUlvE0_clEvENKUlvE_clEvEUldE_St5arrayIPcLm2EEEEviT0_T1_.num_named_barrier, 0
	.set _ZN2at6native29vectorized_elementwise_kernelILi8EZZZNS0_15sin_kernel_cudaERNS_18TensorIteratorBaseEENKUlvE0_clEvENKUlvE_clEvEUldE_St5arrayIPcLm2EEEEviT0_T1_.private_seg_size, 0
	.set _ZN2at6native29vectorized_elementwise_kernelILi8EZZZNS0_15sin_kernel_cudaERNS_18TensorIteratorBaseEENKUlvE0_clEvENKUlvE_clEvEUldE_St5arrayIPcLm2EEEEviT0_T1_.uses_vcc, 1
	.set _ZN2at6native29vectorized_elementwise_kernelILi8EZZZNS0_15sin_kernel_cudaERNS_18TensorIteratorBaseEENKUlvE0_clEvENKUlvE_clEvEUldE_St5arrayIPcLm2EEEEviT0_T1_.uses_flat_scratch, 0
	.set _ZN2at6native29vectorized_elementwise_kernelILi8EZZZNS0_15sin_kernel_cudaERNS_18TensorIteratorBaseEENKUlvE0_clEvENKUlvE_clEvEUldE_St5arrayIPcLm2EEEEviT0_T1_.has_dyn_sized_stack, 0
	.set _ZN2at6native29vectorized_elementwise_kernelILi8EZZZNS0_15sin_kernel_cudaERNS_18TensorIteratorBaseEENKUlvE0_clEvENKUlvE_clEvEUldE_St5arrayIPcLm2EEEEviT0_T1_.has_recursion, 0
	.set _ZN2at6native29vectorized_elementwise_kernelILi8EZZZNS0_15sin_kernel_cudaERNS_18TensorIteratorBaseEENKUlvE0_clEvENKUlvE_clEvEUldE_St5arrayIPcLm2EEEEviT0_T1_.has_indirect_call, 0
	.section	.AMDGPU.csdata,"",@progbits
; Kernel info:
; codeLenInByte = 10324
; TotalNumSgprs: 18
; NumVgprs: 68
; ScratchSize: 0
; MemoryBound: 1
; FloatMode: 240
; IeeeMode: 1
; LDSByteSize: 0 bytes/workgroup (compile time only)
; SGPRBlocks: 0
; VGPRBlocks: 4
; NumSGPRsForWavesPerEU: 18
; NumVGPRsForWavesPerEU: 68
; NamedBarCnt: 0
; Occupancy: 12
; WaveLimiterHint : 0
; COMPUTE_PGM_RSRC2:SCRATCH_EN: 0
; COMPUTE_PGM_RSRC2:USER_SGPR: 2
; COMPUTE_PGM_RSRC2:TRAP_HANDLER: 0
; COMPUTE_PGM_RSRC2:TGID_X_EN: 1
; COMPUTE_PGM_RSRC2:TGID_Y_EN: 0
; COMPUTE_PGM_RSRC2:TGID_Z_EN: 0
; COMPUTE_PGM_RSRC2:TIDIG_COMP_CNT: 0
	.section	.text._ZN2at6native29vectorized_elementwise_kernelILi4EZZZNS0_15sin_kernel_cudaERNS_18TensorIteratorBaseEENKUlvE0_clEvENKUlvE_clEvEUldE_St5arrayIPcLm2EEEEviT0_T1_,"axG",@progbits,_ZN2at6native29vectorized_elementwise_kernelILi4EZZZNS0_15sin_kernel_cudaERNS_18TensorIteratorBaseEENKUlvE0_clEvENKUlvE_clEvEUldE_St5arrayIPcLm2EEEEviT0_T1_,comdat
	.globl	_ZN2at6native29vectorized_elementwise_kernelILi4EZZZNS0_15sin_kernel_cudaERNS_18TensorIteratorBaseEENKUlvE0_clEvENKUlvE_clEvEUldE_St5arrayIPcLm2EEEEviT0_T1_ ; -- Begin function _ZN2at6native29vectorized_elementwise_kernelILi4EZZZNS0_15sin_kernel_cudaERNS_18TensorIteratorBaseEENKUlvE0_clEvENKUlvE_clEvEUldE_St5arrayIPcLm2EEEEviT0_T1_
	.p2align	8
	.type	_ZN2at6native29vectorized_elementwise_kernelILi4EZZZNS0_15sin_kernel_cudaERNS_18TensorIteratorBaseEENKUlvE0_clEvENKUlvE_clEvEUldE_St5arrayIPcLm2EEEEviT0_T1_,@function
_ZN2at6native29vectorized_elementwise_kernelILi4EZZZNS0_15sin_kernel_cudaERNS_18TensorIteratorBaseEENKUlvE0_clEvENKUlvE_clEvEUldE_St5arrayIPcLm2EEEEviT0_T1_: ; @_ZN2at6native29vectorized_elementwise_kernelILi4EZZZNS0_15sin_kernel_cudaERNS_18TensorIteratorBaseEENKUlvE0_clEvENKUlvE_clEvEUldE_St5arrayIPcLm2EEEEviT0_T1_
; %bb.0:
	s_clause 0x1
	s_load_b32 s2, s[0:1], 0x0
	s_load_b128 s[8:11], s[0:1], 0x8
	s_wait_xcnt 0x0
	s_bfe_u32 s0, ttmp6, 0x4000c
	s_and_b32 s1, ttmp6, 15
	s_add_co_i32 s0, s0, 1
	s_getreg_b32 s3, hwreg(HW_REG_IB_STS2, 6, 4)
	s_mul_i32 s0, ttmp9, s0
	s_delay_alu instid0(SALU_CYCLE_1) | instskip(SKIP_2) | instid1(SALU_CYCLE_1)
	s_add_co_i32 s1, s1, s0
	s_cmp_eq_u32 s3, 0
	s_cselect_b32 s0, ttmp9, s1
	s_lshl_b32 s12, s0, 10
	s_mov_b32 s0, -1
	s_wait_kmcnt 0x0
	s_sub_co_i32 s7, s2, s12
	s_delay_alu instid0(SALU_CYCLE_1)
	s_cmp_gt_i32 s7, 0x3ff
	s_cbranch_scc0 .LBB2_18
; %bb.1:
	s_ashr_i32 s13, s12, 31
	v_dual_mov_b32 v14, 0 :: v_dual_lshlrev_b32 v1, 5, v0
	s_lshl_b64 s[14:15], s[12:13], 3
                                        ; implicit-def: $vgpr26
                                        ; implicit-def: $vgpr10_vgpr11
                                        ; implicit-def: $vgpr12_vgpr13
	s_delay_alu instid0(SALU_CYCLE_1)
	s_add_nc_u64 s[0:1], s[10:11], s[14:15]
	s_clause 0x1
	global_load_b128 v[6:9], v1, s[0:1]
	global_load_b128 v[2:5], v1, s[0:1] offset:16
	s_wait_loadcnt 0x1
	s_wait_xcnt 0x0
	v_cmp_ngt_f64_e64 s0, 0x41d00000, |v[6:7]|
	s_and_saveexec_b32 s1, s0
	s_delay_alu instid0(SALU_CYCLE_1)
	s_xor_b32 s0, exec_lo, s1
	s_cbranch_execz .LBB2_3
; %bb.2:
	v_ldexp_f64 v[10:11], |v[6:7]|, 0xffffff80
	v_cmp_le_f64_e64 vcc_lo, 0x7b000000, |v[6:7]|
	v_trig_preop_f64 v[12:13], |v[6:7]|, 0
	v_and_b32_e32 v15, 0x7fffffff, v7
	v_trig_preop_f64 v[16:17], |v[6:7]|, 1
	v_trig_preop_f64 v[26:27], |v[6:7]|, 2
	s_mov_b64 s[2:3], 0x3ff921fb54442d18
	s_delay_alu instid0(VALU_DEP_3) | instskip(NEXT) | instid1(VALU_DEP_1)
	v_dual_cndmask_b32 v11, v15, v11 :: v_dual_cndmask_b32 v10, v6, v10
	v_mul_f64_e32 v[18:19], v[12:13], v[10:11]
	s_delay_alu instid0(VALU_DEP_4) | instskip(NEXT) | instid1(VALU_DEP_4)
	v_mul_f64_e32 v[20:21], v[16:17], v[10:11]
	v_mul_f64_e32 v[32:33], v[26:27], v[10:11]
	s_delay_alu instid0(VALU_DEP_3) | instskip(NEXT) | instid1(VALU_DEP_3)
	v_fma_f64 v[12:13], v[12:13], v[10:11], -v[18:19]
	v_fma_f64 v[16:17], v[16:17], v[10:11], -v[20:21]
	s_delay_alu instid0(VALU_DEP_3) | instskip(NEXT) | instid1(VALU_DEP_3)
	v_fma_f64 v[10:11], v[26:27], v[10:11], -v[32:33]
	v_add_f64_e32 v[22:23], v[20:21], v[12:13]
	s_delay_alu instid0(VALU_DEP_1) | instskip(SKIP_1) | instid1(VALU_DEP_2)
	v_add_f64_e64 v[24:25], v[22:23], -v[20:21]
	v_add_f64_e32 v[30:31], v[18:19], v[22:23]
	v_add_f64_e64 v[28:29], v[22:23], -v[24:25]
	v_add_f64_e64 v[12:13], v[12:13], -v[24:25]
	s_delay_alu instid0(VALU_DEP_3) | instskip(NEXT) | instid1(VALU_DEP_3)
	v_ldexp_f64 v[24:25], v[30:31], -2
	v_add_f64_e64 v[20:21], v[20:21], -v[28:29]
	v_add_f64_e32 v[28:29], v[32:33], v[16:17]
	s_delay_alu instid0(VALU_DEP_3) | instskip(NEXT) | instid1(VALU_DEP_3)
	v_cmp_neq_f64_e64 vcc_lo, 0x7ff00000, |v[24:25]|
	v_add_f64_e32 v[12:13], v[12:13], v[20:21]
	v_fract_f64_e32 v[20:21], v[24:25]
	s_delay_alu instid0(VALU_DEP_1) | instskip(NEXT) | instid1(VALU_DEP_1)
	v_ldexp_f64 v[20:21], v[20:21], 2
	v_dual_add_f64 v[18:19], v[30:31], -v[18:19] :: v_dual_cndmask_b32 v21, 0, v21, vcc_lo
	s_delay_alu instid0(VALU_DEP_1) | instskip(SKIP_1) | instid1(VALU_DEP_1)
	v_dual_add_f64 v[18:19], v[22:23], -v[18:19] :: v_dual_cndmask_b32 v20, 0, v20, vcc_lo
	v_add_f64_e32 v[22:23], v[28:29], v[12:13]
	v_add_f64_e32 v[24:25], v[18:19], v[22:23]
	v_add_f64_e64 v[34:35], v[22:23], -v[28:29]
	s_delay_alu instid0(VALU_DEP_2) | instskip(NEXT) | instid1(VALU_DEP_2)
	v_add_f64_e32 v[30:31], v[24:25], v[20:21]
	v_add_f64_e64 v[40:41], v[22:23], -v[34:35]
	v_add_f64_e64 v[12:13], v[12:13], -v[34:35]
	;; [unrolled: 1-line block ×3, first 2 shown]
	s_delay_alu instid0(VALU_DEP_4) | instskip(SKIP_1) | instid1(VALU_DEP_3)
	v_cmp_gt_f64_e32 vcc_lo, 0, v[30:31]
	v_add_f64_e64 v[30:31], v[28:29], -v[32:33]
	v_add_f64_e64 v[18:19], v[22:23], -v[18:19]
	v_cndmask_b32_e64 v15, 0, 0x40100000, vcc_lo
	s_delay_alu instid0(VALU_DEP_3) | instskip(SKIP_2) | instid1(VALU_DEP_4)
	v_add_f64_e64 v[38:39], v[28:29], -v[30:31]
	v_add_f64_e64 v[16:17], v[16:17], -v[30:31]
	;; [unrolled: 1-line block ×3, first 2 shown]
	v_add_f64_e32 v[20:21], v[20:21], v[14:15]
	s_delay_alu instid0(VALU_DEP_4) | instskip(NEXT) | instid1(VALU_DEP_3)
	v_add_f64_e64 v[30:31], v[32:33], -v[38:39]
	v_add_f64_e32 v[12:13], v[12:13], v[28:29]
	s_delay_alu instid0(VALU_DEP_3) | instskip(NEXT) | instid1(VALU_DEP_3)
	v_add_f64_e32 v[36:37], v[24:25], v[20:21]
	v_add_f64_e32 v[16:17], v[16:17], v[30:31]
	s_delay_alu instid0(VALU_DEP_2) | instskip(NEXT) | instid1(VALU_DEP_2)
	v_cvt_i32_f64_e32 v15, v[36:37]
	v_add_f64_e32 v[12:13], v[16:17], v[12:13]
	s_delay_alu instid0(VALU_DEP_2) | instskip(NEXT) | instid1(VALU_DEP_2)
	v_cvt_f64_i32_e32 v[34:35], v15
	v_add_f64_e32 v[10:11], v[10:11], v[12:13]
	s_delay_alu instid0(VALU_DEP_2) | instskip(NEXT) | instid1(VALU_DEP_2)
	v_add_f64_e64 v[20:21], v[20:21], -v[34:35]
	v_add_f64_e32 v[10:11], v[18:19], v[10:11]
	s_delay_alu instid0(VALU_DEP_2) | instskip(NEXT) | instid1(VALU_DEP_1)
	v_add_f64_e32 v[16:17], v[24:25], v[20:21]
	v_add_f64_e64 v[12:13], v[16:17], -v[20:21]
	v_cmp_le_f64_e32 vcc_lo, 0.5, v[16:17]
	s_delay_alu instid0(VALU_DEP_2) | instskip(SKIP_2) | instid1(VALU_DEP_3)
	v_add_f64_e64 v[12:13], v[24:25], -v[12:13]
	v_add_co_ci_u32_e64 v26, null, 0, v15, vcc_lo
	v_cndmask_b32_e64 v15, 0, 0x3ff00000, vcc_lo
	v_add_f64_e32 v[10:11], v[10:11], v[12:13]
	s_delay_alu instid0(VALU_DEP_2) | instskip(NEXT) | instid1(VALU_DEP_1)
	v_add_f64_e64 v[12:13], v[16:17], -v[14:15]
	v_add_f64_e32 v[14:15], v[12:13], v[10:11]
	s_delay_alu instid0(VALU_DEP_1) | instskip(SKIP_1) | instid1(VALU_DEP_2)
	v_mul_f64_e32 v[16:17], 0x3ff921fb54442d18, v[14:15]
	v_add_f64_e64 v[12:13], v[14:15], -v[12:13]
	v_fma_f64 v[18:19], v[14:15], s[2:3], -v[16:17]
	s_delay_alu instid0(VALU_DEP_2) | instskip(NEXT) | instid1(VALU_DEP_2)
	v_add_f64_e64 v[10:11], v[10:11], -v[12:13]
	v_fmamk_f64 v[12:13], v[14:15], 0x3c91a62633145c07, v[18:19]
	s_delay_alu instid0(VALU_DEP_1) | instskip(NEXT) | instid1(VALU_DEP_1)
	v_fmac_f64_e32 v[12:13], 0x3ff921fb54442d18, v[10:11]
	v_add_f64_e32 v[10:11], v[16:17], v[12:13]
	s_delay_alu instid0(VALU_DEP_1) | instskip(NEXT) | instid1(VALU_DEP_1)
	v_add_f64_e64 v[14:15], v[10:11], -v[16:17]
	v_add_f64_e64 v[12:13], v[12:13], -v[14:15]
.LBB2_3:
	s_and_not1_saveexec_b32 s0, s0
	s_cbranch_execz .LBB2_5
; %bb.4:
	s_mov_b64 s[2:3], 0x3fe45f306dc9c883
	s_delay_alu instid0(SALU_CYCLE_1) | instskip(SKIP_1) | instid1(VALU_DEP_1)
	v_mul_f64_e64 v[10:11], |v[6:7]|, s[2:3]
	s_mov_b64 s[2:3], 0xbff921fb54442d18
	v_rndne_f64_e32 v[14:15], v[10:11]
	s_delay_alu instid0(VALU_DEP_1) | instskip(SKIP_2) | instid1(VALU_DEP_3)
	v_fma_f64 v[10:11], v[14:15], s[2:3], |v[6:7]|
	v_mul_f64_e32 v[12:13], 0xbc91a62633145c00, v[14:15]
	v_cvt_i32_f64_e32 v26, v[14:15]
	v_fmamk_f64 v[20:21], v[14:15], 0xbc91a62633145c00, v[10:11]
	s_delay_alu instid0(VALU_DEP_3) | instskip(NEXT) | instid1(VALU_DEP_1)
	v_add_f64_e32 v[16:17], v[10:11], v[12:13]
	v_add_f64_e64 v[18:19], v[10:11], -v[16:17]
	s_delay_alu instid0(VALU_DEP_3) | instskip(NEXT) | instid1(VALU_DEP_2)
	v_add_f64_e64 v[10:11], v[16:17], -v[20:21]
	v_add_f64_e32 v[16:17], v[18:19], v[12:13]
	v_fmamk_f64 v[12:13], v[14:15], 0x3c91a62633145c00, v[12:13]
	s_delay_alu instid0(VALU_DEP_2) | instskip(NEXT) | instid1(VALU_DEP_1)
	v_add_f64_e32 v[10:11], v[10:11], v[16:17]
	v_add_f64_e64 v[10:11], v[10:11], -v[12:13]
	s_delay_alu instid0(VALU_DEP_1) | instskip(NEXT) | instid1(VALU_DEP_1)
	v_fmamk_f64 v[12:13], v[14:15], 0xb97b839a252049c0, v[10:11]
	v_add_f64_e32 v[10:11], v[20:21], v[12:13]
	s_delay_alu instid0(VALU_DEP_1) | instskip(NEXT) | instid1(VALU_DEP_1)
	v_add_f64_e64 v[16:17], v[10:11], -v[20:21]
	v_add_f64_e64 v[12:13], v[12:13], -v[16:17]
.LBB2_5:
	s_or_b32 exec_lo, exec_lo, s0
	v_cmp_ngt_f64_e64 s0, 0x41d00000, |v[8:9]|
                                        ; implicit-def: $vgpr27
                                        ; implicit-def: $vgpr14_vgpr15
                                        ; implicit-def: $vgpr16_vgpr17
	s_and_saveexec_b32 s1, s0
	s_delay_alu instid0(SALU_CYCLE_1)
	s_xor_b32 s0, exec_lo, s1
	s_cbranch_execz .LBB2_7
; %bb.6:
	v_ldexp_f64 v[14:15], |v[8:9]|, 0xffffff80
	v_cmp_le_f64_e64 vcc_lo, 0x7b000000, |v[8:9]|
	v_trig_preop_f64 v[16:17], |v[8:9]|, 0
	v_and_b32_e32 v18, 0x7fffffff, v9
	v_trig_preop_f64 v[30:31], |v[8:9]|, 2
	s_mov_b64 s[2:3], 0x3ff921fb54442d18
	s_delay_alu instid0(VALU_DEP_2) | instskip(SKIP_2) | instid1(VALU_DEP_2)
	v_dual_mov_b32 v38, 0 :: v_dual_cndmask_b32 v15, v18, v15
	v_cndmask_b32_e32 v14, v8, v14, vcc_lo
	v_trig_preop_f64 v[18:19], |v[8:9]|, 1
	v_mul_f64_e32 v[20:21], v[16:17], v[14:15]
	v_mul_f64_e32 v[36:37], v[30:31], v[14:15]
	s_delay_alu instid0(VALU_DEP_3) | instskip(NEXT) | instid1(VALU_DEP_3)
	v_mul_f64_e32 v[22:23], v[18:19], v[14:15]
	v_fma_f64 v[16:17], v[16:17], v[14:15], -v[20:21]
	s_delay_alu instid0(VALU_DEP_2) | instskip(NEXT) | instid1(VALU_DEP_4)
	v_fma_f64 v[18:19], v[18:19], v[14:15], -v[22:23]
	v_fma_f64 v[14:15], v[30:31], v[14:15], -v[36:37]
	s_delay_alu instid0(VALU_DEP_3) | instskip(NEXT) | instid1(VALU_DEP_1)
	v_add_f64_e32 v[24:25], v[22:23], v[16:17]
	v_add_f64_e64 v[28:29], v[24:25], -v[22:23]
	v_add_f64_e32 v[34:35], v[20:21], v[24:25]
	s_delay_alu instid0(VALU_DEP_2) | instskip(SKIP_1) | instid1(VALU_DEP_3)
	v_add_f64_e64 v[32:33], v[24:25], -v[28:29]
	v_add_f64_e64 v[16:17], v[16:17], -v[28:29]
	v_ldexp_f64 v[28:29], v[34:35], -2
	v_add_f64_e64 v[20:21], v[34:35], -v[20:21]
	s_delay_alu instid0(VALU_DEP_4) | instskip(SKIP_1) | instid1(VALU_DEP_4)
	v_add_f64_e64 v[22:23], v[22:23], -v[32:33]
	v_add_f64_e32 v[32:33], v[36:37], v[18:19]
	v_cmp_neq_f64_e64 vcc_lo, 0x7ff00000, |v[28:29]|
	s_delay_alu instid0(VALU_DEP_3) | instskip(SKIP_1) | instid1(VALU_DEP_1)
	v_add_f64_e32 v[16:17], v[16:17], v[22:23]
	v_fract_f64_e32 v[22:23], v[28:29]
	v_ldexp_f64 v[22:23], v[22:23], 2
	s_delay_alu instid0(VALU_DEP_1) | instskip(NEXT) | instid1(VALU_DEP_2)
	v_dual_add_f64 v[20:21], v[24:25], -v[20:21] :: v_dual_cndmask_b32 v23, 0, v23, vcc_lo
	v_dual_add_f64 v[24:25], v[32:33], v[16:17] :: v_dual_cndmask_b32 v22, 0, v22, vcc_lo
	s_delay_alu instid0(VALU_DEP_1) | instskip(SKIP_1) | instid1(VALU_DEP_2)
	v_add_f64_e32 v[28:29], v[20:21], v[24:25]
	v_add_f64_e64 v[40:41], v[24:25], -v[32:33]
	v_add_f64_e32 v[34:35], v[28:29], v[22:23]
	s_delay_alu instid0(VALU_DEP_2) | instskip(SKIP_2) | instid1(VALU_DEP_4)
	v_add_f64_e64 v[46:47], v[24:25], -v[40:41]
	v_add_f64_e64 v[16:17], v[16:17], -v[40:41]
	;; [unrolled: 1-line block ×3, first 2 shown]
	v_cmp_gt_f64_e32 vcc_lo, 0, v[34:35]
	v_add_f64_e64 v[34:35], v[32:33], -v[36:37]
	s_delay_alu instid0(VALU_DEP_3) | instskip(SKIP_1) | instid1(VALU_DEP_3)
	v_add_f64_e64 v[20:21], v[24:25], -v[20:21]
	v_cndmask_b32_e64 v39, 0, 0x40100000, vcc_lo
	v_add_f64_e64 v[44:45], v[32:33], -v[34:35]
	v_add_f64_e64 v[18:19], v[18:19], -v[34:35]
	;; [unrolled: 1-line block ×3, first 2 shown]
	s_delay_alu instid0(VALU_DEP_4) | instskip(NEXT) | instid1(VALU_DEP_4)
	v_add_f64_e32 v[22:23], v[22:23], v[38:39]
	v_add_f64_e64 v[34:35], v[36:37], -v[44:45]
	s_delay_alu instid0(VALU_DEP_3) | instskip(NEXT) | instid1(VALU_DEP_3)
	v_add_f64_e32 v[16:17], v[16:17], v[32:33]
	v_add_f64_e32 v[42:43], v[28:29], v[22:23]
	s_delay_alu instid0(VALU_DEP_3) | instskip(NEXT) | instid1(VALU_DEP_2)
	v_add_f64_e32 v[18:19], v[18:19], v[34:35]
	v_cvt_i32_f64_e32 v27, v[42:43]
	s_delay_alu instid0(VALU_DEP_2) | instskip(NEXT) | instid1(VALU_DEP_2)
	v_add_f64_e32 v[16:17], v[18:19], v[16:17]
	v_cvt_f64_i32_e32 v[40:41], v27
	s_delay_alu instid0(VALU_DEP_2) | instskip(NEXT) | instid1(VALU_DEP_2)
	v_add_f64_e32 v[14:15], v[14:15], v[16:17]
	v_add_f64_e64 v[22:23], v[22:23], -v[40:41]
	s_delay_alu instid0(VALU_DEP_2) | instskip(NEXT) | instid1(VALU_DEP_2)
	v_add_f64_e32 v[14:15], v[20:21], v[14:15]
	v_add_f64_e32 v[18:19], v[28:29], v[22:23]
	s_delay_alu instid0(VALU_DEP_1) | instskip(SKIP_1) | instid1(VALU_DEP_2)
	v_add_f64_e64 v[16:17], v[18:19], -v[22:23]
	v_cmp_le_f64_e32 vcc_lo, 0.5, v[18:19]
	v_add_f64_e64 v[16:17], v[28:29], -v[16:17]
	v_cndmask_b32_e64 v39, 0, 0x3ff00000, vcc_lo
	v_add_co_ci_u32_e64 v27, null, 0, v27, vcc_lo
	s_delay_alu instid0(VALU_DEP_3) | instskip(NEXT) | instid1(VALU_DEP_3)
	v_add_f64_e32 v[14:15], v[14:15], v[16:17]
	v_add_f64_e64 v[16:17], v[18:19], -v[38:39]
	s_delay_alu instid0(VALU_DEP_1) | instskip(NEXT) | instid1(VALU_DEP_1)
	v_add_f64_e32 v[18:19], v[16:17], v[14:15]
	v_mul_f64_e32 v[20:21], 0x3ff921fb54442d18, v[18:19]
	v_add_f64_e64 v[16:17], v[18:19], -v[16:17]
	s_delay_alu instid0(VALU_DEP_2) | instskip(NEXT) | instid1(VALU_DEP_2)
	v_fma_f64 v[22:23], v[18:19], s[2:3], -v[20:21]
	v_add_f64_e64 v[14:15], v[14:15], -v[16:17]
	s_delay_alu instid0(VALU_DEP_2) | instskip(NEXT) | instid1(VALU_DEP_1)
	v_fmamk_f64 v[16:17], v[18:19], 0x3c91a62633145c07, v[22:23]
	v_fmac_f64_e32 v[16:17], 0x3ff921fb54442d18, v[14:15]
	s_delay_alu instid0(VALU_DEP_1) | instskip(NEXT) | instid1(VALU_DEP_1)
	v_add_f64_e32 v[14:15], v[20:21], v[16:17]
	v_add_f64_e64 v[18:19], v[14:15], -v[20:21]
	s_delay_alu instid0(VALU_DEP_1)
	v_add_f64_e64 v[16:17], v[16:17], -v[18:19]
.LBB2_7:
	s_and_not1_saveexec_b32 s0, s0
	s_cbranch_execz .LBB2_9
; %bb.8:
	s_mov_b64 s[2:3], 0x3fe45f306dc9c883
	s_delay_alu instid0(SALU_CYCLE_1) | instskip(SKIP_1) | instid1(VALU_DEP_1)
	v_mul_f64_e64 v[14:15], |v[8:9]|, s[2:3]
	s_mov_b64 s[2:3], 0xbff921fb54442d18
	v_rndne_f64_e32 v[18:19], v[14:15]
	s_delay_alu instid0(VALU_DEP_1) | instskip(SKIP_2) | instid1(VALU_DEP_3)
	v_fma_f64 v[14:15], v[18:19], s[2:3], |v[8:9]|
	v_mul_f64_e32 v[16:17], 0xbc91a62633145c00, v[18:19]
	v_cvt_i32_f64_e32 v27, v[18:19]
	v_fmamk_f64 v[24:25], v[18:19], 0xbc91a62633145c00, v[14:15]
	s_delay_alu instid0(VALU_DEP_3) | instskip(NEXT) | instid1(VALU_DEP_1)
	v_add_f64_e32 v[20:21], v[14:15], v[16:17]
	v_add_f64_e64 v[22:23], v[14:15], -v[20:21]
	s_delay_alu instid0(VALU_DEP_3) | instskip(NEXT) | instid1(VALU_DEP_2)
	v_add_f64_e64 v[14:15], v[20:21], -v[24:25]
	v_add_f64_e32 v[20:21], v[22:23], v[16:17]
	v_fmamk_f64 v[16:17], v[18:19], 0x3c91a62633145c00, v[16:17]
	s_delay_alu instid0(VALU_DEP_2) | instskip(NEXT) | instid1(VALU_DEP_1)
	v_add_f64_e32 v[14:15], v[14:15], v[20:21]
	v_add_f64_e64 v[14:15], v[14:15], -v[16:17]
	s_delay_alu instid0(VALU_DEP_1) | instskip(NEXT) | instid1(VALU_DEP_1)
	v_fmamk_f64 v[16:17], v[18:19], 0xb97b839a252049c0, v[14:15]
	v_add_f64_e32 v[14:15], v[24:25], v[16:17]
	s_delay_alu instid0(VALU_DEP_1) | instskip(NEXT) | instid1(VALU_DEP_1)
	v_add_f64_e64 v[20:21], v[14:15], -v[24:25]
	v_add_f64_e64 v[16:17], v[16:17], -v[20:21]
.LBB2_9:
	s_or_b32 exec_lo, exec_lo, s0
	s_wait_loadcnt 0x0
	v_cmp_ngt_f64_e64 s0, 0x41d00000, |v[2:3]|
                                        ; implicit-def: $vgpr28
                                        ; implicit-def: $vgpr18_vgpr19
                                        ; implicit-def: $vgpr20_vgpr21
	s_and_saveexec_b32 s1, s0
	s_delay_alu instid0(SALU_CYCLE_1)
	s_xor_b32 s0, exec_lo, s1
	s_cbranch_execz .LBB2_11
; %bb.10:
	v_ldexp_f64 v[18:19], |v[2:3]|, 0xffffff80
	v_cmp_le_f64_e64 vcc_lo, 0x7b000000, |v[2:3]|
	v_trig_preop_f64 v[20:21], |v[2:3]|, 0
	v_and_b32_e32 v22, 0x7fffffff, v3
	v_trig_preop_f64 v[34:35], |v[2:3]|, 2
	s_mov_b64 s[2:3], 0x3ff921fb54442d18
	s_delay_alu instid0(VALU_DEP_2) | instskip(SKIP_2) | instid1(VALU_DEP_2)
	v_dual_mov_b32 v42, 0 :: v_dual_cndmask_b32 v19, v22, v19
	v_cndmask_b32_e32 v18, v2, v18, vcc_lo
	v_trig_preop_f64 v[22:23], |v[2:3]|, 1
	v_mul_f64_e32 v[24:25], v[20:21], v[18:19]
	s_delay_alu instid0(VALU_DEP_2) | instskip(NEXT) | instid1(VALU_DEP_2)
	v_mul_f64_e32 v[28:29], v[22:23], v[18:19]
	v_fma_f64 v[20:21], v[20:21], v[18:19], -v[24:25]
	s_delay_alu instid0(VALU_DEP_1) | instskip(NEXT) | instid1(VALU_DEP_1)
	v_add_f64_e32 v[30:31], v[28:29], v[20:21]
	v_add_f64_e64 v[32:33], v[30:31], -v[28:29]
	v_add_f64_e32 v[38:39], v[24:25], v[30:31]
	s_delay_alu instid0(VALU_DEP_2) | instskip(SKIP_2) | instid1(VALU_DEP_4)
	v_add_f64_e64 v[36:37], v[30:31], -v[32:33]
	v_add_f64_e64 v[20:21], v[20:21], -v[32:33]
	v_fma_f64 v[22:23], v[22:23], v[18:19], -v[28:29]
	v_ldexp_f64 v[32:33], v[38:39], -2
	v_mul_f64_e32 v[40:41], v[34:35], v[18:19]
	v_add_f64_e64 v[28:29], v[28:29], -v[36:37]
	s_delay_alu instid0(VALU_DEP_3) | instskip(NEXT) | instid1(VALU_DEP_3)
	v_cmp_neq_f64_e64 vcc_lo, 0x7ff00000, |v[32:33]|
	v_add_f64_e32 v[36:37], v[40:41], v[22:23]
	v_fma_f64 v[18:19], v[34:35], v[18:19], -v[40:41]
	s_delay_alu instid0(VALU_DEP_4) | instskip(SKIP_1) | instid1(VALU_DEP_1)
	v_add_f64_e32 v[20:21], v[20:21], v[28:29]
	v_fract_f64_e32 v[28:29], v[32:33]
	v_ldexp_f64 v[28:29], v[28:29], 2
	s_delay_alu instid0(VALU_DEP_1) | instskip(SKIP_1) | instid1(VALU_DEP_3)
	v_cndmask_b32_e32 v29, 0, v29, vcc_lo
	v_add_f64_e64 v[24:25], v[38:39], -v[24:25]
	v_cndmask_b32_e32 v28, 0, v28, vcc_lo
	s_delay_alu instid0(VALU_DEP_2) | instskip(SKIP_1) | instid1(VALU_DEP_1)
	v_add_f64_e64 v[24:25], v[30:31], -v[24:25]
	v_add_f64_e32 v[30:31], v[36:37], v[20:21]
	v_add_f64_e32 v[32:33], v[24:25], v[30:31]
	v_add_f64_e64 v[44:45], v[30:31], -v[36:37]
	s_delay_alu instid0(VALU_DEP_2) | instskip(NEXT) | instid1(VALU_DEP_2)
	v_add_f64_e32 v[38:39], v[32:33], v[28:29]
	v_add_f64_e64 v[50:51], v[30:31], -v[44:45]
	v_add_f64_e64 v[20:21], v[20:21], -v[44:45]
	;; [unrolled: 1-line block ×3, first 2 shown]
	s_delay_alu instid0(VALU_DEP_4) | instskip(SKIP_1) | instid1(VALU_DEP_3)
	v_cmp_gt_f64_e32 vcc_lo, 0, v[38:39]
	v_add_f64_e64 v[38:39], v[36:37], -v[40:41]
	v_add_f64_e64 v[24:25], v[30:31], -v[24:25]
	v_cndmask_b32_e64 v43, 0, 0x40100000, vcc_lo
	s_delay_alu instid0(VALU_DEP_3) | instskip(SKIP_2) | instid1(VALU_DEP_4)
	v_add_f64_e64 v[48:49], v[36:37], -v[38:39]
	v_add_f64_e64 v[22:23], v[22:23], -v[38:39]
	;; [unrolled: 1-line block ×3, first 2 shown]
	v_add_f64_e32 v[28:29], v[28:29], v[42:43]
	s_delay_alu instid0(VALU_DEP_4) | instskip(NEXT) | instid1(VALU_DEP_3)
	v_add_f64_e64 v[38:39], v[40:41], -v[48:49]
	v_add_f64_e32 v[20:21], v[20:21], v[36:37]
	s_delay_alu instid0(VALU_DEP_3) | instskip(NEXT) | instid1(VALU_DEP_3)
	v_add_f64_e32 v[46:47], v[32:33], v[28:29]
	v_add_f64_e32 v[22:23], v[22:23], v[38:39]
	s_delay_alu instid0(VALU_DEP_2) | instskip(NEXT) | instid1(VALU_DEP_2)
	v_cvt_i32_f64_e32 v43, v[46:47]
	v_add_f64_e32 v[20:21], v[22:23], v[20:21]
	s_delay_alu instid0(VALU_DEP_2) | instskip(NEXT) | instid1(VALU_DEP_2)
	v_cvt_f64_i32_e32 v[44:45], v43
	v_add_f64_e32 v[18:19], v[18:19], v[20:21]
	s_delay_alu instid0(VALU_DEP_2) | instskip(NEXT) | instid1(VALU_DEP_2)
	v_add_f64_e64 v[28:29], v[28:29], -v[44:45]
	v_add_f64_e32 v[18:19], v[24:25], v[18:19]
	s_delay_alu instid0(VALU_DEP_2) | instskip(NEXT) | instid1(VALU_DEP_1)
	v_add_f64_e32 v[22:23], v[32:33], v[28:29]
	v_add_f64_e64 v[20:21], v[22:23], -v[28:29]
	v_cmp_le_f64_e32 vcc_lo, 0.5, v[22:23]
	s_delay_alu instid0(VALU_DEP_2) | instskip(SKIP_2) | instid1(VALU_DEP_3)
	v_add_f64_e64 v[20:21], v[32:33], -v[20:21]
	v_add_co_ci_u32_e64 v28, null, 0, v43, vcc_lo
	v_cndmask_b32_e64 v43, 0, 0x3ff00000, vcc_lo
	v_add_f64_e32 v[18:19], v[18:19], v[20:21]
	s_delay_alu instid0(VALU_DEP_2) | instskip(NEXT) | instid1(VALU_DEP_1)
	v_add_f64_e64 v[20:21], v[22:23], -v[42:43]
	v_add_f64_e32 v[22:23], v[20:21], v[18:19]
	s_delay_alu instid0(VALU_DEP_1) | instskip(SKIP_1) | instid1(VALU_DEP_2)
	v_mul_f64_e32 v[24:25], 0x3ff921fb54442d18, v[22:23]
	v_add_f64_e64 v[20:21], v[22:23], -v[20:21]
	v_fma_f64 v[30:31], v[22:23], s[2:3], -v[24:25]
	s_delay_alu instid0(VALU_DEP_2) | instskip(NEXT) | instid1(VALU_DEP_2)
	v_add_f64_e64 v[18:19], v[18:19], -v[20:21]
	v_fmamk_f64 v[20:21], v[22:23], 0x3c91a62633145c07, v[30:31]
	s_delay_alu instid0(VALU_DEP_1) | instskip(NEXT) | instid1(VALU_DEP_1)
	v_fmac_f64_e32 v[20:21], 0x3ff921fb54442d18, v[18:19]
	v_add_f64_e32 v[18:19], v[24:25], v[20:21]
	s_delay_alu instid0(VALU_DEP_1) | instskip(NEXT) | instid1(VALU_DEP_1)
	v_add_f64_e64 v[22:23], v[18:19], -v[24:25]
	v_add_f64_e64 v[20:21], v[20:21], -v[22:23]
.LBB2_11:
	s_and_not1_saveexec_b32 s0, s0
	s_cbranch_execz .LBB2_13
; %bb.12:
	s_mov_b64 s[2:3], 0x3fe45f306dc9c883
	s_delay_alu instid0(SALU_CYCLE_1) | instskip(SKIP_1) | instid1(VALU_DEP_1)
	v_mul_f64_e64 v[18:19], |v[2:3]|, s[2:3]
	s_mov_b64 s[2:3], 0xbff921fb54442d18
	v_rndne_f64_e32 v[22:23], v[18:19]
	s_delay_alu instid0(VALU_DEP_1) | instskip(SKIP_1) | instid1(VALU_DEP_2)
	v_fma_f64 v[18:19], v[22:23], s[2:3], |v[2:3]|
	v_mul_f64_e32 v[20:21], 0xbc91a62633145c00, v[22:23]
	v_fmamk_f64 v[30:31], v[22:23], 0xbc91a62633145c00, v[18:19]
	s_delay_alu instid0(VALU_DEP_2) | instskip(NEXT) | instid1(VALU_DEP_1)
	v_add_f64_e32 v[24:25], v[18:19], v[20:21]
	v_add_f64_e64 v[28:29], v[18:19], -v[24:25]
	s_delay_alu instid0(VALU_DEP_3) | instskip(NEXT) | instid1(VALU_DEP_2)
	v_add_f64_e64 v[18:19], v[24:25], -v[30:31]
	v_add_f64_e32 v[24:25], v[28:29], v[20:21]
	v_fmamk_f64 v[20:21], v[22:23], 0x3c91a62633145c00, v[20:21]
	v_cvt_i32_f64_e32 v28, v[22:23]
	s_delay_alu instid0(VALU_DEP_3) | instskip(NEXT) | instid1(VALU_DEP_1)
	v_add_f64_e32 v[18:19], v[18:19], v[24:25]
	v_add_f64_e64 v[18:19], v[18:19], -v[20:21]
	s_delay_alu instid0(VALU_DEP_1) | instskip(NEXT) | instid1(VALU_DEP_1)
	v_fmamk_f64 v[20:21], v[22:23], 0xb97b839a252049c0, v[18:19]
	v_add_f64_e32 v[18:19], v[30:31], v[20:21]
	s_delay_alu instid0(VALU_DEP_1) | instskip(NEXT) | instid1(VALU_DEP_1)
	v_add_f64_e64 v[24:25], v[18:19], -v[30:31]
	v_add_f64_e64 v[20:21], v[20:21], -v[24:25]
.LBB2_13:
	s_or_b32 exec_lo, exec_lo, s0
	v_cmp_ngt_f64_e64 s0, 0x41d00000, |v[4:5]|
                                        ; implicit-def: $vgpr29
                                        ; implicit-def: $vgpr22_vgpr23
                                        ; implicit-def: $vgpr24_vgpr25
	s_and_saveexec_b32 s1, s0
	s_delay_alu instid0(SALU_CYCLE_1)
	s_xor_b32 s0, exec_lo, s1
	s_cbranch_execz .LBB2_15
; %bb.14:
	v_ldexp_f64 v[22:23], |v[4:5]|, 0xffffff80
	v_cmp_le_f64_e64 vcc_lo, 0x7b000000, |v[4:5]|
	v_trig_preop_f64 v[24:25], |v[4:5]|, 0
	v_and_b32_e32 v29, 0x7fffffff, v5
	v_trig_preop_f64 v[30:31], |v[4:5]|, 1
	v_trig_preop_f64 v[40:41], |v[4:5]|, 2
	s_mov_b64 s[2:3], 0x3ff921fb54442d18
	s_delay_alu instid0(VALU_DEP_3) | instskip(SKIP_1) | instid1(VALU_DEP_1)
	v_dual_mov_b32 v48, 0 :: v_dual_cndmask_b32 v23, v29, v23
	v_cndmask_b32_e32 v22, v4, v22, vcc_lo
	v_mul_f64_e32 v[32:33], v[24:25], v[22:23]
	v_mul_f64_e32 v[34:35], v[30:31], v[22:23]
	;; [unrolled: 1-line block ×3, first 2 shown]
	s_delay_alu instid0(VALU_DEP_3) | instskip(NEXT) | instid1(VALU_DEP_3)
	v_fma_f64 v[24:25], v[24:25], v[22:23], -v[32:33]
	v_fma_f64 v[30:31], v[30:31], v[22:23], -v[34:35]
	s_delay_alu instid0(VALU_DEP_3) | instskip(NEXT) | instid1(VALU_DEP_3)
	v_fma_f64 v[22:23], v[40:41], v[22:23], -v[46:47]
	v_add_f64_e32 v[36:37], v[34:35], v[24:25]
	s_delay_alu instid0(VALU_DEP_1) | instskip(SKIP_1) | instid1(VALU_DEP_2)
	v_add_f64_e64 v[38:39], v[36:37], -v[34:35]
	v_add_f64_e32 v[44:45], v[32:33], v[36:37]
	v_add_f64_e64 v[42:43], v[36:37], -v[38:39]
	v_add_f64_e64 v[24:25], v[24:25], -v[38:39]
	s_delay_alu instid0(VALU_DEP_3) | instskip(NEXT) | instid1(VALU_DEP_3)
	v_ldexp_f64 v[38:39], v[44:45], -2
	v_add_f64_e64 v[34:35], v[34:35], -v[42:43]
	v_add_f64_e32 v[42:43], v[46:47], v[30:31]
	s_delay_alu instid0(VALU_DEP_3) | instskip(NEXT) | instid1(VALU_DEP_3)
	v_cmp_neq_f64_e64 vcc_lo, 0x7ff00000, |v[38:39]|
	v_add_f64_e32 v[24:25], v[24:25], v[34:35]
	v_fract_f64_e32 v[34:35], v[38:39]
	s_delay_alu instid0(VALU_DEP_1) | instskip(NEXT) | instid1(VALU_DEP_1)
	v_ldexp_f64 v[34:35], v[34:35], 2
	v_dual_add_f64 v[32:33], v[44:45], -v[32:33] :: v_dual_cndmask_b32 v34, 0, v34, vcc_lo
	s_delay_alu instid0(VALU_DEP_1) | instskip(SKIP_1) | instid1(VALU_DEP_1)
	v_dual_add_f64 v[32:33], v[36:37], -v[32:33] :: v_dual_cndmask_b32 v35, 0, v35, vcc_lo
	v_add_f64_e32 v[36:37], v[42:43], v[24:25]
	v_add_f64_e32 v[38:39], v[32:33], v[36:37]
	v_add_f64_e64 v[50:51], v[36:37], -v[42:43]
	s_delay_alu instid0(VALU_DEP_2) | instskip(NEXT) | instid1(VALU_DEP_2)
	v_add_f64_e32 v[44:45], v[38:39], v[34:35]
	v_add_f64_e64 v[56:57], v[36:37], -v[50:51]
	v_add_f64_e64 v[24:25], v[24:25], -v[50:51]
	v_add_f64_e64 v[32:33], v[38:39], -v[32:33]
	s_delay_alu instid0(VALU_DEP_4) | instskip(SKIP_1) | instid1(VALU_DEP_3)
	v_cmp_gt_f64_e32 vcc_lo, 0, v[44:45]
	v_add_f64_e64 v[44:45], v[42:43], -v[46:47]
	v_add_f64_e64 v[32:33], v[36:37], -v[32:33]
	v_cndmask_b32_e64 v49, 0, 0x40100000, vcc_lo
	s_delay_alu instid0(VALU_DEP_3) | instskip(SKIP_2) | instid1(VALU_DEP_4)
	v_add_f64_e64 v[54:55], v[42:43], -v[44:45]
	v_add_f64_e64 v[30:31], v[30:31], -v[44:45]
	;; [unrolled: 1-line block ×3, first 2 shown]
	v_add_f64_e32 v[34:35], v[34:35], v[48:49]
	s_delay_alu instid0(VALU_DEP_4) | instskip(NEXT) | instid1(VALU_DEP_3)
	v_add_f64_e64 v[44:45], v[46:47], -v[54:55]
	v_add_f64_e32 v[24:25], v[24:25], v[42:43]
	s_delay_alu instid0(VALU_DEP_3) | instskip(NEXT) | instid1(VALU_DEP_3)
	v_add_f64_e32 v[52:53], v[38:39], v[34:35]
	v_add_f64_e32 v[30:31], v[30:31], v[44:45]
	s_delay_alu instid0(VALU_DEP_2) | instskip(NEXT) | instid1(VALU_DEP_2)
	v_cvt_i32_f64_e32 v29, v[52:53]
	v_add_f64_e32 v[24:25], v[30:31], v[24:25]
	s_delay_alu instid0(VALU_DEP_2) | instskip(NEXT) | instid1(VALU_DEP_2)
	v_cvt_f64_i32_e32 v[50:51], v29
	v_add_f64_e32 v[22:23], v[22:23], v[24:25]
	s_delay_alu instid0(VALU_DEP_2) | instskip(NEXT) | instid1(VALU_DEP_2)
	v_add_f64_e64 v[34:35], v[34:35], -v[50:51]
	v_add_f64_e32 v[22:23], v[32:33], v[22:23]
	s_delay_alu instid0(VALU_DEP_2) | instskip(NEXT) | instid1(VALU_DEP_1)
	v_add_f64_e32 v[30:31], v[38:39], v[34:35]
	v_add_f64_e64 v[24:25], v[30:31], -v[34:35]
	v_cmp_le_f64_e32 vcc_lo, 0.5, v[30:31]
	s_delay_alu instid0(VALU_DEP_2) | instskip(SKIP_2) | instid1(VALU_DEP_3)
	v_add_f64_e64 v[24:25], v[38:39], -v[24:25]
	v_cndmask_b32_e64 v49, 0, 0x3ff00000, vcc_lo
	v_add_co_ci_u32_e64 v29, null, 0, v29, vcc_lo
	v_add_f64_e32 v[22:23], v[22:23], v[24:25]
	s_delay_alu instid0(VALU_DEP_3) | instskip(NEXT) | instid1(VALU_DEP_1)
	v_add_f64_e64 v[24:25], v[30:31], -v[48:49]
	v_add_f64_e32 v[30:31], v[24:25], v[22:23]
	s_delay_alu instid0(VALU_DEP_1) | instskip(SKIP_1) | instid1(VALU_DEP_2)
	v_mul_f64_e32 v[32:33], 0x3ff921fb54442d18, v[30:31]
	v_add_f64_e64 v[24:25], v[30:31], -v[24:25]
	v_fma_f64 v[34:35], v[30:31], s[2:3], -v[32:33]
	s_delay_alu instid0(VALU_DEP_2) | instskip(NEXT) | instid1(VALU_DEP_2)
	v_add_f64_e64 v[22:23], v[22:23], -v[24:25]
	v_fmamk_f64 v[24:25], v[30:31], 0x3c91a62633145c07, v[34:35]
	s_delay_alu instid0(VALU_DEP_1) | instskip(NEXT) | instid1(VALU_DEP_1)
	v_fmac_f64_e32 v[24:25], 0x3ff921fb54442d18, v[22:23]
	v_add_f64_e32 v[22:23], v[32:33], v[24:25]
	s_delay_alu instid0(VALU_DEP_1) | instskip(NEXT) | instid1(VALU_DEP_1)
	v_add_f64_e64 v[30:31], v[22:23], -v[32:33]
	v_add_f64_e64 v[24:25], v[24:25], -v[30:31]
.LBB2_15:
	s_and_not1_saveexec_b32 s0, s0
	s_cbranch_execz .LBB2_17
; %bb.16:
	s_mov_b64 s[2:3], 0x3fe45f306dc9c883
	s_delay_alu instid0(SALU_CYCLE_1) | instskip(SKIP_1) | instid1(VALU_DEP_1)
	v_mul_f64_e64 v[22:23], |v[4:5]|, s[2:3]
	s_mov_b64 s[2:3], 0xbff921fb54442d18
	v_rndne_f64_e32 v[30:31], v[22:23]
	s_delay_alu instid0(VALU_DEP_1) | instskip(SKIP_2) | instid1(VALU_DEP_3)
	v_fma_f64 v[22:23], v[30:31], s[2:3], |v[4:5]|
	v_mul_f64_e32 v[24:25], 0xbc91a62633145c00, v[30:31]
	v_cvt_i32_f64_e32 v29, v[30:31]
	v_fmamk_f64 v[36:37], v[30:31], 0xbc91a62633145c00, v[22:23]
	s_delay_alu instid0(VALU_DEP_3) | instskip(NEXT) | instid1(VALU_DEP_1)
	v_add_f64_e32 v[32:33], v[22:23], v[24:25]
	v_add_f64_e64 v[34:35], v[22:23], -v[32:33]
	s_delay_alu instid0(VALU_DEP_3) | instskip(NEXT) | instid1(VALU_DEP_2)
	v_add_f64_e64 v[22:23], v[32:33], -v[36:37]
	v_add_f64_e32 v[32:33], v[34:35], v[24:25]
	v_fmamk_f64 v[24:25], v[30:31], 0x3c91a62633145c00, v[24:25]
	s_delay_alu instid0(VALU_DEP_2) | instskip(NEXT) | instid1(VALU_DEP_1)
	v_add_f64_e32 v[22:23], v[22:23], v[32:33]
	v_add_f64_e64 v[22:23], v[22:23], -v[24:25]
	s_delay_alu instid0(VALU_DEP_1) | instskip(NEXT) | instid1(VALU_DEP_1)
	v_fmamk_f64 v[24:25], v[30:31], 0xb97b839a252049c0, v[22:23]
	v_add_f64_e32 v[22:23], v[36:37], v[24:25]
	s_delay_alu instid0(VALU_DEP_1) | instskip(NEXT) | instid1(VALU_DEP_1)
	v_add_f64_e64 v[32:33], v[22:23], -v[36:37]
	v_add_f64_e64 v[24:25], v[24:25], -v[32:33]
.LBB2_17:
	s_or_b32 exec_lo, exec_lo, s0
	v_mul_f64_e32 v[32:33], v[14:15], v[14:15]
	v_mul_f64_e32 v[30:31], v[18:19], v[18:19]
	v_cmp_class_f64_e64 s0, v[2:3], 0x1f8
	v_lshlrev_b32_e32 v2, 30, v28
	v_mov_b64_e32 v[44:45], 0xbe5ae600b42fdfa7
	v_mul_f64_e32 v[46:47], 0.5, v[20:21]
	v_cmp_class_f64_e64 s6, v[4:5], 0x1f8
	v_cmp_class_f64_e64 s2, v[8:9], 0x1f8
	v_mov_b64_e32 v[56:57], 0x3e21eeb69037ab78
	v_cmp_class_f64_e64 s4, v[6:7], 0x1f8
	v_dual_lshlrev_b32 v8, 30, v29 :: v_dual_lshlrev_b32 v4, 30, v27
	v_dual_lshlrev_b32 v6, 30, v26 :: v_dual_bitop2_b32 v2, v2, v3 bitop3:0x14
	s_delay_alu instid0(VALU_DEP_2) | instskip(NEXT) | instid1(VALU_DEP_3)
	v_xor_b32_e32 v5, v8, v5
	v_xor_b32_e32 v4, v4, v9
	s_delay_alu instid0(VALU_DEP_3)
	v_dual_mul_f64 v[36:37], 0.5, v[32:33] :: v_dual_bitop2_b32 v6, v6, v7 bitop3:0x14
	v_mul_f64_e32 v[34:35], 0.5, v[30:31]
	v_mul_f64_e64 v[48:49], v[18:19], -v[30:31]
	v_fmamk_f64 v[50:51], v[30:31], 0x3de5e0b2f9a43bb8, v[44:45]
	v_fmamk_f64 v[58:59], v[30:31], 0xbda907db46cc5e42, v[56:57]
	v_mul_f64_e64 v[54:55], v[14:15], -v[32:33]
	s_delay_alu instid0(VALU_DEP_3) | instskip(NEXT) | instid1(VALU_DEP_3)
	v_fmaak_f64 v[50:51], v[30:31], v[50:51], 0x3ec71de3796cde01
	v_fmaak_f64 v[58:59], v[30:31], v[58:59], 0xbe927e4fa17f65f6
	s_delay_alu instid0(VALU_DEP_2) | instskip(NEXT) | instid1(VALU_DEP_2)
	v_fmaak_f64 v[50:51], v[30:31], v[50:51], 0xbf2a01a019e83e5c
	v_fmaak_f64 v[58:59], v[30:31], v[58:59], 0x3efa01a019f4ec90
	s_delay_alu instid0(VALU_DEP_1) | instskip(SKIP_2) | instid1(VALU_DEP_2)
	v_fmaak_f64 v[58:59], v[30:31], v[58:59], 0xbf56c16c16c16967
	v_add_f64_e64 v[40:41], -v[36:37], 1.0
	v_add_f64_e64 v[38:39], -v[34:35], 1.0
	;; [unrolled: 1-line block ×3, first 2 shown]
	s_delay_alu instid0(VALU_DEP_2) | instskip(NEXT) | instid1(VALU_DEP_2)
	v_add_f64_e64 v[42:43], -v[38:39], 1.0
	v_add_f64_e64 v[36:37], v[52:53], -v[36:37]
	s_delay_alu instid0(VALU_DEP_2) | instskip(SKIP_2) | instid1(VALU_DEP_2)
	v_add_f64_e64 v[34:35], v[42:43], -v[34:35]
	v_fmaak_f64 v[42:43], v[30:31], v[50:51], 0x3f81111111110bb3
	v_mul_f64_e32 v[52:53], v[30:31], v[30:31]
	v_fmac_f64_e32 v[46:47], v[48:49], v[42:43]
	v_fmamk_f64 v[42:43], v[32:33], 0x3de5e0b2f9a43bb8, v[44:45]
	s_delay_alu instid0(VALU_DEP_1) | instskip(NEXT) | instid1(VALU_DEP_1)
	v_fmaak_f64 v[42:43], v[32:33], v[42:43], 0x3ec71de3796cde01
	v_fmaak_f64 v[42:43], v[32:33], v[42:43], 0xbf2a01a019e83e5c
	s_delay_alu instid0(VALU_DEP_1)
	v_fmaak_f64 v[42:43], v[32:33], v[42:43], 0x3f81111111110bb3
	v_fma_f64 v[36:37], v[14:15], -v[16:17], v[36:37]
	v_fma_f64 v[34:35], v[18:19], -v[20:21], v[34:35]
	v_fma_f64 v[20:21], v[30:31], v[46:47], -v[20:21]
	v_fmaak_f64 v[30:31], v[30:31], v[58:59], 0x3fa5555555555555
	v_mul_f64_e32 v[46:47], v[22:23], v[22:23]
	v_fmamk_f64 v[58:59], v[32:33], 0xbda907db46cc5e42, v[56:57]
	s_delay_alu instid0(VALU_DEP_3) | instskip(SKIP_1) | instid1(VALU_DEP_3)
	v_fmac_f64_e32 v[34:35], v[52:53], v[30:31]
	v_mul_f64_e32 v[30:31], v[32:33], v[32:33]
	v_fmaak_f64 v[52:53], v[32:33], v[58:59], 0xbe927e4fa17f65f6
	v_fmac_f64_e32 v[20:21], 0xbfc5555555555555, v[48:49]
	s_delay_alu instid0(VALU_DEP_2) | instskip(SKIP_1) | instid1(VALU_DEP_2)
	v_fmaak_f64 v[52:53], v[32:33], v[52:53], 0x3efa01a019f4ec90
	v_mul_f64_e64 v[66:67], v[22:23], -v[46:47]
	v_fmaak_f64 v[52:53], v[32:33], v[52:53], 0xbf56c16c16c16967
	s_delay_alu instid0(VALU_DEP_4) | instskip(SKIP_2) | instid1(VALU_DEP_1)
	v_add_f64_e64 v[18:19], v[18:19], -v[20:21]
	v_add_f64_e32 v[20:21], v[38:39], v[34:35]
	v_mul_f64_e32 v[50:51], 0.5, v[16:17]
	v_fmac_f64_e32 v[50:51], v[54:55], v[42:43]
	v_mul_f64_e32 v[42:43], v[10:11], v[10:11]
	s_delay_alu instid0(VALU_DEP_2) | instskip(NEXT) | instid1(VALU_DEP_2)
	v_fma_f64 v[16:17], v[32:33], v[50:51], -v[16:17]
	v_fmamk_f64 v[58:59], v[42:43], 0xbda907db46cc5e42, v[56:57]
	v_fmac_f64_e32 v[56:57], 0xbda907db46cc5e42, v[46:47]
	v_fmamk_f64 v[50:51], v[42:43], 0x3de5e0b2f9a43bb8, v[44:45]
	v_fmac_f64_e32 v[44:45], 0x3de5e0b2f9a43bb8, v[46:47]
	v_fmaak_f64 v[32:33], v[32:33], v[52:53], 0x3fa5555555555555
	v_mul_f64_e32 v[52:53], 0.5, v[12:13]
	s_delay_alu instid0(VALU_DEP_4) | instskip(NEXT) | instid1(VALU_DEP_3)
	v_fmaak_f64 v[50:51], v[42:43], v[50:51], 0x3ec71de3796cde01
	v_fmac_f64_e32 v[36:37], v[30:31], v[32:33]
	v_mul_f64_e64 v[30:31], v[10:11], -v[42:43]
	v_mov_b64_e32 v[32:33], 0xbe927e4fa17f65f6
	s_delay_alu instid0(VALU_DEP_4) | instskip(NEXT) | instid1(VALU_DEP_1)
	v_fmaak_f64 v[50:51], v[42:43], v[50:51], 0xbf2a01a019e83e5c
	v_fmaak_f64 v[50:51], v[42:43], v[50:51], 0x3f81111111110bb3
	v_fmac_f64_e32 v[16:17], 0xbfc5555555555555, v[54:55]
	s_delay_alu instid0(VALU_DEP_4) | instskip(SKIP_1) | instid1(VALU_DEP_1)
	v_fmac_f64_e32 v[32:33], v[46:47], v[56:57]
	v_mov_b64_e32 v[56:57], 0x3ec71de3796cde01
	v_fmac_f64_e32 v[56:57], v[46:47], v[44:45]
	v_mul_f64_e32 v[44:45], 0.5, v[42:43]
	v_fmac_f64_e32 v[52:53], v[30:31], v[50:51]
	v_mov_b64_e32 v[50:51], 0x3efa01a019f4ec90
	v_add_f64_e64 v[14:15], v[14:15], -v[16:17]
	s_delay_alu instid0(VALU_DEP_2) | instskip(SKIP_1) | instid1(VALU_DEP_1)
	v_fmac_f64_e32 v[50:51], v[46:47], v[32:33]
	v_mov_b64_e32 v[32:33], 0xbf2a01a019e83e5c
	v_fmac_f64_e32 v[32:33], v[46:47], v[56:57]
	v_add_f64_e64 v[56:57], -v[44:45], 1.0
	s_delay_alu instid0(VALU_DEP_1) | instskip(NEXT) | instid1(VALU_DEP_1)
	v_add_f64_e64 v[60:61], -v[56:57], 1.0
	v_add_f64_e64 v[44:45], v[60:61], -v[44:45]
	v_mul_f64_e32 v[60:61], 0.5, v[46:47]
	s_delay_alu instid0(VALU_DEP_1) | instskip(NEXT) | instid1(VALU_DEP_1)
	v_add_f64_e64 v[62:63], -v[60:61], 1.0
	v_add_f64_e64 v[64:65], -v[62:63], 1.0
	s_delay_alu instid0(VALU_DEP_1) | instskip(SKIP_1) | instid1(VALU_DEP_1)
	v_add_f64_e64 v[60:61], v[64:65], -v[60:61]
	v_mov_b64_e32 v[64:65], 0xbf56c16c16c16967
	v_fmac_f64_e32 v[64:65], v[46:47], v[50:51]
	v_mov_b64_e32 v[50:51], 0x3f81111111110bb3
	s_delay_alu instid0(VALU_DEP_1) | instskip(SKIP_1) | instid1(VALU_DEP_1)
	v_fmac_f64_e32 v[50:51], v[46:47], v[32:33]
	v_mul_f64_e32 v[32:33], 0.5, v[24:25]
	v_fmac_f64_e32 v[32:33], v[66:67], v[50:51]
	v_fma_f64 v[50:51], v[22:23], -v[24:25], v[60:61]
	s_delay_alu instid0(VALU_DEP_2) | instskip(SKIP_1) | instid1(VALU_DEP_1)
	v_fma_f64 v[24:25], v[46:47], v[32:33], -v[24:25]
	v_fmaak_f64 v[32:33], v[42:43], v[58:59], 0xbe927e4fa17f65f6
	v_fmaak_f64 v[32:33], v[42:43], v[32:33], 0x3efa01a019f4ec90
	s_delay_alu instid0(VALU_DEP_1) | instskip(NEXT) | instid1(VALU_DEP_1)
	v_fmaak_f64 v[32:33], v[42:43], v[32:33], 0xbf56c16c16c16967
	v_fmaak_f64 v[32:33], v[42:43], v[32:33], 0x3fa5555555555555
	v_fmac_f64_e32 v[24:25], 0xbfc5555555555555, v[66:67]
	s_delay_alu instid0(VALU_DEP_1) | instskip(SKIP_2) | instid1(VALU_DEP_2)
	v_add_f64_e64 v[22:23], v[22:23], -v[24:25]
	v_dual_add_f64 v[16:17], v[40:41], v[36:37] :: v_dual_bitop2_b32 v25, 1, v27 bitop3:0x40
	v_and_b32_e32 v24, 1, v28
	v_cmp_eq_u32_e64 s1, 0, v25
	v_fma_f64 v[48:49], v[42:43], v[52:53], -v[12:13]
	v_mul_f64_e32 v[42:43], v[42:43], v[42:43]
	s_delay_alu instid0(VALU_DEP_4) | instskip(SKIP_1) | instid1(VALU_DEP_1)
	v_cmp_eq_u32_e32 vcc_lo, 0, v24
	v_dual_cndmask_b32 v3, v21, v19 :: v_dual_cndmask_b32 v18, v20, v18
	v_bitop3_b32 v3, v3, v2, 0x80000000 bitop3:0x78
	s_delay_alu instid0(VALU_DEP_2) | instskip(NEXT) | instid1(VALU_DEP_2)
	v_cndmask_b32_e64 v2, 0, v18, s0
	v_cndmask_b32_e64 v3, 0x7ff80000, v3, s0
	s_mov_b32 s0, 0
	v_dual_fma_f64 v[12:13], v[10:11], -v[12:13], v[44:45] :: v_dual_cndmask_b32 v14, v16, v14, s1
	v_cndmask_b32_e64 v7, v17, v15, s1
	v_mov_b64_e32 v[44:45], 0x3fa5555555555555
	s_delay_alu instid0(VALU_DEP_3) | instskip(SKIP_1) | instid1(VALU_DEP_4)
	v_cndmask_b32_e64 v8, 0, v14, s2
	v_fmac_f64_e32 v[48:49], 0xbfc5555555555555, v[30:31]
	v_bitop3_b32 v4, v7, v4, 0x80000000 bitop3:0x78
	s_delay_alu instid0(VALU_DEP_4)
	v_fmac_f64_e32 v[44:45], v[46:47], v[64:65]
	v_mul_f64_e32 v[46:47], v[46:47], v[46:47]
	v_fmac_f64_e32 v[12:13], v[42:43], v[32:33]
	v_and_b32_e32 v32, 1, v26
	v_and_b32_e32 v33, 1, v29
	v_add_f64_e64 v[10:11], v[10:11], -v[48:49]
	s_delay_alu instid0(VALU_DEP_3) | instskip(NEXT) | instid1(VALU_DEP_3)
	v_cmp_eq_u32_e64 s3, 0, v32
	v_cmp_eq_u32_e64 s5, 0, v33
	v_add_f64_e32 v[12:13], v[56:57], v[12:13]
	s_delay_alu instid0(VALU_DEP_1) | instskip(SKIP_1) | instid1(VALU_DEP_3)
	v_cndmask_b32_e64 v9, v13, v11, s3
	v_fmac_f64_e32 v[50:51], v[46:47], v[44:45]
	v_cndmask_b32_e64 v10, v12, v10, s3
	s_delay_alu instid0(VALU_DEP_3) | instskip(SKIP_1) | instid1(VALU_DEP_3)
	v_bitop3_b32 v7, v9, v6, 0x80000000 bitop3:0x78
	v_cndmask_b32_e64 v9, 0x7ff80000, v4, s2
	v_cndmask_b32_e64 v6, 0, v10, s4
	s_add_nc_u64 s[2:3], s[8:9], s[14:15]
	s_delay_alu instid0(VALU_DEP_3) | instskip(SKIP_1) | instid1(VALU_DEP_1)
	v_cndmask_b32_e64 v7, 0x7ff80000, v7, s4
	v_add_f64_e32 v[30:31], v[62:63], v[50:51]
	v_dual_cndmask_b32 v11, v31, v23, s5 :: v_dual_cndmask_b32 v12, v30, v22, s5
	s_delay_alu instid0(VALU_DEP_1) | instskip(NEXT) | instid1(VALU_DEP_2)
	v_bitop3_b32 v5, v11, v5, 0x80000000 bitop3:0x78
	v_cndmask_b32_e64 v4, 0, v12, s6
	s_delay_alu instid0(VALU_DEP_2)
	v_cndmask_b32_e64 v5, 0x7ff80000, v5, s6
	s_clause 0x1
	global_store_b128 v1, v[6:9], s[2:3]
	global_store_b128 v1, v[2:5], s[2:3] offset:16
.LBB2_18:
	s_and_b32 vcc_lo, exec_lo, s0
	s_cbranch_vccz .LBB2_51
; %bb.19:
	v_mov_b64_e32 v[14:15], 0
	v_mov_b64_e32 v[16:17], 0
	v_cmp_gt_i32_e32 vcc_lo, s7, v0
	s_wait_xcnt 0x0
	v_dual_mov_b32 v4, v0 :: v_dual_bitop2_b32 v1, s12, v0 bitop3:0x54
	v_or_b32_e32 v18, 0x100, v0
	s_and_saveexec_b32 s0, vcc_lo
	s_cbranch_execz .LBB2_21
; %bb.20:
	global_load_b64 v[16:17], v1, s[10:11] scale_offset
	v_or_b32_e32 v4, 0x100, v0
.LBB2_21:
	s_wait_xcnt 0x0
	s_or_b32 exec_lo, exec_lo, s0
	s_delay_alu instid0(SALU_CYCLE_1) | instskip(NEXT) | instid1(VALU_DEP_1)
	s_mov_b32 s1, exec_lo
	v_cmpx_gt_i32_e64 s7, v4
	s_cbranch_execz .LBB2_23
; %bb.22:
	v_add_nc_u32_e32 v2, s12, v4
	v_add_nc_u32_e32 v4, 0x100, v4
	global_load_b64 v[14:15], v2, s[10:11] scale_offset
.LBB2_23:
	s_wait_xcnt 0x0
	s_or_b32 exec_lo, exec_lo, s1
	v_mov_b64_e32 v[2:3], 0
	v_mov_b64_e32 v[6:7], 0
	s_mov_b32 s1, exec_lo
	v_cmpx_gt_i32_e64 s7, v4
	s_cbranch_execz .LBB2_25
; %bb.24:
	v_add_nc_u32_e32 v5, s12, v4
	v_add_nc_u32_e32 v4, 0x100, v4
	global_load_b64 v[6:7], v5, s[10:11] scale_offset
.LBB2_25:
	s_wait_xcnt 0x0
	s_or_b32 exec_lo, exec_lo, s1
	s_delay_alu instid0(SALU_CYCLE_1)
	s_mov_b32 s1, exec_lo
	v_cmpx_gt_i32_e64 s7, v4
	s_cbranch_execz .LBB2_27
; %bb.26:
	v_add_nc_u32_e32 v2, s12, v4
	global_load_b64 v[2:3], v2, s[10:11] scale_offset
.LBB2_27:
	s_wait_xcnt 0x0
	s_or_b32 exec_lo, exec_lo, s1
	v_mov_b32_e32 v4, 0
	s_delay_alu instid0(VALU_DEP_1)
	v_dual_mov_b32 v5, v4 :: v_dual_mov_b32 v12, v4
	v_dual_mov_b32 v13, v4 :: v_dual_mov_b32 v10, v4
	;; [unrolled: 1-line block ×3, first 2 shown]
	v_mov_b32_e32 v9, v4
	s_and_saveexec_b32 s2, vcc_lo
	s_cbranch_execz .LBB2_33
; %bb.28:
	s_mov_b32 s1, exec_lo
                                        ; implicit-def: $vgpr10
                                        ; implicit-def: $vgpr4_vgpr5
                                        ; implicit-def: $vgpr8_vgpr9
	s_wait_loadcnt 0x0
	v_cmpx_ngt_f64_e64 0x41d00000, |v[16:17]|
	s_xor_b32 s1, exec_lo, s1
	s_cbranch_execz .LBB2_30
; %bb.29:
	v_ldexp_f64 v[4:5], |v[16:17]|, 0xffffff80
	v_cmp_le_f64_e64 s0, 0x7b000000, |v[16:17]|
	v_trig_preop_f64 v[8:9], |v[16:17]|, 0
	v_and_b32_e32 v10, 0x7fffffff, v17
	v_trig_preop_f64 v[26:27], |v[16:17]|, 2
	s_mov_b64 s[4:5], 0x3ff921fb54442d18
	s_delay_alu instid0(VALU_DEP_2) | instskip(SKIP_2) | instid1(VALU_DEP_2)
	v_dual_mov_b32 v34, 0 :: v_dual_cndmask_b32 v5, v10, v5, s0
	v_cndmask_b32_e64 v4, v16, v4, s0
	v_trig_preop_f64 v[10:11], |v[16:17]|, 1
	v_mul_f64_e32 v[12:13], v[8:9], v[4:5]
	v_mul_f64_e32 v[32:33], v[26:27], v[4:5]
	s_delay_alu instid0(VALU_DEP_3) | instskip(NEXT) | instid1(VALU_DEP_3)
	v_mul_f64_e32 v[20:21], v[10:11], v[4:5]
	v_fma_f64 v[8:9], v[8:9], v[4:5], -v[12:13]
	s_delay_alu instid0(VALU_DEP_2) | instskip(NEXT) | instid1(VALU_DEP_4)
	v_fma_f64 v[10:11], v[10:11], v[4:5], -v[20:21]
	v_fma_f64 v[4:5], v[26:27], v[4:5], -v[32:33]
	s_delay_alu instid0(VALU_DEP_3) | instskip(NEXT) | instid1(VALU_DEP_1)
	v_add_f64_e32 v[22:23], v[20:21], v[8:9]
	v_add_f64_e64 v[24:25], v[22:23], -v[20:21]
	v_add_f64_e32 v[30:31], v[12:13], v[22:23]
	s_delay_alu instid0(VALU_DEP_2) | instskip(SKIP_1) | instid1(VALU_DEP_3)
	v_add_f64_e64 v[28:29], v[22:23], -v[24:25]
	v_add_f64_e64 v[8:9], v[8:9], -v[24:25]
	v_ldexp_f64 v[24:25], v[30:31], -2
	s_delay_alu instid0(VALU_DEP_3) | instskip(NEXT) | instid1(VALU_DEP_2)
	v_add_f64_e64 v[20:21], v[20:21], -v[28:29]
	v_cmp_neq_f64_e64 s0, 0x7ff00000, |v[24:25]|
	s_delay_alu instid0(VALU_DEP_2) | instskip(SKIP_1) | instid1(VALU_DEP_1)
	v_add_f64_e32 v[8:9], v[8:9], v[20:21]
	v_fract_f64_e32 v[20:21], v[24:25]
	v_ldexp_f64 v[20:21], v[20:21], 2
	s_delay_alu instid0(VALU_DEP_1) | instskip(NEXT) | instid1(VALU_DEP_2)
	v_dual_add_f64 v[28:29], v[32:33], v[10:11] :: v_dual_cndmask_b32 v20, 0, v20, s0
	v_cndmask_b32_e64 v21, 0, v21, s0
	v_add_f64_e64 v[12:13], v[30:31], -v[12:13]
	s_delay_alu instid0(VALU_DEP_1) | instskip(NEXT) | instid1(VALU_DEP_4)
	v_add_f64_e64 v[12:13], v[22:23], -v[12:13]
	v_add_f64_e32 v[22:23], v[28:29], v[8:9]
	s_delay_alu instid0(VALU_DEP_1) | instskip(SKIP_1) | instid1(VALU_DEP_2)
	v_add_f64_e32 v[24:25], v[12:13], v[22:23]
	v_add_f64_e64 v[36:37], v[22:23], -v[28:29]
	v_add_f64_e32 v[30:31], v[24:25], v[20:21]
	s_delay_alu instid0(VALU_DEP_2) | instskip(SKIP_2) | instid1(VALU_DEP_4)
	v_add_f64_e64 v[42:43], v[22:23], -v[36:37]
	v_add_f64_e64 v[8:9], v[8:9], -v[36:37]
	;; [unrolled: 1-line block ×3, first 2 shown]
	v_cmp_gt_f64_e64 s0, 0, v[30:31]
	v_add_f64_e64 v[30:31], v[28:29], -v[32:33]
	s_delay_alu instid0(VALU_DEP_2) | instskip(NEXT) | instid1(VALU_DEP_2)
	v_cndmask_b32_e64 v35, 0, 0x40100000, s0
	v_add_f64_e64 v[40:41], v[28:29], -v[30:31]
	v_add_f64_e64 v[10:11], v[10:11], -v[30:31]
	;; [unrolled: 1-line block ×3, first 2 shown]
	s_delay_alu instid0(VALU_DEP_4) | instskip(NEXT) | instid1(VALU_DEP_4)
	v_add_f64_e32 v[20:21], v[20:21], v[34:35]
	v_add_f64_e64 v[30:31], v[32:33], -v[40:41]
	s_delay_alu instid0(VALU_DEP_3) | instskip(NEXT) | instid1(VALU_DEP_3)
	v_add_f64_e32 v[8:9], v[8:9], v[28:29]
	v_add_f64_e32 v[38:39], v[24:25], v[20:21]
	s_delay_alu instid0(VALU_DEP_3) | instskip(NEXT) | instid1(VALU_DEP_2)
	v_add_f64_e32 v[10:11], v[10:11], v[30:31]
	v_cvt_i32_f64_e32 v19, v[38:39]
	s_delay_alu instid0(VALU_DEP_2) | instskip(SKIP_1) | instid1(VALU_DEP_3)
	v_add_f64_e32 v[8:9], v[10:11], v[8:9]
	v_add_f64_e64 v[10:11], v[22:23], -v[12:13]
	v_cvt_f64_i32_e32 v[36:37], v19
	s_delay_alu instid0(VALU_DEP_3) | instskip(NEXT) | instid1(VALU_DEP_2)
	v_add_f64_e32 v[4:5], v[4:5], v[8:9]
	v_add_f64_e64 v[20:21], v[20:21], -v[36:37]
	s_delay_alu instid0(VALU_DEP_2) | instskip(NEXT) | instid1(VALU_DEP_2)
	v_add_f64_e32 v[4:5], v[10:11], v[4:5]
	v_add_f64_e32 v[26:27], v[24:25], v[20:21]
	s_delay_alu instid0(VALU_DEP_1) | instskip(SKIP_1) | instid1(VALU_DEP_2)
	v_add_f64_e64 v[8:9], v[26:27], -v[20:21]
	v_cmp_le_f64_e64 s0, 0.5, v[26:27]
	v_add_f64_e64 v[8:9], v[24:25], -v[8:9]
	s_delay_alu instid0(VALU_DEP_2) | instskip(SKIP_1) | instid1(VALU_DEP_3)
	v_cndmask_b32_e64 v35, 0, 0x3ff00000, s0
	v_add_co_ci_u32_e64 v10, null, 0, v19, s0
	v_add_f64_e32 v[4:5], v[4:5], v[8:9]
	s_delay_alu instid0(VALU_DEP_3) | instskip(NEXT) | instid1(VALU_DEP_1)
	v_add_f64_e64 v[8:9], v[26:27], -v[34:35]
	v_add_f64_e32 v[12:13], v[8:9], v[4:5]
	s_delay_alu instid0(VALU_DEP_1) | instskip(SKIP_1) | instid1(VALU_DEP_2)
	v_mul_f64_e32 v[20:21], 0x3ff921fb54442d18, v[12:13]
	v_add_f64_e64 v[8:9], v[12:13], -v[8:9]
	v_fma_f64 v[22:23], v[12:13], s[4:5], -v[20:21]
	s_delay_alu instid0(VALU_DEP_2) | instskip(NEXT) | instid1(VALU_DEP_2)
	v_add_f64_e64 v[4:5], v[4:5], -v[8:9]
	v_fmamk_f64 v[8:9], v[12:13], 0x3c91a62633145c07, v[22:23]
	s_delay_alu instid0(VALU_DEP_1) | instskip(NEXT) | instid1(VALU_DEP_1)
	v_fmac_f64_e32 v[8:9], 0x3ff921fb54442d18, v[4:5]
	v_add_f64_e32 v[4:5], v[20:21], v[8:9]
	s_delay_alu instid0(VALU_DEP_1) | instskip(NEXT) | instid1(VALU_DEP_1)
	v_add_f64_e64 v[12:13], v[4:5], -v[20:21]
	v_add_f64_e64 v[8:9], v[8:9], -v[12:13]
.LBB2_30:
	s_and_not1_saveexec_b32 s0, s1
	s_cbranch_execz .LBB2_32
; %bb.31:
	s_mov_b64 s[4:5], 0x3fe45f306dc9c883
	s_delay_alu instid0(SALU_CYCLE_1) | instskip(SKIP_1) | instid1(VALU_DEP_1)
	v_mul_f64_e64 v[4:5], |v[16:17]|, s[4:5]
	s_mov_b64 s[4:5], 0xbff921fb54442d18
	v_rndne_f64_e32 v[10:11], v[4:5]
	s_delay_alu instid0(VALU_DEP_1) | instskip(SKIP_1) | instid1(VALU_DEP_2)
	v_fma_f64 v[4:5], v[10:11], s[4:5], |v[16:17]|
	v_mul_f64_e32 v[8:9], 0xbc91a62633145c00, v[10:11]
	v_fmamk_f64 v[22:23], v[10:11], 0xbc91a62633145c00, v[4:5]
	s_delay_alu instid0(VALU_DEP_2) | instskip(NEXT) | instid1(VALU_DEP_1)
	v_add_f64_e32 v[12:13], v[4:5], v[8:9]
	v_add_f64_e64 v[20:21], v[4:5], -v[12:13]
	s_delay_alu instid0(VALU_DEP_3) | instskip(NEXT) | instid1(VALU_DEP_2)
	v_add_f64_e64 v[4:5], v[12:13], -v[22:23]
	v_add_f64_e32 v[12:13], v[20:21], v[8:9]
	v_fmamk_f64 v[8:9], v[10:11], 0x3c91a62633145c00, v[8:9]
	s_delay_alu instid0(VALU_DEP_2) | instskip(NEXT) | instid1(VALU_DEP_1)
	v_add_f64_e32 v[4:5], v[4:5], v[12:13]
	v_add_f64_e64 v[4:5], v[4:5], -v[8:9]
	s_delay_alu instid0(VALU_DEP_1) | instskip(SKIP_1) | instid1(VALU_DEP_2)
	v_fmamk_f64 v[8:9], v[10:11], 0xb97b839a252049c0, v[4:5]
	v_cvt_i32_f64_e32 v10, v[10:11]
	v_add_f64_e32 v[4:5], v[22:23], v[8:9]
	s_delay_alu instid0(VALU_DEP_1) | instskip(NEXT) | instid1(VALU_DEP_1)
	v_add_f64_e64 v[12:13], v[4:5], -v[22:23]
	v_add_f64_e64 v[8:9], v[8:9], -v[12:13]
.LBB2_32:
	s_or_b32 exec_lo, exec_lo, s0
	s_delay_alu instid0(VALU_DEP_4) | instskip(NEXT) | instid1(VALU_DEP_2)
	v_dual_mul_f64 v[12:13], v[4:5], v[4:5] :: v_dual_bitop2_b32 v11, 1, v10 bitop3:0x40
	v_mul_f64_e32 v[26:27], 0.5, v[8:9]
	s_mov_b64 s[0:1], 0x3de5e0b2f9a43bb8
	s_delay_alu instid0(VALU_DEP_2) | instskip(SKIP_3) | instid1(VALU_DEP_3)
	v_mul_f64_e32 v[20:21], 0.5, v[12:13]
	v_mul_f64_e64 v[28:29], v[4:5], -v[12:13]
	v_fmaak_f64 v[30:31], s[0:1], v[12:13], 0xbe5ae600b42fdfa7
	s_mov_b64 s[0:1], 0xbda907db46cc5e42
	v_add_f64_e64 v[22:23], -v[20:21], 1.0
	s_delay_alu instid0(VALU_DEP_1) | instskip(NEXT) | instid1(VALU_DEP_1)
	v_add_f64_e64 v[24:25], -v[22:23], 1.0
	v_add_f64_e64 v[20:21], v[24:25], -v[20:21]
	s_delay_alu instid0(VALU_DEP_4) | instskip(SKIP_1) | instid1(VALU_DEP_2)
	v_fmaak_f64 v[24:25], v[12:13], v[30:31], 0x3ec71de3796cde01
	v_mul_f64_e32 v[30:31], v[12:13], v[12:13]
	v_fmaak_f64 v[24:25], v[12:13], v[24:25], 0xbf2a01a019e83e5c
	s_delay_alu instid0(VALU_DEP_1) | instskip(NEXT) | instid1(VALU_DEP_1)
	v_fmaak_f64 v[24:25], v[12:13], v[24:25], 0x3f81111111110bb3
	v_fmac_f64_e32 v[26:27], v[28:29], v[24:25]
	v_fmaak_f64 v[24:25], s[0:1], v[12:13], 0x3e21eeb69037ab78
	v_cmp_class_f64_e64 s1, v[16:17], 0x1f8
	v_cmp_eq_u32_e64 s0, 0, v11
	s_delay_alu instid0(VALU_DEP_3) | instskip(SKIP_1) | instid1(VALU_DEP_2)
	v_fmaak_f64 v[24:25], v[12:13], v[24:25], 0xbe927e4fa17f65f6
	v_fma_f64 v[20:21], v[4:5], -v[8:9], v[20:21]
	v_fmaak_f64 v[24:25], v[12:13], v[24:25], 0x3efa01a019f4ec90
	s_delay_alu instid0(VALU_DEP_1) | instskip(SKIP_1) | instid1(VALU_DEP_2)
	v_fmaak_f64 v[24:25], v[12:13], v[24:25], 0xbf56c16c16c16967
	v_fma_f64 v[8:9], v[12:13], v[26:27], -v[8:9]
	v_fmaak_f64 v[12:13], v[12:13], v[24:25], 0x3fa5555555555555
	s_delay_alu instid0(VALU_DEP_1) | instskip(SKIP_1) | instid1(VALU_DEP_1)
	v_fmac_f64_e32 v[20:21], v[30:31], v[12:13]
	v_mov_b32_e32 v12, 0
	v_dual_mov_b32 v11, v12 :: v_dual_mov_b32 v13, v12
	v_fmamk_f64 v[8:9], v[28:29], 0xbfc5555555555555, v[8:9]
	s_delay_alu instid0(VALU_DEP_1) | instskip(SKIP_1) | instid1(VALU_DEP_1)
	v_add_f64_e64 v[4:5], v[4:5], -v[8:9]
	v_add_f64_e32 v[8:9], v[22:23], v[20:21]
	v_dual_cndmask_b32 v4, v8, v4, s0 :: v_dual_lshlrev_b32 v8, 30, v10
	s_delay_alu instid0(VALU_DEP_2) | instskip(SKIP_1) | instid1(VALU_DEP_3)
	v_dual_cndmask_b32 v5, v9, v5, s0 :: v_dual_mov_b32 v10, v12
	v_mov_b32_e32 v9, v12
	v_dual_cndmask_b32 v4, 0, v4, s1 :: v_dual_bitop2_b32 v8, v8, v17 bitop3:0x14
	s_delay_alu instid0(VALU_DEP_1) | instskip(SKIP_1) | instid1(VALU_DEP_2)
	v_bitop3_b32 v5, v5, v8, 0x80000000 bitop3:0x78
	v_mov_b32_e32 v8, v12
	v_cndmask_b32_e64 v5, 0x7ff80000, v5, s1
.LBB2_33:
	s_or_b32 exec_lo, exec_lo, s2
	s_delay_alu instid0(SALU_CYCLE_1)
	s_mov_b32 s1, exec_lo
	v_cmpx_gt_i32_e64 s7, v18
	s_cbranch_execz .LBB2_39
; %bb.34:
	s_mov_b32 s2, exec_lo
                                        ; implicit-def: $vgpr19
                                        ; implicit-def: $vgpr12_vgpr13
                                        ; implicit-def: $vgpr16_vgpr17
	s_wait_loadcnt 0x0
	v_cmpx_ngt_f64_e64 0x41d00000, |v[14:15]|
	s_xor_b32 s2, exec_lo, s2
	s_cbranch_execz .LBB2_36
; %bb.35:
	v_ldexp_f64 v[12:13], |v[14:15]|, 0xffffff80
	v_cmp_le_f64_e64 s0, 0x7b000000, |v[14:15]|
	v_trig_preop_f64 v[16:17], |v[14:15]|, 0
	v_and_b32_e32 v19, 0x7fffffff, v15
	v_trig_preop_f64 v[20:21], |v[14:15]|, 1
	v_trig_preop_f64 v[30:31], |v[14:15]|, 2
	s_mov_b64 s[4:5], 0x3ff921fb54442d18
	s_delay_alu instid0(VALU_DEP_3) | instskip(SKIP_1) | instid1(VALU_DEP_1)
	v_dual_mov_b32 v38, 0 :: v_dual_cndmask_b32 v13, v19, v13, s0
	v_cndmask_b32_e64 v12, v14, v12, s0
	v_mul_f64_e32 v[22:23], v[16:17], v[12:13]
	v_mul_f64_e32 v[24:25], v[20:21], v[12:13]
	;; [unrolled: 1-line block ×3, first 2 shown]
	s_delay_alu instid0(VALU_DEP_3) | instskip(NEXT) | instid1(VALU_DEP_3)
	v_fma_f64 v[16:17], v[16:17], v[12:13], -v[22:23]
	v_fma_f64 v[20:21], v[20:21], v[12:13], -v[24:25]
	s_delay_alu instid0(VALU_DEP_3) | instskip(NEXT) | instid1(VALU_DEP_3)
	v_fma_f64 v[12:13], v[30:31], v[12:13], -v[36:37]
	v_add_f64_e32 v[26:27], v[24:25], v[16:17]
	s_delay_alu instid0(VALU_DEP_1) | instskip(SKIP_1) | instid1(VALU_DEP_2)
	v_add_f64_e64 v[28:29], v[26:27], -v[24:25]
	v_add_f64_e32 v[34:35], v[22:23], v[26:27]
	v_add_f64_e64 v[32:33], v[26:27], -v[28:29]
	v_add_f64_e64 v[16:17], v[16:17], -v[28:29]
	s_delay_alu instid0(VALU_DEP_3) | instskip(NEXT) | instid1(VALU_DEP_3)
	v_ldexp_f64 v[28:29], v[34:35], -2
	v_add_f64_e64 v[24:25], v[24:25], -v[32:33]
	v_add_f64_e32 v[32:33], v[36:37], v[20:21]
	s_delay_alu instid0(VALU_DEP_3) | instskip(NEXT) | instid1(VALU_DEP_3)
	v_cmp_neq_f64_e64 s0, 0x7ff00000, |v[28:29]|
	v_add_f64_e32 v[16:17], v[16:17], v[24:25]
	v_fract_f64_e32 v[24:25], v[28:29]
	s_delay_alu instid0(VALU_DEP_1) | instskip(NEXT) | instid1(VALU_DEP_1)
	v_ldexp_f64 v[24:25], v[24:25], 2
	v_dual_add_f64 v[22:23], v[34:35], -v[22:23] :: v_dual_cndmask_b32 v25, 0, v25, s0
	s_delay_alu instid0(VALU_DEP_1) | instskip(SKIP_1) | instid1(VALU_DEP_1)
	v_dual_add_f64 v[22:23], v[26:27], -v[22:23] :: v_dual_cndmask_b32 v24, 0, v24, s0
	v_add_f64_e32 v[26:27], v[32:33], v[16:17]
	v_add_f64_e32 v[28:29], v[22:23], v[26:27]
	v_add_f64_e64 v[40:41], v[26:27], -v[32:33]
	s_delay_alu instid0(VALU_DEP_2) | instskip(NEXT) | instid1(VALU_DEP_2)
	v_add_f64_e32 v[34:35], v[28:29], v[24:25]
	v_add_f64_e64 v[46:47], v[26:27], -v[40:41]
	v_add_f64_e64 v[16:17], v[16:17], -v[40:41]
	;; [unrolled: 1-line block ×3, first 2 shown]
	s_delay_alu instid0(VALU_DEP_4) | instskip(SKIP_1) | instid1(VALU_DEP_3)
	v_cmp_gt_f64_e64 s0, 0, v[34:35]
	v_add_f64_e64 v[34:35], v[32:33], -v[36:37]
	v_add_f64_e64 v[22:23], v[26:27], -v[22:23]
	s_delay_alu instid0(VALU_DEP_3) | instskip(NEXT) | instid1(VALU_DEP_3)
	v_cndmask_b32_e64 v39, 0, 0x40100000, s0
	v_add_f64_e64 v[44:45], v[32:33], -v[34:35]
	v_add_f64_e64 v[20:21], v[20:21], -v[34:35]
	;; [unrolled: 1-line block ×3, first 2 shown]
	s_delay_alu instid0(VALU_DEP_4) | instskip(NEXT) | instid1(VALU_DEP_4)
	v_add_f64_e32 v[24:25], v[24:25], v[38:39]
	v_add_f64_e64 v[34:35], v[36:37], -v[44:45]
	s_delay_alu instid0(VALU_DEP_3) | instskip(NEXT) | instid1(VALU_DEP_3)
	v_add_f64_e32 v[16:17], v[16:17], v[32:33]
	v_add_f64_e32 v[42:43], v[28:29], v[24:25]
	s_delay_alu instid0(VALU_DEP_3) | instskip(NEXT) | instid1(VALU_DEP_2)
	v_add_f64_e32 v[20:21], v[20:21], v[34:35]
	v_cvt_i32_f64_e32 v19, v[42:43]
	s_delay_alu instid0(VALU_DEP_2) | instskip(NEXT) | instid1(VALU_DEP_2)
	v_add_f64_e32 v[16:17], v[20:21], v[16:17]
	v_cvt_f64_i32_e32 v[40:41], v19
	s_delay_alu instid0(VALU_DEP_2) | instskip(NEXT) | instid1(VALU_DEP_2)
	v_add_f64_e32 v[12:13], v[12:13], v[16:17]
	v_add_f64_e64 v[24:25], v[24:25], -v[40:41]
	s_delay_alu instid0(VALU_DEP_2) | instskip(NEXT) | instid1(VALU_DEP_2)
	v_add_f64_e32 v[12:13], v[22:23], v[12:13]
	v_add_f64_e32 v[20:21], v[28:29], v[24:25]
	s_delay_alu instid0(VALU_DEP_1) | instskip(SKIP_1) | instid1(VALU_DEP_2)
	v_add_f64_e64 v[16:17], v[20:21], -v[24:25]
	v_cmp_le_f64_e64 s0, 0.5, v[20:21]
	v_add_f64_e64 v[16:17], v[28:29], -v[16:17]
	s_delay_alu instid0(VALU_DEP_2) | instskip(SKIP_1) | instid1(VALU_DEP_3)
	v_cndmask_b32_e64 v39, 0, 0x3ff00000, s0
	v_add_co_ci_u32_e64 v19, null, 0, v19, s0
	v_add_f64_e32 v[12:13], v[12:13], v[16:17]
	s_delay_alu instid0(VALU_DEP_3) | instskip(NEXT) | instid1(VALU_DEP_1)
	v_add_f64_e64 v[16:17], v[20:21], -v[38:39]
	v_add_f64_e32 v[20:21], v[16:17], v[12:13]
	s_delay_alu instid0(VALU_DEP_1) | instskip(SKIP_1) | instid1(VALU_DEP_2)
	v_mul_f64_e32 v[22:23], 0x3ff921fb54442d18, v[20:21]
	v_add_f64_e64 v[16:17], v[20:21], -v[16:17]
	v_fma_f64 v[24:25], v[20:21], s[4:5], -v[22:23]
	s_delay_alu instid0(VALU_DEP_2) | instskip(NEXT) | instid1(VALU_DEP_2)
	v_add_f64_e64 v[12:13], v[12:13], -v[16:17]
	v_fmamk_f64 v[16:17], v[20:21], 0x3c91a62633145c07, v[24:25]
	s_delay_alu instid0(VALU_DEP_1) | instskip(NEXT) | instid1(VALU_DEP_1)
	v_fmac_f64_e32 v[16:17], 0x3ff921fb54442d18, v[12:13]
	v_add_f64_e32 v[12:13], v[22:23], v[16:17]
	s_delay_alu instid0(VALU_DEP_1) | instskip(NEXT) | instid1(VALU_DEP_1)
	v_add_f64_e64 v[20:21], v[12:13], -v[22:23]
	v_add_f64_e64 v[16:17], v[16:17], -v[20:21]
.LBB2_36:
	s_and_not1_saveexec_b32 s0, s2
	s_cbranch_execz .LBB2_38
; %bb.37:
	s_mov_b64 s[2:3], 0x3fe45f306dc9c883
	s_delay_alu instid0(SALU_CYCLE_1) | instskip(SKIP_1) | instid1(VALU_DEP_1)
	v_mul_f64_e64 v[12:13], |v[14:15]|, s[2:3]
	s_mov_b64 s[2:3], 0xbff921fb54442d18
	v_rndne_f64_e32 v[20:21], v[12:13]
	s_delay_alu instid0(VALU_DEP_1) | instskip(SKIP_2) | instid1(VALU_DEP_3)
	v_fma_f64 v[12:13], v[20:21], s[2:3], |v[14:15]|
	v_mul_f64_e32 v[16:17], 0xbc91a62633145c00, v[20:21]
	v_cvt_i32_f64_e32 v19, v[20:21]
	v_fmamk_f64 v[26:27], v[20:21], 0xbc91a62633145c00, v[12:13]
	s_delay_alu instid0(VALU_DEP_3) | instskip(NEXT) | instid1(VALU_DEP_1)
	v_add_f64_e32 v[22:23], v[12:13], v[16:17]
	v_add_f64_e64 v[24:25], v[12:13], -v[22:23]
	s_delay_alu instid0(VALU_DEP_3) | instskip(NEXT) | instid1(VALU_DEP_2)
	v_add_f64_e64 v[12:13], v[22:23], -v[26:27]
	v_add_f64_e32 v[22:23], v[24:25], v[16:17]
	v_fmamk_f64 v[16:17], v[20:21], 0x3c91a62633145c00, v[16:17]
	s_delay_alu instid0(VALU_DEP_2) | instskip(NEXT) | instid1(VALU_DEP_1)
	v_add_f64_e32 v[12:13], v[12:13], v[22:23]
	v_add_f64_e64 v[12:13], v[12:13], -v[16:17]
	s_delay_alu instid0(VALU_DEP_1) | instskip(NEXT) | instid1(VALU_DEP_1)
	v_fmamk_f64 v[16:17], v[20:21], 0xb97b839a252049c0, v[12:13]
	v_add_f64_e32 v[12:13], v[26:27], v[16:17]
	s_delay_alu instid0(VALU_DEP_1) | instskip(NEXT) | instid1(VALU_DEP_1)
	v_add_f64_e64 v[22:23], v[12:13], -v[26:27]
	v_add_f64_e64 v[16:17], v[16:17], -v[22:23]
.LBB2_38:
	s_or_b32 exec_lo, exec_lo, s0
	v_mul_f64_e32 v[20:21], v[12:13], v[12:13]
	s_delay_alu instid0(VALU_DEP_2) | instskip(SKIP_1) | instid1(VALU_DEP_2)
	v_mul_f64_e32 v[28:29], 0.5, v[16:17]
	s_mov_b64 s[2:3], 0x3de5e0b2f9a43bb8
	v_mul_f64_e32 v[22:23], 0.5, v[20:21]
	v_mul_f64_e64 v[30:31], v[12:13], -v[20:21]
	v_fmaak_f64 v[32:33], s[2:3], v[20:21], 0xbe5ae600b42fdfa7
	s_mov_b64 s[2:3], 0xbda907db46cc5e42
	s_delay_alu instid0(VALU_DEP_3) | instskip(NEXT) | instid1(VALU_DEP_1)
	v_add_f64_e64 v[24:25], -v[22:23], 1.0
	v_add_f64_e64 v[26:27], -v[24:25], 1.0
	s_delay_alu instid0(VALU_DEP_1) | instskip(NEXT) | instid1(VALU_DEP_4)
	v_add_f64_e64 v[22:23], v[26:27], -v[22:23]
	v_fmaak_f64 v[26:27], v[20:21], v[32:33], 0x3ec71de3796cde01
	v_mul_f64_e32 v[32:33], v[20:21], v[20:21]
	s_delay_alu instid0(VALU_DEP_2) | instskip(NEXT) | instid1(VALU_DEP_1)
	v_fmaak_f64 v[26:27], v[20:21], v[26:27], 0xbf2a01a019e83e5c
	v_fmaak_f64 v[26:27], v[20:21], v[26:27], 0x3f81111111110bb3
	s_delay_alu instid0(VALU_DEP_1) | instskip(SKIP_1) | instid1(VALU_DEP_1)
	v_fmac_f64_e32 v[28:29], v[30:31], v[26:27]
	v_fmaak_f64 v[26:27], s[2:3], v[20:21], 0x3e21eeb69037ab78
	v_fmaak_f64 v[26:27], v[20:21], v[26:27], 0xbe927e4fa17f65f6
	v_fma_f64 v[22:23], v[12:13], -v[16:17], v[22:23]
	s_delay_alu instid0(VALU_DEP_2) | instskip(NEXT) | instid1(VALU_DEP_1)
	v_fmaak_f64 v[26:27], v[20:21], v[26:27], 0x3efa01a019f4ec90
	v_fmaak_f64 v[26:27], v[20:21], v[26:27], 0xbf56c16c16c16967
	v_fma_f64 v[16:17], v[20:21], v[28:29], -v[16:17]
	s_delay_alu instid0(VALU_DEP_2) | instskip(NEXT) | instid1(VALU_DEP_1)
	v_fmaak_f64 v[20:21], v[20:21], v[26:27], 0x3fa5555555555555
	v_fmac_f64_e32 v[22:23], v[32:33], v[20:21]
	v_dual_lshlrev_b32 v19, 30, v19 :: v_dual_bitop2_b32 v20, 1, v19 bitop3:0x40
	s_delay_alu instid0(VALU_DEP_1) | instskip(NEXT) | instid1(VALU_DEP_2)
	v_cmp_eq_u32_e64 s0, 0, v20
	v_xor_b32_e32 v19, v19, v15
	v_fmamk_f64 v[16:17], v[30:31], 0xbfc5555555555555, v[16:17]
	s_delay_alu instid0(VALU_DEP_1) | instskip(SKIP_1) | instid1(VALU_DEP_1)
	v_add_f64_e64 v[12:13], v[12:13], -v[16:17]
	v_add_f64_e32 v[16:17], v[24:25], v[22:23]
	v_dual_cndmask_b32 v12, v16, v12, s0 :: v_dual_cndmask_b32 v13, v17, v13, s0
	v_cmp_class_f64_e64 s0, v[14:15], 0x1f8
	s_delay_alu instid0(VALU_DEP_2) | instskip(NEXT) | instid1(VALU_DEP_1)
	v_bitop3_b32 v13, v13, v19, 0x80000000 bitop3:0x78
	v_cndmask_b32_e64 v13, 0x7ff80000, v13, s0
	s_delay_alu instid0(VALU_DEP_4)
	v_cndmask_b32_e64 v12, 0, v12, s0
.LBB2_39:
	s_or_b32 exec_lo, exec_lo, s1
	s_wait_loadcnt 0x0
	v_or_b32_e32 v14, 0x200, v0
	s_mov_b32 s1, exec_lo
	s_delay_alu instid0(VALU_DEP_1)
	v_cmpx_gt_i32_e64 s7, v14
	s_cbranch_execz .LBB2_45
; %bb.40:
	s_mov_b32 s2, exec_lo
                                        ; implicit-def: $vgpr16
                                        ; implicit-def: $vgpr10_vgpr11
                                        ; implicit-def: $vgpr14_vgpr15
	v_cmpx_ngt_f64_e64 0x41d00000, |v[6:7]|
	s_xor_b32 s2, exec_lo, s2
	s_cbranch_execz .LBB2_42
; %bb.41:
	v_ldexp_f64 v[10:11], |v[6:7]|, 0xffffff80
	v_cmp_le_f64_e64 s0, 0x7b000000, |v[6:7]|
	v_trig_preop_f64 v[14:15], |v[6:7]|, 0
	v_and_b32_e32 v16, 0x7fffffff, v7
	v_trig_preop_f64 v[28:29], |v[6:7]|, 2
	s_mov_b64 s[4:5], 0x3ff921fb54442d18
	s_delay_alu instid0(VALU_DEP_2) | instskip(SKIP_2) | instid1(VALU_DEP_2)
	v_dual_mov_b32 v36, 0 :: v_dual_cndmask_b32 v11, v16, v11, s0
	v_cndmask_b32_e64 v10, v6, v10, s0
	v_trig_preop_f64 v[16:17], |v[6:7]|, 1
	v_mul_f64_e32 v[20:21], v[14:15], v[10:11]
	v_mul_f64_e32 v[34:35], v[28:29], v[10:11]
	s_delay_alu instid0(VALU_DEP_3) | instskip(NEXT) | instid1(VALU_DEP_3)
	v_mul_f64_e32 v[22:23], v[16:17], v[10:11]
	v_fma_f64 v[14:15], v[14:15], v[10:11], -v[20:21]
	s_delay_alu instid0(VALU_DEP_2) | instskip(NEXT) | instid1(VALU_DEP_4)
	v_fma_f64 v[16:17], v[16:17], v[10:11], -v[22:23]
	v_fma_f64 v[10:11], v[28:29], v[10:11], -v[34:35]
	s_delay_alu instid0(VALU_DEP_3) | instskip(NEXT) | instid1(VALU_DEP_1)
	v_add_f64_e32 v[24:25], v[22:23], v[14:15]
	v_add_f64_e64 v[26:27], v[24:25], -v[22:23]
	v_add_f64_e32 v[32:33], v[20:21], v[24:25]
	s_delay_alu instid0(VALU_DEP_2) | instskip(SKIP_1) | instid1(VALU_DEP_3)
	v_add_f64_e64 v[30:31], v[24:25], -v[26:27]
	v_add_f64_e64 v[14:15], v[14:15], -v[26:27]
	v_ldexp_f64 v[26:27], v[32:33], -2
	s_delay_alu instid0(VALU_DEP_3) | instskip(NEXT) | instid1(VALU_DEP_2)
	v_add_f64_e64 v[22:23], v[22:23], -v[30:31]
	v_cmp_neq_f64_e64 s0, 0x7ff00000, |v[26:27]|
	s_delay_alu instid0(VALU_DEP_2) | instskip(SKIP_1) | instid1(VALU_DEP_1)
	v_add_f64_e32 v[14:15], v[14:15], v[22:23]
	v_fract_f64_e32 v[22:23], v[26:27]
	v_ldexp_f64 v[22:23], v[22:23], 2
	s_delay_alu instid0(VALU_DEP_1) | instskip(NEXT) | instid1(VALU_DEP_2)
	v_dual_add_f64 v[30:31], v[34:35], v[16:17] :: v_dual_cndmask_b32 v22, 0, v22, s0
	v_dual_add_f64 v[20:21], v[32:33], -v[20:21] :: v_dual_cndmask_b32 v23, 0, v23, s0
	s_delay_alu instid0(VALU_DEP_1) | instskip(NEXT) | instid1(VALU_DEP_3)
	v_add_f64_e64 v[20:21], v[24:25], -v[20:21]
	v_add_f64_e32 v[24:25], v[30:31], v[14:15]
	s_delay_alu instid0(VALU_DEP_1) | instskip(SKIP_1) | instid1(VALU_DEP_2)
	v_add_f64_e32 v[26:27], v[20:21], v[24:25]
	v_add_f64_e64 v[38:39], v[24:25], -v[30:31]
	v_add_f64_e32 v[32:33], v[26:27], v[22:23]
	s_delay_alu instid0(VALU_DEP_2) | instskip(SKIP_2) | instid1(VALU_DEP_4)
	v_add_f64_e64 v[44:45], v[24:25], -v[38:39]
	v_add_f64_e64 v[14:15], v[14:15], -v[38:39]
	;; [unrolled: 1-line block ×3, first 2 shown]
	v_cmp_gt_f64_e64 s0, 0, v[32:33]
	v_add_f64_e64 v[32:33], v[30:31], -v[34:35]
	s_delay_alu instid0(VALU_DEP_2) | instskip(NEXT) | instid1(VALU_DEP_2)
	v_cndmask_b32_e64 v37, 0, 0x40100000, s0
	v_add_f64_e64 v[42:43], v[30:31], -v[32:33]
	v_add_f64_e64 v[16:17], v[16:17], -v[32:33]
	v_add_f64_e64 v[30:31], v[30:31], -v[44:45]
	s_delay_alu instid0(VALU_DEP_4) | instskip(NEXT) | instid1(VALU_DEP_4)
	v_add_f64_e32 v[22:23], v[22:23], v[36:37]
	v_add_f64_e64 v[32:33], v[34:35], -v[42:43]
	s_delay_alu instid0(VALU_DEP_3) | instskip(NEXT) | instid1(VALU_DEP_3)
	v_add_f64_e32 v[14:15], v[14:15], v[30:31]
	v_add_f64_e32 v[40:41], v[26:27], v[22:23]
	s_delay_alu instid0(VALU_DEP_3) | instskip(NEXT) | instid1(VALU_DEP_2)
	v_add_f64_e32 v[16:17], v[16:17], v[32:33]
	v_cvt_i32_f64_e32 v19, v[40:41]
	s_delay_alu instid0(VALU_DEP_2) | instskip(SKIP_1) | instid1(VALU_DEP_3)
	v_add_f64_e32 v[14:15], v[16:17], v[14:15]
	v_add_f64_e64 v[16:17], v[24:25], -v[20:21]
	v_cvt_f64_i32_e32 v[38:39], v19
	s_delay_alu instid0(VALU_DEP_3) | instskip(NEXT) | instid1(VALU_DEP_2)
	v_add_f64_e32 v[10:11], v[10:11], v[14:15]
	v_add_f64_e64 v[22:23], v[22:23], -v[38:39]
	s_delay_alu instid0(VALU_DEP_2) | instskip(NEXT) | instid1(VALU_DEP_2)
	v_add_f64_e32 v[10:11], v[16:17], v[10:11]
	v_add_f64_e32 v[28:29], v[26:27], v[22:23]
	s_delay_alu instid0(VALU_DEP_1) | instskip(SKIP_1) | instid1(VALU_DEP_2)
	v_add_f64_e64 v[14:15], v[28:29], -v[22:23]
	v_cmp_le_f64_e64 s0, 0.5, v[28:29]
	v_add_f64_e64 v[14:15], v[26:27], -v[14:15]
	s_delay_alu instid0(VALU_DEP_2) | instskip(SKIP_1) | instid1(VALU_DEP_3)
	v_cndmask_b32_e64 v37, 0, 0x3ff00000, s0
	v_add_co_ci_u32_e64 v16, null, 0, v19, s0
	v_add_f64_e32 v[10:11], v[10:11], v[14:15]
	s_delay_alu instid0(VALU_DEP_3) | instskip(NEXT) | instid1(VALU_DEP_1)
	v_add_f64_e64 v[14:15], v[28:29], -v[36:37]
	v_add_f64_e32 v[20:21], v[14:15], v[10:11]
	s_delay_alu instid0(VALU_DEP_1) | instskip(SKIP_1) | instid1(VALU_DEP_2)
	v_mul_f64_e32 v[22:23], 0x3ff921fb54442d18, v[20:21]
	v_add_f64_e64 v[14:15], v[20:21], -v[14:15]
	v_fma_f64 v[24:25], v[20:21], s[4:5], -v[22:23]
	s_delay_alu instid0(VALU_DEP_2) | instskip(NEXT) | instid1(VALU_DEP_2)
	v_add_f64_e64 v[10:11], v[10:11], -v[14:15]
	v_fmamk_f64 v[14:15], v[20:21], 0x3c91a62633145c07, v[24:25]
	s_delay_alu instid0(VALU_DEP_1) | instskip(NEXT) | instid1(VALU_DEP_1)
	v_fmac_f64_e32 v[14:15], 0x3ff921fb54442d18, v[10:11]
	v_add_f64_e32 v[10:11], v[22:23], v[14:15]
	s_delay_alu instid0(VALU_DEP_1) | instskip(NEXT) | instid1(VALU_DEP_1)
	v_add_f64_e64 v[20:21], v[10:11], -v[22:23]
	v_add_f64_e64 v[14:15], v[14:15], -v[20:21]
.LBB2_42:
	s_and_not1_saveexec_b32 s0, s2
	s_cbranch_execz .LBB2_44
; %bb.43:
	s_mov_b64 s[2:3], 0x3fe45f306dc9c883
	s_delay_alu instid0(SALU_CYCLE_1) | instskip(SKIP_1) | instid1(VALU_DEP_1)
	v_mul_f64_e64 v[10:11], |v[6:7]|, s[2:3]
	s_mov_b64 s[2:3], 0xbff921fb54442d18
	v_rndne_f64_e32 v[16:17], v[10:11]
	s_delay_alu instid0(VALU_DEP_1) | instskip(SKIP_1) | instid1(VALU_DEP_2)
	v_fma_f64 v[10:11], v[16:17], s[2:3], |v[6:7]|
	v_mul_f64_e32 v[14:15], 0xbc91a62633145c00, v[16:17]
	v_fmamk_f64 v[24:25], v[16:17], 0xbc91a62633145c00, v[10:11]
	s_delay_alu instid0(VALU_DEP_2) | instskip(NEXT) | instid1(VALU_DEP_1)
	v_add_f64_e32 v[20:21], v[10:11], v[14:15]
	v_add_f64_e64 v[22:23], v[10:11], -v[20:21]
	s_delay_alu instid0(VALU_DEP_3) | instskip(NEXT) | instid1(VALU_DEP_2)
	v_add_f64_e64 v[10:11], v[20:21], -v[24:25]
	v_add_f64_e32 v[20:21], v[22:23], v[14:15]
	v_fmamk_f64 v[14:15], v[16:17], 0x3c91a62633145c00, v[14:15]
	s_delay_alu instid0(VALU_DEP_2) | instskip(NEXT) | instid1(VALU_DEP_1)
	v_add_f64_e32 v[10:11], v[10:11], v[20:21]
	v_add_f64_e64 v[10:11], v[10:11], -v[14:15]
	s_delay_alu instid0(VALU_DEP_1) | instskip(SKIP_1) | instid1(VALU_DEP_2)
	v_fmamk_f64 v[14:15], v[16:17], 0xb97b839a252049c0, v[10:11]
	v_cvt_i32_f64_e32 v16, v[16:17]
	v_add_f64_e32 v[10:11], v[24:25], v[14:15]
	s_delay_alu instid0(VALU_DEP_1) | instskip(NEXT) | instid1(VALU_DEP_1)
	v_add_f64_e64 v[20:21], v[10:11], -v[24:25]
	v_add_f64_e64 v[14:15], v[14:15], -v[20:21]
.LBB2_44:
	s_or_b32 exec_lo, exec_lo, s0
	s_delay_alu instid0(VALU_DEP_4) | instskip(NEXT) | instid1(VALU_DEP_2)
	v_dual_mul_f64 v[20:21], v[10:11], v[10:11] :: v_dual_bitop2_b32 v17, 1, v16 bitop3:0x40
	v_dual_mul_f64 v[28:29], 0.5, v[14:15] :: v_dual_lshlrev_b32 v16, 30, v16
	s_mov_b64 s[2:3], 0x3de5e0b2f9a43bb8
	s_delay_alu instid0(VALU_DEP_2) | instskip(NEXT) | instid1(VALU_DEP_2)
	v_cmp_eq_u32_e64 s0, 0, v17
	v_dual_mul_f64 v[22:23], 0.5, v[20:21] :: v_dual_bitop2_b32 v16, v16, v7 bitop3:0x14
	v_mul_f64_e64 v[30:31], v[10:11], -v[20:21]
	v_fmaak_f64 v[32:33], s[2:3], v[20:21], 0xbe5ae600b42fdfa7
	s_mov_b64 s[2:3], 0xbda907db46cc5e42
	s_delay_alu instid0(VALU_DEP_3) | instskip(NEXT) | instid1(VALU_DEP_1)
	v_add_f64_e64 v[24:25], -v[22:23], 1.0
	v_add_f64_e64 v[26:27], -v[24:25], 1.0
	s_delay_alu instid0(VALU_DEP_1) | instskip(NEXT) | instid1(VALU_DEP_4)
	v_add_f64_e64 v[22:23], v[26:27], -v[22:23]
	v_fmaak_f64 v[26:27], v[20:21], v[32:33], 0x3ec71de3796cde01
	s_delay_alu instid0(VALU_DEP_1) | instskip(NEXT) | instid1(VALU_DEP_1)
	v_fmaak_f64 v[26:27], v[20:21], v[26:27], 0xbf2a01a019e83e5c
	v_fmaak_f64 v[26:27], v[20:21], v[26:27], 0x3f81111111110bb3
	s_delay_alu instid0(VALU_DEP_1) | instskip(SKIP_1) | instid1(VALU_DEP_1)
	v_fmac_f64_e32 v[28:29], v[30:31], v[26:27]
	v_fmaak_f64 v[26:27], s[2:3], v[20:21], 0x3e21eeb69037ab78
	v_fmaak_f64 v[26:27], v[20:21], v[26:27], 0xbe927e4fa17f65f6
	v_fma_f64 v[22:23], v[10:11], -v[14:15], v[22:23]
	s_delay_alu instid0(VALU_DEP_2) | instskip(NEXT) | instid1(VALU_DEP_1)
	v_fmaak_f64 v[26:27], v[20:21], v[26:27], 0x3efa01a019f4ec90
	v_fmaak_f64 v[26:27], v[20:21], v[26:27], 0xbf56c16c16c16967
	v_fma_f64 v[14:15], v[20:21], v[28:29], -v[14:15]
	s_delay_alu instid0(VALU_DEP_1) | instskip(NEXT) | instid1(VALU_DEP_1)
	v_fmamk_f64 v[14:15], v[30:31], 0xbfc5555555555555, v[14:15]
	v_add_f64_e64 v[10:11], v[10:11], -v[14:15]
	v_mul_f64_e32 v[32:33], v[20:21], v[20:21]
	v_fmaak_f64 v[20:21], v[20:21], v[26:27], 0x3fa5555555555555
	s_delay_alu instid0(VALU_DEP_1) | instskip(NEXT) | instid1(VALU_DEP_1)
	v_fmac_f64_e32 v[22:23], v[32:33], v[20:21]
	v_add_f64_e32 v[14:15], v[24:25], v[22:23]
	s_delay_alu instid0(VALU_DEP_1) | instskip(SKIP_1) | instid1(VALU_DEP_2)
	v_dual_cndmask_b32 v10, v14, v10, s0 :: v_dual_cndmask_b32 v11, v15, v11, s0
	v_cmp_class_f64_e64 s0, v[6:7], 0x1f8
	v_bitop3_b32 v11, v11, v16, 0x80000000 bitop3:0x78
	s_delay_alu instid0(VALU_DEP_1) | instskip(NEXT) | instid1(VALU_DEP_4)
	v_cndmask_b32_e64 v11, 0x7ff80000, v11, s0
	v_cndmask_b32_e64 v10, 0, v10, s0
.LBB2_45:
	s_or_b32 exec_lo, exec_lo, s1
	v_or_b32_e32 v6, 0x300, v0
	s_mov_b32 s1, exec_lo
	s_delay_alu instid0(VALU_DEP_1)
	v_cmpx_gt_i32_e64 s7, v6
	s_cbranch_execnz .LBB2_52
; %bb.46:
	s_or_b32 exec_lo, exec_lo, s1
	s_and_saveexec_b32 s0, vcc_lo
	s_delay_alu instid0(SALU_CYCLE_1)
	s_xor_b32 s0, exec_lo, s0
	s_cbranch_execnz .LBB2_57
.LBB2_47:
	s_or_b32 exec_lo, exec_lo, s0
	s_delay_alu instid0(SALU_CYCLE_1)
	s_mov_b32 s0, exec_lo
	v_cmpx_gt_i32_e64 s7, v0
	s_cbranch_execnz .LBB2_58
.LBB2_48:
	s_or_b32 exec_lo, exec_lo, s0
	s_delay_alu instid0(SALU_CYCLE_1)
	s_mov_b32 s0, exec_lo
	v_cmpx_gt_i32_e64 s7, v0
	s_cbranch_execnz .LBB2_59
.LBB2_49:
	s_or_b32 exec_lo, exec_lo, s0
	s_delay_alu instid0(SALU_CYCLE_1)
	s_mov_b32 s0, exec_lo
	v_cmpx_gt_i32_e64 s7, v0
	s_cbranch_execz .LBB2_51
.LBB2_50:
	v_add_nc_u32_e32 v0, s12, v0
	global_store_b64 v0, v[8:9], s[8:9] scale_offset
.LBB2_51:
	s_sendmsg sendmsg(MSG_DEALLOC_VGPRS)
	s_endpgm
.LBB2_52:
	s_mov_b32 s2, exec_lo
                                        ; implicit-def: $vgpr14
                                        ; implicit-def: $vgpr6_vgpr7
                                        ; implicit-def: $vgpr8_vgpr9
	v_cmpx_ngt_f64_e64 0x41d00000, |v[2:3]|
	s_xor_b32 s2, exec_lo, s2
	s_cbranch_execz .LBB2_54
; %bb.53:
	v_ldexp_f64 v[6:7], |v[2:3]|, 0xffffff80
	v_cmp_le_f64_e64 s0, 0x7b000000, |v[2:3]|
	v_trig_preop_f64 v[8:9], |v[2:3]|, 0
	v_and_b32_e32 v14, 0x7fffffff, v3
	v_trig_preop_f64 v[26:27], |v[2:3]|, 2
	s_mov_b64 s[4:5], 0x3ff921fb54442d18
	s_delay_alu instid0(VALU_DEP_2) | instskip(SKIP_2) | instid1(VALU_DEP_2)
	v_dual_mov_b32 v34, 0 :: v_dual_cndmask_b32 v7, v14, v7, s0
	v_cndmask_b32_e64 v6, v2, v6, s0
	v_trig_preop_f64 v[14:15], |v[2:3]|, 1
	v_mul_f64_e32 v[16:17], v[8:9], v[6:7]
	s_delay_alu instid0(VALU_DEP_2) | instskip(NEXT) | instid1(VALU_DEP_2)
	v_mul_f64_e32 v[20:21], v[14:15], v[6:7]
	v_fma_f64 v[8:9], v[8:9], v[6:7], -v[16:17]
	s_delay_alu instid0(VALU_DEP_1) | instskip(NEXT) | instid1(VALU_DEP_1)
	v_add_f64_e32 v[22:23], v[20:21], v[8:9]
	v_add_f64_e64 v[24:25], v[22:23], -v[20:21]
	v_add_f64_e32 v[30:31], v[16:17], v[22:23]
	s_delay_alu instid0(VALU_DEP_2) | instskip(SKIP_2) | instid1(VALU_DEP_4)
	v_add_f64_e64 v[28:29], v[22:23], -v[24:25]
	v_add_f64_e64 v[8:9], v[8:9], -v[24:25]
	v_fma_f64 v[14:15], v[14:15], v[6:7], -v[20:21]
	v_ldexp_f64 v[24:25], v[30:31], -2
	v_mul_f64_e32 v[32:33], v[26:27], v[6:7]
	v_add_f64_e64 v[20:21], v[20:21], -v[28:29]
	s_delay_alu instid0(VALU_DEP_3) | instskip(NEXT) | instid1(VALU_DEP_3)
	v_cmp_neq_f64_e64 s0, 0x7ff00000, |v[24:25]|
	v_add_f64_e32 v[28:29], v[32:33], v[14:15]
	v_fma_f64 v[6:7], v[26:27], v[6:7], -v[32:33]
	s_delay_alu instid0(VALU_DEP_4) | instskip(SKIP_1) | instid1(VALU_DEP_1)
	v_add_f64_e32 v[8:9], v[8:9], v[20:21]
	v_fract_f64_e32 v[20:21], v[24:25]
	v_ldexp_f64 v[20:21], v[20:21], 2
	s_delay_alu instid0(VALU_DEP_1) | instskip(SKIP_1) | instid1(VALU_DEP_3)
	v_cndmask_b32_e64 v21, 0, v21, s0
	v_add_f64_e64 v[16:17], v[30:31], -v[16:17]
	v_cndmask_b32_e64 v20, 0, v20, s0
	s_delay_alu instid0(VALU_DEP_2) | instskip(SKIP_1) | instid1(VALU_DEP_1)
	v_add_f64_e64 v[16:17], v[22:23], -v[16:17]
	v_add_f64_e32 v[22:23], v[28:29], v[8:9]
	v_add_f64_e32 v[24:25], v[16:17], v[22:23]
	v_add_f64_e64 v[36:37], v[22:23], -v[28:29]
	s_delay_alu instid0(VALU_DEP_2) | instskip(NEXT) | instid1(VALU_DEP_2)
	v_add_f64_e32 v[30:31], v[24:25], v[20:21]
	v_add_f64_e64 v[42:43], v[22:23], -v[36:37]
	v_add_f64_e64 v[8:9], v[8:9], -v[36:37]
	;; [unrolled: 1-line block ×3, first 2 shown]
	s_delay_alu instid0(VALU_DEP_4) | instskip(SKIP_1) | instid1(VALU_DEP_2)
	v_cmp_gt_f64_e64 s0, 0, v[30:31]
	v_add_f64_e64 v[30:31], v[28:29], -v[32:33]
	v_cndmask_b32_e64 v35, 0, 0x40100000, s0
	s_delay_alu instid0(VALU_DEP_2) | instskip(SKIP_2) | instid1(VALU_DEP_4)
	v_add_f64_e64 v[40:41], v[28:29], -v[30:31]
	v_add_f64_e64 v[14:15], v[14:15], -v[30:31]
	v_add_f64_e64 v[28:29], v[28:29], -v[42:43]
	v_add_f64_e32 v[20:21], v[20:21], v[34:35]
	s_delay_alu instid0(VALU_DEP_4) | instskip(NEXT) | instid1(VALU_DEP_3)
	v_add_f64_e64 v[30:31], v[32:33], -v[40:41]
	v_add_f64_e32 v[8:9], v[8:9], v[28:29]
	s_delay_alu instid0(VALU_DEP_3) | instskip(NEXT) | instid1(VALU_DEP_3)
	v_add_f64_e32 v[38:39], v[24:25], v[20:21]
	v_add_f64_e32 v[14:15], v[14:15], v[30:31]
	s_delay_alu instid0(VALU_DEP_2) | instskip(NEXT) | instid1(VALU_DEP_2)
	v_cvt_i32_f64_e32 v19, v[38:39]
	v_add_f64_e32 v[8:9], v[14:15], v[8:9]
	v_add_f64_e64 v[14:15], v[22:23], -v[16:17]
	s_delay_alu instid0(VALU_DEP_3) | instskip(NEXT) | instid1(VALU_DEP_3)
	v_cvt_f64_i32_e32 v[36:37], v19
	v_add_f64_e32 v[6:7], v[6:7], v[8:9]
	s_delay_alu instid0(VALU_DEP_2) | instskip(NEXT) | instid1(VALU_DEP_2)
	v_add_f64_e64 v[20:21], v[20:21], -v[36:37]
	v_add_f64_e32 v[6:7], v[14:15], v[6:7]
	s_delay_alu instid0(VALU_DEP_2) | instskip(NEXT) | instid1(VALU_DEP_1)
	v_add_f64_e32 v[26:27], v[24:25], v[20:21]
	v_add_f64_e64 v[8:9], v[26:27], -v[20:21]
	v_cmp_le_f64_e64 s0, 0.5, v[26:27]
	s_delay_alu instid0(VALU_DEP_2) | instskip(NEXT) | instid1(VALU_DEP_2)
	v_add_f64_e64 v[8:9], v[24:25], -v[8:9]
	v_cndmask_b32_e64 v35, 0, 0x3ff00000, s0
	v_add_co_ci_u32_e64 v14, null, 0, v19, s0
	s_delay_alu instid0(VALU_DEP_3) | instskip(NEXT) | instid1(VALU_DEP_3)
	v_add_f64_e32 v[6:7], v[6:7], v[8:9]
	v_add_f64_e64 v[8:9], v[26:27], -v[34:35]
	s_delay_alu instid0(VALU_DEP_1) | instskip(NEXT) | instid1(VALU_DEP_1)
	v_add_f64_e32 v[16:17], v[8:9], v[6:7]
	v_mul_f64_e32 v[20:21], 0x3ff921fb54442d18, v[16:17]
	v_add_f64_e64 v[8:9], v[16:17], -v[8:9]
	s_delay_alu instid0(VALU_DEP_2) | instskip(NEXT) | instid1(VALU_DEP_2)
	v_fma_f64 v[22:23], v[16:17], s[4:5], -v[20:21]
	v_add_f64_e64 v[6:7], v[6:7], -v[8:9]
	s_delay_alu instid0(VALU_DEP_2) | instskip(NEXT) | instid1(VALU_DEP_1)
	v_fmamk_f64 v[8:9], v[16:17], 0x3c91a62633145c07, v[22:23]
	v_fmac_f64_e32 v[8:9], 0x3ff921fb54442d18, v[6:7]
	s_delay_alu instid0(VALU_DEP_1) | instskip(NEXT) | instid1(VALU_DEP_1)
	v_add_f64_e32 v[6:7], v[20:21], v[8:9]
	v_add_f64_e64 v[16:17], v[6:7], -v[20:21]
	s_delay_alu instid0(VALU_DEP_1)
	v_add_f64_e64 v[8:9], v[8:9], -v[16:17]
.LBB2_54:
	s_and_not1_saveexec_b32 s0, s2
	s_cbranch_execz .LBB2_56
; %bb.55:
	s_mov_b64 s[2:3], 0x3fe45f306dc9c883
	s_delay_alu instid0(SALU_CYCLE_1) | instskip(SKIP_1) | instid1(VALU_DEP_1)
	v_mul_f64_e64 v[6:7], |v[2:3]|, s[2:3]
	s_mov_b64 s[2:3], 0xbff921fb54442d18
	v_rndne_f64_e32 v[14:15], v[6:7]
	s_delay_alu instid0(VALU_DEP_1) | instskip(SKIP_1) | instid1(VALU_DEP_2)
	v_fma_f64 v[6:7], v[14:15], s[2:3], |v[2:3]|
	v_mul_f64_e32 v[8:9], 0xbc91a62633145c00, v[14:15]
	v_fmamk_f64 v[22:23], v[14:15], 0xbc91a62633145c00, v[6:7]
	s_delay_alu instid0(VALU_DEP_2) | instskip(NEXT) | instid1(VALU_DEP_1)
	v_add_f64_e32 v[16:17], v[6:7], v[8:9]
	v_add_f64_e64 v[20:21], v[6:7], -v[16:17]
	s_delay_alu instid0(VALU_DEP_3) | instskip(NEXT) | instid1(VALU_DEP_2)
	v_add_f64_e64 v[6:7], v[16:17], -v[22:23]
	v_add_f64_e32 v[16:17], v[20:21], v[8:9]
	v_fmamk_f64 v[8:9], v[14:15], 0x3c91a62633145c00, v[8:9]
	s_delay_alu instid0(VALU_DEP_2) | instskip(NEXT) | instid1(VALU_DEP_1)
	v_add_f64_e32 v[6:7], v[6:7], v[16:17]
	v_add_f64_e64 v[6:7], v[6:7], -v[8:9]
	s_delay_alu instid0(VALU_DEP_1) | instskip(SKIP_1) | instid1(VALU_DEP_2)
	v_fmamk_f64 v[8:9], v[14:15], 0xb97b839a252049c0, v[6:7]
	v_cvt_i32_f64_e32 v14, v[14:15]
	v_add_f64_e32 v[6:7], v[22:23], v[8:9]
	s_delay_alu instid0(VALU_DEP_1) | instskip(NEXT) | instid1(VALU_DEP_1)
	v_add_f64_e64 v[16:17], v[6:7], -v[22:23]
	v_add_f64_e64 v[8:9], v[8:9], -v[16:17]
.LBB2_56:
	s_or_b32 exec_lo, exec_lo, s0
	v_mul_f64_e32 v[16:17], v[6:7], v[6:7]
	s_delay_alu instid0(VALU_DEP_2) | instskip(SKIP_2) | instid1(VALU_DEP_1)
	v_mul_f64_e32 v[26:27], 0.5, v[8:9]
	s_mov_b64 s[2:3], 0x3de5e0b2f9a43bb8
	v_dual_lshlrev_b32 v14, 30, v14 :: v_dual_bitop2_b32 v15, 1, v14 bitop3:0x40
	v_cmp_eq_u32_e64 s0, 0, v15
	s_delay_alu instid0(VALU_DEP_2) | instskip(SKIP_3) | instid1(VALU_DEP_3)
	v_dual_mul_f64 v[20:21], 0.5, v[16:17] :: v_dual_bitop2_b32 v14, v14, v3 bitop3:0x14
	v_mul_f64_e64 v[28:29], v[6:7], -v[16:17]
	v_fmaak_f64 v[30:31], s[2:3], v[16:17], 0xbe5ae600b42fdfa7
	s_mov_b64 s[2:3], 0xbda907db46cc5e42
	v_add_f64_e64 v[22:23], -v[20:21], 1.0
	s_delay_alu instid0(VALU_DEP_1) | instskip(NEXT) | instid1(VALU_DEP_1)
	v_add_f64_e64 v[24:25], -v[22:23], 1.0
	v_add_f64_e64 v[20:21], v[24:25], -v[20:21]
	s_delay_alu instid0(VALU_DEP_4) | instskip(SKIP_1) | instid1(VALU_DEP_2)
	v_fmaak_f64 v[24:25], v[16:17], v[30:31], 0x3ec71de3796cde01
	v_mul_f64_e32 v[30:31], v[16:17], v[16:17]
	v_fmaak_f64 v[24:25], v[16:17], v[24:25], 0xbf2a01a019e83e5c
	s_delay_alu instid0(VALU_DEP_1) | instskip(NEXT) | instid1(VALU_DEP_1)
	v_fmaak_f64 v[24:25], v[16:17], v[24:25], 0x3f81111111110bb3
	v_fmac_f64_e32 v[26:27], v[28:29], v[24:25]
	v_fmaak_f64 v[24:25], s[2:3], v[16:17], 0x3e21eeb69037ab78
	s_delay_alu instid0(VALU_DEP_1) | instskip(SKIP_1) | instid1(VALU_DEP_2)
	v_fmaak_f64 v[24:25], v[16:17], v[24:25], 0xbe927e4fa17f65f6
	v_fma_f64 v[20:21], v[6:7], -v[8:9], v[20:21]
	v_fmaak_f64 v[24:25], v[16:17], v[24:25], 0x3efa01a019f4ec90
	s_delay_alu instid0(VALU_DEP_1) | instskip(SKIP_1) | instid1(VALU_DEP_2)
	v_fmaak_f64 v[24:25], v[16:17], v[24:25], 0xbf56c16c16c16967
	v_fma_f64 v[8:9], v[16:17], v[26:27], -v[8:9]
	v_fmaak_f64 v[16:17], v[16:17], v[24:25], 0x3fa5555555555555
	s_delay_alu instid0(VALU_DEP_1) | instskip(NEXT) | instid1(VALU_DEP_3)
	v_fmac_f64_e32 v[20:21], v[30:31], v[16:17]
	v_fmamk_f64 v[8:9], v[28:29], 0xbfc5555555555555, v[8:9]
	s_delay_alu instid0(VALU_DEP_1) | instskip(NEXT) | instid1(VALU_DEP_3)
	v_add_f64_e64 v[6:7], v[6:7], -v[8:9]
	v_add_f64_e32 v[8:9], v[22:23], v[20:21]
	s_delay_alu instid0(VALU_DEP_1) | instskip(SKIP_1) | instid1(VALU_DEP_2)
	v_dual_cndmask_b32 v6, v8, v6, s0 :: v_dual_cndmask_b32 v7, v9, v7, s0
	v_cmp_class_f64_e64 s0, v[2:3], 0x1f8
	v_bitop3_b32 v7, v7, v14, 0x80000000 bitop3:0x78
	s_delay_alu instid0(VALU_DEP_1) | instskip(NEXT) | instid1(VALU_DEP_4)
	v_cndmask_b32_e64 v9, 0x7ff80000, v7, s0
	v_cndmask_b32_e64 v8, 0, v6, s0
	s_or_b32 exec_lo, exec_lo, s1
	s_and_saveexec_b32 s0, vcc_lo
	s_delay_alu instid0(SALU_CYCLE_1)
	s_xor_b32 s0, exec_lo, s0
	s_cbranch_execz .LBB2_47
.LBB2_57:
	v_mov_b32_e32 v0, v18
	global_store_b64 v1, v[4:5], s[8:9] scale_offset
	s_wait_xcnt 0x0
	s_or_b32 exec_lo, exec_lo, s0
	s_delay_alu instid0(SALU_CYCLE_1)
	s_mov_b32 s0, exec_lo
	v_cmpx_gt_i32_e64 s7, v0
	s_cbranch_execz .LBB2_48
.LBB2_58:
	v_add_nc_u32_e32 v1, s12, v0
	v_add_nc_u32_e32 v0, 0x100, v0
	global_store_b64 v1, v[12:13], s[8:9] scale_offset
	s_wait_xcnt 0x0
	s_or_b32 exec_lo, exec_lo, s0
	s_delay_alu instid0(SALU_CYCLE_1)
	s_mov_b32 s0, exec_lo
	v_cmpx_gt_i32_e64 s7, v0
	s_cbranch_execz .LBB2_49
.LBB2_59:
	v_add_nc_u32_e32 v1, s12, v0
	v_add_nc_u32_e32 v0, 0x100, v0
	global_store_b64 v1, v[10:11], s[8:9] scale_offset
	s_wait_xcnt 0x0
	s_or_b32 exec_lo, exec_lo, s0
	s_delay_alu instid0(SALU_CYCLE_1)
	s_mov_b32 s0, exec_lo
	v_cmpx_gt_i32_e64 s7, v0
	s_cbranch_execnz .LBB2_50
	s_branch .LBB2_51
	.section	.rodata,"a",@progbits
	.p2align	6, 0x0
	.amdhsa_kernel _ZN2at6native29vectorized_elementwise_kernelILi4EZZZNS0_15sin_kernel_cudaERNS_18TensorIteratorBaseEENKUlvE0_clEvENKUlvE_clEvEUldE_St5arrayIPcLm2EEEEviT0_T1_
		.amdhsa_group_segment_fixed_size 0
		.amdhsa_private_segment_fixed_size 0
		.amdhsa_kernarg_size 24
		.amdhsa_user_sgpr_count 2
		.amdhsa_user_sgpr_dispatch_ptr 0
		.amdhsa_user_sgpr_queue_ptr 0
		.amdhsa_user_sgpr_kernarg_segment_ptr 1
		.amdhsa_user_sgpr_dispatch_id 0
		.amdhsa_user_sgpr_kernarg_preload_length 0
		.amdhsa_user_sgpr_kernarg_preload_offset 0
		.amdhsa_user_sgpr_private_segment_size 0
		.amdhsa_wavefront_size32 1
		.amdhsa_uses_dynamic_stack 0
		.amdhsa_enable_private_segment 0
		.amdhsa_system_sgpr_workgroup_id_x 1
		.amdhsa_system_sgpr_workgroup_id_y 0
		.amdhsa_system_sgpr_workgroup_id_z 0
		.amdhsa_system_sgpr_workgroup_info 0
		.amdhsa_system_vgpr_workitem_id 0
		.amdhsa_next_free_vgpr 68
		.amdhsa_next_free_sgpr 16
		.amdhsa_named_barrier_count 0
		.amdhsa_reserve_vcc 1
		.amdhsa_float_round_mode_32 0
		.amdhsa_float_round_mode_16_64 0
		.amdhsa_float_denorm_mode_32 3
		.amdhsa_float_denorm_mode_16_64 3
		.amdhsa_fp16_overflow 0
		.amdhsa_memory_ordered 1
		.amdhsa_forward_progress 1
		.amdhsa_inst_pref_size 81
		.amdhsa_round_robin_scheduling 0
		.amdhsa_exception_fp_ieee_invalid_op 0
		.amdhsa_exception_fp_denorm_src 0
		.amdhsa_exception_fp_ieee_div_zero 0
		.amdhsa_exception_fp_ieee_overflow 0
		.amdhsa_exception_fp_ieee_underflow 0
		.amdhsa_exception_fp_ieee_inexact 0
		.amdhsa_exception_int_div_zero 0
	.end_amdhsa_kernel
	.section	.text._ZN2at6native29vectorized_elementwise_kernelILi4EZZZNS0_15sin_kernel_cudaERNS_18TensorIteratorBaseEENKUlvE0_clEvENKUlvE_clEvEUldE_St5arrayIPcLm2EEEEviT0_T1_,"axG",@progbits,_ZN2at6native29vectorized_elementwise_kernelILi4EZZZNS0_15sin_kernel_cudaERNS_18TensorIteratorBaseEENKUlvE0_clEvENKUlvE_clEvEUldE_St5arrayIPcLm2EEEEviT0_T1_,comdat
.Lfunc_end2:
	.size	_ZN2at6native29vectorized_elementwise_kernelILi4EZZZNS0_15sin_kernel_cudaERNS_18TensorIteratorBaseEENKUlvE0_clEvENKUlvE_clEvEUldE_St5arrayIPcLm2EEEEviT0_T1_, .Lfunc_end2-_ZN2at6native29vectorized_elementwise_kernelILi4EZZZNS0_15sin_kernel_cudaERNS_18TensorIteratorBaseEENKUlvE0_clEvENKUlvE_clEvEUldE_St5arrayIPcLm2EEEEviT0_T1_
                                        ; -- End function
	.set _ZN2at6native29vectorized_elementwise_kernelILi4EZZZNS0_15sin_kernel_cudaERNS_18TensorIteratorBaseEENKUlvE0_clEvENKUlvE_clEvEUldE_St5arrayIPcLm2EEEEviT0_T1_.num_vgpr, 68
	.set _ZN2at6native29vectorized_elementwise_kernelILi4EZZZNS0_15sin_kernel_cudaERNS_18TensorIteratorBaseEENKUlvE0_clEvENKUlvE_clEvEUldE_St5arrayIPcLm2EEEEviT0_T1_.num_agpr, 0
	.set _ZN2at6native29vectorized_elementwise_kernelILi4EZZZNS0_15sin_kernel_cudaERNS_18TensorIteratorBaseEENKUlvE0_clEvENKUlvE_clEvEUldE_St5arrayIPcLm2EEEEviT0_T1_.numbered_sgpr, 16
	.set _ZN2at6native29vectorized_elementwise_kernelILi4EZZZNS0_15sin_kernel_cudaERNS_18TensorIteratorBaseEENKUlvE0_clEvENKUlvE_clEvEUldE_St5arrayIPcLm2EEEEviT0_T1_.num_named_barrier, 0
	.set _ZN2at6native29vectorized_elementwise_kernelILi4EZZZNS0_15sin_kernel_cudaERNS_18TensorIteratorBaseEENKUlvE0_clEvENKUlvE_clEvEUldE_St5arrayIPcLm2EEEEviT0_T1_.private_seg_size, 0
	.set _ZN2at6native29vectorized_elementwise_kernelILi4EZZZNS0_15sin_kernel_cudaERNS_18TensorIteratorBaseEENKUlvE0_clEvENKUlvE_clEvEUldE_St5arrayIPcLm2EEEEviT0_T1_.uses_vcc, 1
	.set _ZN2at6native29vectorized_elementwise_kernelILi4EZZZNS0_15sin_kernel_cudaERNS_18TensorIteratorBaseEENKUlvE0_clEvENKUlvE_clEvEUldE_St5arrayIPcLm2EEEEviT0_T1_.uses_flat_scratch, 0
	.set _ZN2at6native29vectorized_elementwise_kernelILi4EZZZNS0_15sin_kernel_cudaERNS_18TensorIteratorBaseEENKUlvE0_clEvENKUlvE_clEvEUldE_St5arrayIPcLm2EEEEviT0_T1_.has_dyn_sized_stack, 0
	.set _ZN2at6native29vectorized_elementwise_kernelILi4EZZZNS0_15sin_kernel_cudaERNS_18TensorIteratorBaseEENKUlvE0_clEvENKUlvE_clEvEUldE_St5arrayIPcLm2EEEEviT0_T1_.has_recursion, 0
	.set _ZN2at6native29vectorized_elementwise_kernelILi4EZZZNS0_15sin_kernel_cudaERNS_18TensorIteratorBaseEENKUlvE0_clEvENKUlvE_clEvEUldE_St5arrayIPcLm2EEEEviT0_T1_.has_indirect_call, 0
	.section	.AMDGPU.csdata,"",@progbits
; Kernel info:
; codeLenInByte = 10324
; TotalNumSgprs: 18
; NumVgprs: 68
; ScratchSize: 0
; MemoryBound: 1
; FloatMode: 240
; IeeeMode: 1
; LDSByteSize: 0 bytes/workgroup (compile time only)
; SGPRBlocks: 0
; VGPRBlocks: 4
; NumSGPRsForWavesPerEU: 18
; NumVGPRsForWavesPerEU: 68
; NamedBarCnt: 0
; Occupancy: 12
; WaveLimiterHint : 0
; COMPUTE_PGM_RSRC2:SCRATCH_EN: 0
; COMPUTE_PGM_RSRC2:USER_SGPR: 2
; COMPUTE_PGM_RSRC2:TRAP_HANDLER: 0
; COMPUTE_PGM_RSRC2:TGID_X_EN: 1
; COMPUTE_PGM_RSRC2:TGID_Y_EN: 0
; COMPUTE_PGM_RSRC2:TGID_Z_EN: 0
; COMPUTE_PGM_RSRC2:TIDIG_COMP_CNT: 0
	.section	.text._ZN2at6native29vectorized_elementwise_kernelILi2EZZZNS0_15sin_kernel_cudaERNS_18TensorIteratorBaseEENKUlvE0_clEvENKUlvE_clEvEUldE_St5arrayIPcLm2EEEEviT0_T1_,"axG",@progbits,_ZN2at6native29vectorized_elementwise_kernelILi2EZZZNS0_15sin_kernel_cudaERNS_18TensorIteratorBaseEENKUlvE0_clEvENKUlvE_clEvEUldE_St5arrayIPcLm2EEEEviT0_T1_,comdat
	.globl	_ZN2at6native29vectorized_elementwise_kernelILi2EZZZNS0_15sin_kernel_cudaERNS_18TensorIteratorBaseEENKUlvE0_clEvENKUlvE_clEvEUldE_St5arrayIPcLm2EEEEviT0_T1_ ; -- Begin function _ZN2at6native29vectorized_elementwise_kernelILi2EZZZNS0_15sin_kernel_cudaERNS_18TensorIteratorBaseEENKUlvE0_clEvENKUlvE_clEvEUldE_St5arrayIPcLm2EEEEviT0_T1_
	.p2align	8
	.type	_ZN2at6native29vectorized_elementwise_kernelILi2EZZZNS0_15sin_kernel_cudaERNS_18TensorIteratorBaseEENKUlvE0_clEvENKUlvE_clEvEUldE_St5arrayIPcLm2EEEEviT0_T1_,@function
_ZN2at6native29vectorized_elementwise_kernelILi2EZZZNS0_15sin_kernel_cudaERNS_18TensorIteratorBaseEENKUlvE0_clEvENKUlvE_clEvEUldE_St5arrayIPcLm2EEEEviT0_T1_: ; @_ZN2at6native29vectorized_elementwise_kernelILi2EZZZNS0_15sin_kernel_cudaERNS_18TensorIteratorBaseEENKUlvE0_clEvENKUlvE_clEvEUldE_St5arrayIPcLm2EEEEviT0_T1_
; %bb.0:
	s_clause 0x1
	s_load_b32 s2, s[0:1], 0x0
	s_load_b128 s[8:11], s[0:1], 0x8
	s_wait_xcnt 0x0
	s_bfe_u32 s0, ttmp6, 0x4000c
	s_and_b32 s1, ttmp6, 15
	s_add_co_i32 s0, s0, 1
	s_getreg_b32 s3, hwreg(HW_REG_IB_STS2, 6, 4)
	s_mul_i32 s0, ttmp9, s0
	s_delay_alu instid0(SALU_CYCLE_1) | instskip(SKIP_2) | instid1(SALU_CYCLE_1)
	s_add_co_i32 s1, s1, s0
	s_cmp_eq_u32 s3, 0
	s_cselect_b32 s0, ttmp9, s1
	s_lshl_b32 s12, s0, 10
	s_mov_b32 s0, -1
	s_wait_kmcnt 0x0
	s_sub_co_i32 s7, s2, s12
	s_delay_alu instid0(SALU_CYCLE_1)
	s_cmp_gt_i32 s7, 0x3ff
	s_cbranch_scc0 .LBB3_18
; %bb.1:
	s_ashr_i32 s13, s12, 31
	v_mov_b32_e32 v14, 0
	s_lshl_b64 s[14:15], s[12:13], 3
                                        ; implicit-def: $vgpr1
                                        ; implicit-def: $vgpr10_vgpr11
                                        ; implicit-def: $vgpr12_vgpr13
	s_delay_alu instid0(SALU_CYCLE_1)
	s_add_nc_u64 s[0:1], s[10:11], s[14:15]
	s_clause 0x1
	global_load_b128 v[6:9], v0, s[0:1] scale_offset
	global_load_b128 v[2:5], v0, s[0:1] offset:4096 scale_offset
	s_wait_loadcnt 0x1
	s_wait_xcnt 0x0
	v_cmp_ngt_f64_e64 s0, 0x41d00000, |v[6:7]|
	s_and_saveexec_b32 s1, s0
	s_delay_alu instid0(SALU_CYCLE_1)
	s_xor_b32 s0, exec_lo, s1
	s_cbranch_execz .LBB3_3
; %bb.2:
	v_ldexp_f64 v[10:11], |v[6:7]|, 0xffffff80
	v_cmp_le_f64_e64 vcc_lo, 0x7b000000, |v[6:7]|
	v_trig_preop_f64 v[12:13], |v[6:7]|, 0
	v_and_b32_e32 v1, 0x7fffffff, v7
	v_trig_preop_f64 v[16:17], |v[6:7]|, 1
	v_trig_preop_f64 v[26:27], |v[6:7]|, 2
	s_mov_b64 s[2:3], 0x3ff921fb54442d18
	s_delay_alu instid0(VALU_DEP_3) | instskip(NEXT) | instid1(VALU_DEP_1)
	v_dual_cndmask_b32 v11, v1, v11 :: v_dual_cndmask_b32 v10, v6, v10
	v_mul_f64_e32 v[18:19], v[12:13], v[10:11]
	s_delay_alu instid0(VALU_DEP_4) | instskip(NEXT) | instid1(VALU_DEP_4)
	v_mul_f64_e32 v[20:21], v[16:17], v[10:11]
	v_mul_f64_e32 v[32:33], v[26:27], v[10:11]
	s_delay_alu instid0(VALU_DEP_3) | instskip(NEXT) | instid1(VALU_DEP_3)
	v_fma_f64 v[12:13], v[12:13], v[10:11], -v[18:19]
	v_fma_f64 v[16:17], v[16:17], v[10:11], -v[20:21]
	s_delay_alu instid0(VALU_DEP_3) | instskip(NEXT) | instid1(VALU_DEP_3)
	v_fma_f64 v[10:11], v[26:27], v[10:11], -v[32:33]
	v_add_f64_e32 v[22:23], v[20:21], v[12:13]
	s_delay_alu instid0(VALU_DEP_1) | instskip(SKIP_1) | instid1(VALU_DEP_2)
	v_add_f64_e64 v[24:25], v[22:23], -v[20:21]
	v_add_f64_e32 v[30:31], v[18:19], v[22:23]
	v_add_f64_e64 v[28:29], v[22:23], -v[24:25]
	v_add_f64_e64 v[12:13], v[12:13], -v[24:25]
	s_delay_alu instid0(VALU_DEP_3) | instskip(NEXT) | instid1(VALU_DEP_3)
	v_ldexp_f64 v[24:25], v[30:31], -2
	v_add_f64_e64 v[20:21], v[20:21], -v[28:29]
	v_add_f64_e32 v[28:29], v[32:33], v[16:17]
	s_delay_alu instid0(VALU_DEP_3) | instskip(NEXT) | instid1(VALU_DEP_3)
	v_cmp_neq_f64_e64 vcc_lo, 0x7ff00000, |v[24:25]|
	v_add_f64_e32 v[12:13], v[12:13], v[20:21]
	v_fract_f64_e32 v[20:21], v[24:25]
	s_delay_alu instid0(VALU_DEP_1) | instskip(NEXT) | instid1(VALU_DEP_1)
	v_ldexp_f64 v[20:21], v[20:21], 2
	v_dual_add_f64 v[18:19], v[30:31], -v[18:19] :: v_dual_cndmask_b32 v21, 0, v21, vcc_lo
	s_delay_alu instid0(VALU_DEP_1) | instskip(SKIP_1) | instid1(VALU_DEP_1)
	v_dual_add_f64 v[18:19], v[22:23], -v[18:19] :: v_dual_cndmask_b32 v20, 0, v20, vcc_lo
	v_add_f64_e32 v[22:23], v[28:29], v[12:13]
	v_add_f64_e32 v[24:25], v[18:19], v[22:23]
	v_add_f64_e64 v[34:35], v[22:23], -v[28:29]
	s_delay_alu instid0(VALU_DEP_2) | instskip(NEXT) | instid1(VALU_DEP_2)
	v_add_f64_e32 v[30:31], v[24:25], v[20:21]
	v_add_f64_e64 v[40:41], v[22:23], -v[34:35]
	v_add_f64_e64 v[12:13], v[12:13], -v[34:35]
	;; [unrolled: 1-line block ×3, first 2 shown]
	s_delay_alu instid0(VALU_DEP_4) | instskip(SKIP_1) | instid1(VALU_DEP_3)
	v_cmp_gt_f64_e32 vcc_lo, 0, v[30:31]
	v_add_f64_e64 v[30:31], v[28:29], -v[32:33]
	v_add_f64_e64 v[18:19], v[22:23], -v[18:19]
	v_cndmask_b32_e64 v15, 0, 0x40100000, vcc_lo
	s_delay_alu instid0(VALU_DEP_3) | instskip(SKIP_2) | instid1(VALU_DEP_4)
	v_add_f64_e64 v[38:39], v[28:29], -v[30:31]
	v_add_f64_e64 v[16:17], v[16:17], -v[30:31]
	;; [unrolled: 1-line block ×3, first 2 shown]
	v_add_f64_e32 v[20:21], v[20:21], v[14:15]
	s_delay_alu instid0(VALU_DEP_4) | instskip(NEXT) | instid1(VALU_DEP_3)
	v_add_f64_e64 v[30:31], v[32:33], -v[38:39]
	v_add_f64_e32 v[12:13], v[12:13], v[28:29]
	s_delay_alu instid0(VALU_DEP_3) | instskip(NEXT) | instid1(VALU_DEP_3)
	v_add_f64_e32 v[36:37], v[24:25], v[20:21]
	v_add_f64_e32 v[16:17], v[16:17], v[30:31]
	s_delay_alu instid0(VALU_DEP_2) | instskip(NEXT) | instid1(VALU_DEP_2)
	v_cvt_i32_f64_e32 v1, v[36:37]
	v_add_f64_e32 v[12:13], v[16:17], v[12:13]
	s_delay_alu instid0(VALU_DEP_2) | instskip(NEXT) | instid1(VALU_DEP_2)
	v_cvt_f64_i32_e32 v[34:35], v1
	v_add_f64_e32 v[10:11], v[10:11], v[12:13]
	s_delay_alu instid0(VALU_DEP_2) | instskip(NEXT) | instid1(VALU_DEP_2)
	v_add_f64_e64 v[20:21], v[20:21], -v[34:35]
	v_add_f64_e32 v[10:11], v[18:19], v[10:11]
	s_delay_alu instid0(VALU_DEP_2) | instskip(NEXT) | instid1(VALU_DEP_1)
	v_add_f64_e32 v[16:17], v[24:25], v[20:21]
	v_add_f64_e64 v[12:13], v[16:17], -v[20:21]
	v_cmp_le_f64_e32 vcc_lo, 0.5, v[16:17]
	s_delay_alu instid0(VALU_DEP_2) | instskip(SKIP_2) | instid1(VALU_DEP_3)
	v_add_f64_e64 v[12:13], v[24:25], -v[12:13]
	v_cndmask_b32_e64 v15, 0, 0x3ff00000, vcc_lo
	v_add_co_ci_u32_e64 v1, null, 0, v1, vcc_lo
	v_add_f64_e32 v[10:11], v[10:11], v[12:13]
	s_delay_alu instid0(VALU_DEP_3) | instskip(NEXT) | instid1(VALU_DEP_1)
	v_add_f64_e64 v[12:13], v[16:17], -v[14:15]
	v_add_f64_e32 v[14:15], v[12:13], v[10:11]
	s_delay_alu instid0(VALU_DEP_1) | instskip(SKIP_1) | instid1(VALU_DEP_2)
	v_mul_f64_e32 v[16:17], 0x3ff921fb54442d18, v[14:15]
	v_add_f64_e64 v[12:13], v[14:15], -v[12:13]
	v_fma_f64 v[18:19], v[14:15], s[2:3], -v[16:17]
	s_delay_alu instid0(VALU_DEP_2) | instskip(NEXT) | instid1(VALU_DEP_2)
	v_add_f64_e64 v[10:11], v[10:11], -v[12:13]
	v_fmamk_f64 v[12:13], v[14:15], 0x3c91a62633145c07, v[18:19]
	s_delay_alu instid0(VALU_DEP_1) | instskip(NEXT) | instid1(VALU_DEP_1)
	v_fmac_f64_e32 v[12:13], 0x3ff921fb54442d18, v[10:11]
	v_add_f64_e32 v[10:11], v[16:17], v[12:13]
	s_delay_alu instid0(VALU_DEP_1) | instskip(NEXT) | instid1(VALU_DEP_1)
	v_add_f64_e64 v[14:15], v[10:11], -v[16:17]
	v_add_f64_e64 v[12:13], v[12:13], -v[14:15]
.LBB3_3:
	s_and_not1_saveexec_b32 s0, s0
	s_cbranch_execz .LBB3_5
; %bb.4:
	s_mov_b64 s[2:3], 0x3fe45f306dc9c883
	s_delay_alu instid0(SALU_CYCLE_1) | instskip(SKIP_1) | instid1(VALU_DEP_1)
	v_mul_f64_e64 v[10:11], |v[6:7]|, s[2:3]
	s_mov_b64 s[2:3], 0xbff921fb54442d18
	v_rndne_f64_e32 v[14:15], v[10:11]
	s_delay_alu instid0(VALU_DEP_1) | instskip(SKIP_2) | instid1(VALU_DEP_3)
	v_fma_f64 v[10:11], v[14:15], s[2:3], |v[6:7]|
	v_mul_f64_e32 v[12:13], 0xbc91a62633145c00, v[14:15]
	v_cvt_i32_f64_e32 v1, v[14:15]
	v_fmamk_f64 v[20:21], v[14:15], 0xbc91a62633145c00, v[10:11]
	s_delay_alu instid0(VALU_DEP_3) | instskip(NEXT) | instid1(VALU_DEP_1)
	v_add_f64_e32 v[16:17], v[10:11], v[12:13]
	v_add_f64_e64 v[18:19], v[10:11], -v[16:17]
	s_delay_alu instid0(VALU_DEP_3) | instskip(NEXT) | instid1(VALU_DEP_2)
	v_add_f64_e64 v[10:11], v[16:17], -v[20:21]
	v_add_f64_e32 v[16:17], v[18:19], v[12:13]
	v_fmamk_f64 v[12:13], v[14:15], 0x3c91a62633145c00, v[12:13]
	s_delay_alu instid0(VALU_DEP_2) | instskip(NEXT) | instid1(VALU_DEP_1)
	v_add_f64_e32 v[10:11], v[10:11], v[16:17]
	v_add_f64_e64 v[10:11], v[10:11], -v[12:13]
	s_delay_alu instid0(VALU_DEP_1) | instskip(NEXT) | instid1(VALU_DEP_1)
	v_fmamk_f64 v[12:13], v[14:15], 0xb97b839a252049c0, v[10:11]
	v_add_f64_e32 v[10:11], v[20:21], v[12:13]
	s_delay_alu instid0(VALU_DEP_1) | instskip(NEXT) | instid1(VALU_DEP_1)
	v_add_f64_e64 v[16:17], v[10:11], -v[20:21]
	v_add_f64_e64 v[12:13], v[12:13], -v[16:17]
.LBB3_5:
	s_or_b32 exec_lo, exec_lo, s0
	v_cmp_ngt_f64_e64 s0, 0x41d00000, |v[8:9]|
                                        ; implicit-def: $vgpr26
                                        ; implicit-def: $vgpr14_vgpr15
                                        ; implicit-def: $vgpr16_vgpr17
	s_and_saveexec_b32 s1, s0
	s_delay_alu instid0(SALU_CYCLE_1)
	s_xor_b32 s0, exec_lo, s1
	s_cbranch_execz .LBB3_7
; %bb.6:
	v_ldexp_f64 v[14:15], |v[8:9]|, 0xffffff80
	v_cmp_le_f64_e64 vcc_lo, 0x7b000000, |v[8:9]|
	v_trig_preop_f64 v[16:17], |v[8:9]|, 0
	v_and_b32_e32 v18, 0x7fffffff, v9
	v_trig_preop_f64 v[28:29], |v[8:9]|, 2
	s_mov_b64 s[2:3], 0x3ff921fb54442d18
	s_delay_alu instid0(VALU_DEP_2) | instskip(SKIP_2) | instid1(VALU_DEP_2)
	v_dual_mov_b32 v36, 0 :: v_dual_cndmask_b32 v15, v18, v15
	v_cndmask_b32_e32 v14, v8, v14, vcc_lo
	v_trig_preop_f64 v[18:19], |v[8:9]|, 1
	v_mul_f64_e32 v[20:21], v[16:17], v[14:15]
	v_mul_f64_e32 v[34:35], v[28:29], v[14:15]
	s_delay_alu instid0(VALU_DEP_3) | instskip(NEXT) | instid1(VALU_DEP_3)
	v_mul_f64_e32 v[22:23], v[18:19], v[14:15]
	v_fma_f64 v[16:17], v[16:17], v[14:15], -v[20:21]
	s_delay_alu instid0(VALU_DEP_2) | instskip(NEXT) | instid1(VALU_DEP_4)
	v_fma_f64 v[18:19], v[18:19], v[14:15], -v[22:23]
	v_fma_f64 v[14:15], v[28:29], v[14:15], -v[34:35]
	s_delay_alu instid0(VALU_DEP_3) | instskip(NEXT) | instid1(VALU_DEP_1)
	v_add_f64_e32 v[24:25], v[22:23], v[16:17]
	v_add_f64_e64 v[26:27], v[24:25], -v[22:23]
	v_add_f64_e32 v[32:33], v[20:21], v[24:25]
	s_delay_alu instid0(VALU_DEP_2) | instskip(SKIP_1) | instid1(VALU_DEP_3)
	v_add_f64_e64 v[30:31], v[24:25], -v[26:27]
	v_add_f64_e64 v[16:17], v[16:17], -v[26:27]
	v_ldexp_f64 v[26:27], v[32:33], -2
	s_delay_alu instid0(VALU_DEP_3) | instskip(SKIP_1) | instid1(VALU_DEP_3)
	v_add_f64_e64 v[22:23], v[22:23], -v[30:31]
	v_add_f64_e32 v[30:31], v[34:35], v[18:19]
	v_cmp_neq_f64_e64 vcc_lo, 0x7ff00000, |v[26:27]|
	s_delay_alu instid0(VALU_DEP_3) | instskip(SKIP_1) | instid1(VALU_DEP_1)
	v_add_f64_e32 v[16:17], v[16:17], v[22:23]
	v_fract_f64_e32 v[22:23], v[26:27]
	v_ldexp_f64 v[22:23], v[22:23], 2
	s_delay_alu instid0(VALU_DEP_1) | instskip(NEXT) | instid1(VALU_DEP_1)
	v_dual_add_f64 v[20:21], v[32:33], -v[20:21] :: v_dual_cndmask_b32 v22, 0, v22, vcc_lo
	v_dual_add_f64 v[20:21], v[24:25], -v[20:21] :: v_dual_cndmask_b32 v23, 0, v23, vcc_lo
	v_add_f64_e32 v[24:25], v[30:31], v[16:17]
	s_delay_alu instid0(VALU_DEP_1) | instskip(SKIP_1) | instid1(VALU_DEP_2)
	v_add_f64_e32 v[26:27], v[20:21], v[24:25]
	v_add_f64_e64 v[38:39], v[24:25], -v[30:31]
	v_add_f64_e32 v[32:33], v[26:27], v[22:23]
	s_delay_alu instid0(VALU_DEP_2) | instskip(SKIP_2) | instid1(VALU_DEP_4)
	v_add_f64_e64 v[44:45], v[24:25], -v[38:39]
	v_add_f64_e64 v[16:17], v[16:17], -v[38:39]
	;; [unrolled: 1-line block ×3, first 2 shown]
	v_cmp_gt_f64_e32 vcc_lo, 0, v[32:33]
	v_add_f64_e64 v[32:33], v[30:31], -v[34:35]
	s_delay_alu instid0(VALU_DEP_3) | instskip(SKIP_1) | instid1(VALU_DEP_3)
	v_add_f64_e64 v[20:21], v[24:25], -v[20:21]
	v_cndmask_b32_e64 v37, 0, 0x40100000, vcc_lo
	v_add_f64_e64 v[42:43], v[30:31], -v[32:33]
	v_add_f64_e64 v[18:19], v[18:19], -v[32:33]
	v_add_f64_e64 v[30:31], v[30:31], -v[44:45]
	s_delay_alu instid0(VALU_DEP_4) | instskip(NEXT) | instid1(VALU_DEP_4)
	v_add_f64_e32 v[22:23], v[22:23], v[36:37]
	v_add_f64_e64 v[32:33], v[34:35], -v[42:43]
	s_delay_alu instid0(VALU_DEP_3) | instskip(NEXT) | instid1(VALU_DEP_3)
	v_add_f64_e32 v[16:17], v[16:17], v[30:31]
	v_add_f64_e32 v[40:41], v[26:27], v[22:23]
	s_delay_alu instid0(VALU_DEP_3) | instskip(NEXT) | instid1(VALU_DEP_2)
	v_add_f64_e32 v[18:19], v[18:19], v[32:33]
	v_cvt_i32_f64_e32 v37, v[40:41]
	s_delay_alu instid0(VALU_DEP_2) | instskip(NEXT) | instid1(VALU_DEP_2)
	v_add_f64_e32 v[16:17], v[18:19], v[16:17]
	v_cvt_f64_i32_e32 v[38:39], v37
	s_delay_alu instid0(VALU_DEP_2) | instskip(NEXT) | instid1(VALU_DEP_2)
	v_add_f64_e32 v[14:15], v[14:15], v[16:17]
	v_add_f64_e64 v[22:23], v[22:23], -v[38:39]
	s_delay_alu instid0(VALU_DEP_2) | instskip(NEXT) | instid1(VALU_DEP_2)
	v_add_f64_e32 v[14:15], v[20:21], v[14:15]
	v_add_f64_e32 v[18:19], v[26:27], v[22:23]
	s_delay_alu instid0(VALU_DEP_1) | instskip(SKIP_1) | instid1(VALU_DEP_2)
	v_add_f64_e64 v[16:17], v[18:19], -v[22:23]
	v_cmp_le_f64_e32 vcc_lo, 0.5, v[18:19]
	v_add_f64_e64 v[16:17], v[26:27], -v[16:17]
	v_add_co_ci_u32_e64 v26, null, 0, v37, vcc_lo
	v_cndmask_b32_e64 v37, 0, 0x3ff00000, vcc_lo
	s_delay_alu instid0(VALU_DEP_3) | instskip(NEXT) | instid1(VALU_DEP_2)
	v_add_f64_e32 v[14:15], v[14:15], v[16:17]
	v_add_f64_e64 v[16:17], v[18:19], -v[36:37]
	s_delay_alu instid0(VALU_DEP_1) | instskip(NEXT) | instid1(VALU_DEP_1)
	v_add_f64_e32 v[18:19], v[16:17], v[14:15]
	v_mul_f64_e32 v[20:21], 0x3ff921fb54442d18, v[18:19]
	v_add_f64_e64 v[16:17], v[18:19], -v[16:17]
	s_delay_alu instid0(VALU_DEP_2) | instskip(NEXT) | instid1(VALU_DEP_2)
	v_fma_f64 v[22:23], v[18:19], s[2:3], -v[20:21]
	v_add_f64_e64 v[14:15], v[14:15], -v[16:17]
	s_delay_alu instid0(VALU_DEP_2) | instskip(NEXT) | instid1(VALU_DEP_1)
	v_fmamk_f64 v[16:17], v[18:19], 0x3c91a62633145c07, v[22:23]
	v_fmac_f64_e32 v[16:17], 0x3ff921fb54442d18, v[14:15]
	s_delay_alu instid0(VALU_DEP_1) | instskip(NEXT) | instid1(VALU_DEP_1)
	v_add_f64_e32 v[14:15], v[20:21], v[16:17]
	v_add_f64_e64 v[18:19], v[14:15], -v[20:21]
	s_delay_alu instid0(VALU_DEP_1)
	v_add_f64_e64 v[16:17], v[16:17], -v[18:19]
.LBB3_7:
	s_and_not1_saveexec_b32 s0, s0
	s_cbranch_execz .LBB3_9
; %bb.8:
	s_mov_b64 s[2:3], 0x3fe45f306dc9c883
	s_delay_alu instid0(SALU_CYCLE_1) | instskip(SKIP_1) | instid1(VALU_DEP_1)
	v_mul_f64_e64 v[14:15], |v[8:9]|, s[2:3]
	s_mov_b64 s[2:3], 0xbff921fb54442d18
	v_rndne_f64_e32 v[18:19], v[14:15]
	s_delay_alu instid0(VALU_DEP_1) | instskip(SKIP_2) | instid1(VALU_DEP_3)
	v_fma_f64 v[14:15], v[18:19], s[2:3], |v[8:9]|
	v_mul_f64_e32 v[16:17], 0xbc91a62633145c00, v[18:19]
	v_cvt_i32_f64_e32 v26, v[18:19]
	v_fmamk_f64 v[24:25], v[18:19], 0xbc91a62633145c00, v[14:15]
	s_delay_alu instid0(VALU_DEP_3) | instskip(NEXT) | instid1(VALU_DEP_1)
	v_add_f64_e32 v[20:21], v[14:15], v[16:17]
	v_add_f64_e64 v[22:23], v[14:15], -v[20:21]
	s_delay_alu instid0(VALU_DEP_3) | instskip(NEXT) | instid1(VALU_DEP_2)
	v_add_f64_e64 v[14:15], v[20:21], -v[24:25]
	v_add_f64_e32 v[20:21], v[22:23], v[16:17]
	v_fmamk_f64 v[16:17], v[18:19], 0x3c91a62633145c00, v[16:17]
	s_delay_alu instid0(VALU_DEP_2) | instskip(NEXT) | instid1(VALU_DEP_1)
	v_add_f64_e32 v[14:15], v[14:15], v[20:21]
	v_add_f64_e64 v[14:15], v[14:15], -v[16:17]
	s_delay_alu instid0(VALU_DEP_1) | instskip(NEXT) | instid1(VALU_DEP_1)
	v_fmamk_f64 v[16:17], v[18:19], 0xb97b839a252049c0, v[14:15]
	v_add_f64_e32 v[14:15], v[24:25], v[16:17]
	s_delay_alu instid0(VALU_DEP_1) | instskip(NEXT) | instid1(VALU_DEP_1)
	v_add_f64_e64 v[20:21], v[14:15], -v[24:25]
	v_add_f64_e64 v[16:17], v[16:17], -v[20:21]
.LBB3_9:
	s_or_b32 exec_lo, exec_lo, s0
	s_wait_loadcnt 0x0
	v_cmp_ngt_f64_e64 s0, 0x41d00000, |v[2:3]|
                                        ; implicit-def: $vgpr27
                                        ; implicit-def: $vgpr18_vgpr19
                                        ; implicit-def: $vgpr20_vgpr21
	s_and_saveexec_b32 s1, s0
	s_delay_alu instid0(SALU_CYCLE_1)
	s_xor_b32 s0, exec_lo, s1
	s_cbranch_execz .LBB3_11
; %bb.10:
	v_ldexp_f64 v[18:19], |v[2:3]|, 0xffffff80
	v_cmp_le_f64_e64 vcc_lo, 0x7b000000, |v[2:3]|
	v_trig_preop_f64 v[20:21], |v[2:3]|, 0
	v_and_b32_e32 v22, 0x7fffffff, v3
	v_trig_preop_f64 v[34:35], |v[2:3]|, 2
	s_mov_b64 s[2:3], 0x3ff921fb54442d18
	s_delay_alu instid0(VALU_DEP_2) | instskip(SKIP_2) | instid1(VALU_DEP_2)
	v_dual_mov_b32 v42, 0 :: v_dual_cndmask_b32 v19, v22, v19
	v_cndmask_b32_e32 v18, v2, v18, vcc_lo
	v_trig_preop_f64 v[22:23], |v[2:3]|, 1
	v_mul_f64_e32 v[24:25], v[20:21], v[18:19]
	s_delay_alu instid0(VALU_DEP_2) | instskip(NEXT) | instid1(VALU_DEP_2)
	v_mul_f64_e32 v[28:29], v[22:23], v[18:19]
	v_fma_f64 v[20:21], v[20:21], v[18:19], -v[24:25]
	s_delay_alu instid0(VALU_DEP_1) | instskip(NEXT) | instid1(VALU_DEP_1)
	v_add_f64_e32 v[30:31], v[28:29], v[20:21]
	v_add_f64_e64 v[32:33], v[30:31], -v[28:29]
	v_add_f64_e32 v[38:39], v[24:25], v[30:31]
	s_delay_alu instid0(VALU_DEP_2) | instskip(SKIP_2) | instid1(VALU_DEP_4)
	v_add_f64_e64 v[36:37], v[30:31], -v[32:33]
	v_add_f64_e64 v[20:21], v[20:21], -v[32:33]
	v_fma_f64 v[22:23], v[22:23], v[18:19], -v[28:29]
	v_ldexp_f64 v[32:33], v[38:39], -2
	v_mul_f64_e32 v[40:41], v[34:35], v[18:19]
	v_add_f64_e64 v[28:29], v[28:29], -v[36:37]
	s_delay_alu instid0(VALU_DEP_3) | instskip(NEXT) | instid1(VALU_DEP_3)
	v_cmp_neq_f64_e64 vcc_lo, 0x7ff00000, |v[32:33]|
	v_add_f64_e32 v[36:37], v[40:41], v[22:23]
	v_fma_f64 v[18:19], v[34:35], v[18:19], -v[40:41]
	s_delay_alu instid0(VALU_DEP_4) | instskip(SKIP_1) | instid1(VALU_DEP_1)
	v_add_f64_e32 v[20:21], v[20:21], v[28:29]
	v_fract_f64_e32 v[28:29], v[32:33]
	v_ldexp_f64 v[28:29], v[28:29], 2
	s_delay_alu instid0(VALU_DEP_1) | instskip(SKIP_1) | instid1(VALU_DEP_3)
	v_cndmask_b32_e32 v29, 0, v29, vcc_lo
	v_add_f64_e64 v[24:25], v[38:39], -v[24:25]
	v_cndmask_b32_e32 v28, 0, v28, vcc_lo
	s_delay_alu instid0(VALU_DEP_2) | instskip(SKIP_1) | instid1(VALU_DEP_1)
	v_add_f64_e64 v[24:25], v[30:31], -v[24:25]
	v_add_f64_e32 v[30:31], v[36:37], v[20:21]
	v_add_f64_e32 v[32:33], v[24:25], v[30:31]
	v_add_f64_e64 v[44:45], v[30:31], -v[36:37]
	s_delay_alu instid0(VALU_DEP_2) | instskip(NEXT) | instid1(VALU_DEP_2)
	v_add_f64_e32 v[38:39], v[32:33], v[28:29]
	v_add_f64_e64 v[50:51], v[30:31], -v[44:45]
	v_add_f64_e64 v[20:21], v[20:21], -v[44:45]
	;; [unrolled: 1-line block ×3, first 2 shown]
	s_delay_alu instid0(VALU_DEP_4) | instskip(SKIP_1) | instid1(VALU_DEP_3)
	v_cmp_gt_f64_e32 vcc_lo, 0, v[38:39]
	v_add_f64_e64 v[38:39], v[36:37], -v[40:41]
	v_add_f64_e64 v[24:25], v[30:31], -v[24:25]
	v_cndmask_b32_e64 v43, 0, 0x40100000, vcc_lo
	s_delay_alu instid0(VALU_DEP_3) | instskip(SKIP_2) | instid1(VALU_DEP_4)
	v_add_f64_e64 v[48:49], v[36:37], -v[38:39]
	v_add_f64_e64 v[22:23], v[22:23], -v[38:39]
	;; [unrolled: 1-line block ×3, first 2 shown]
	v_add_f64_e32 v[28:29], v[28:29], v[42:43]
	s_delay_alu instid0(VALU_DEP_4) | instskip(NEXT) | instid1(VALU_DEP_3)
	v_add_f64_e64 v[38:39], v[40:41], -v[48:49]
	v_add_f64_e32 v[20:21], v[20:21], v[36:37]
	s_delay_alu instid0(VALU_DEP_3) | instskip(NEXT) | instid1(VALU_DEP_3)
	v_add_f64_e32 v[46:47], v[32:33], v[28:29]
	v_add_f64_e32 v[22:23], v[22:23], v[38:39]
	s_delay_alu instid0(VALU_DEP_2) | instskip(NEXT) | instid1(VALU_DEP_2)
	v_cvt_i32_f64_e32 v27, v[46:47]
	v_add_f64_e32 v[20:21], v[22:23], v[20:21]
	s_delay_alu instid0(VALU_DEP_2) | instskip(NEXT) | instid1(VALU_DEP_2)
	v_cvt_f64_i32_e32 v[44:45], v27
	v_add_f64_e32 v[18:19], v[18:19], v[20:21]
	s_delay_alu instid0(VALU_DEP_2) | instskip(NEXT) | instid1(VALU_DEP_2)
	v_add_f64_e64 v[28:29], v[28:29], -v[44:45]
	v_add_f64_e32 v[18:19], v[24:25], v[18:19]
	s_delay_alu instid0(VALU_DEP_2) | instskip(NEXT) | instid1(VALU_DEP_1)
	v_add_f64_e32 v[22:23], v[32:33], v[28:29]
	v_add_f64_e64 v[20:21], v[22:23], -v[28:29]
	v_cmp_le_f64_e32 vcc_lo, 0.5, v[22:23]
	s_delay_alu instid0(VALU_DEP_2) | instskip(SKIP_2) | instid1(VALU_DEP_3)
	v_add_f64_e64 v[20:21], v[32:33], -v[20:21]
	v_cndmask_b32_e64 v43, 0, 0x3ff00000, vcc_lo
	v_add_co_ci_u32_e64 v27, null, 0, v27, vcc_lo
	v_add_f64_e32 v[18:19], v[18:19], v[20:21]
	s_delay_alu instid0(VALU_DEP_3) | instskip(NEXT) | instid1(VALU_DEP_1)
	v_add_f64_e64 v[20:21], v[22:23], -v[42:43]
	v_add_f64_e32 v[22:23], v[20:21], v[18:19]
	s_delay_alu instid0(VALU_DEP_1) | instskip(SKIP_1) | instid1(VALU_DEP_2)
	v_mul_f64_e32 v[24:25], 0x3ff921fb54442d18, v[22:23]
	v_add_f64_e64 v[20:21], v[22:23], -v[20:21]
	v_fma_f64 v[28:29], v[22:23], s[2:3], -v[24:25]
	s_delay_alu instid0(VALU_DEP_2) | instskip(NEXT) | instid1(VALU_DEP_2)
	v_add_f64_e64 v[18:19], v[18:19], -v[20:21]
	v_fmamk_f64 v[20:21], v[22:23], 0x3c91a62633145c07, v[28:29]
	s_delay_alu instid0(VALU_DEP_1) | instskip(NEXT) | instid1(VALU_DEP_1)
	v_fmac_f64_e32 v[20:21], 0x3ff921fb54442d18, v[18:19]
	v_add_f64_e32 v[18:19], v[24:25], v[20:21]
	s_delay_alu instid0(VALU_DEP_1) | instskip(NEXT) | instid1(VALU_DEP_1)
	v_add_f64_e64 v[22:23], v[18:19], -v[24:25]
	v_add_f64_e64 v[20:21], v[20:21], -v[22:23]
.LBB3_11:
	s_and_not1_saveexec_b32 s0, s0
	s_cbranch_execz .LBB3_13
; %bb.12:
	s_mov_b64 s[2:3], 0x3fe45f306dc9c883
	s_delay_alu instid0(SALU_CYCLE_1) | instskip(SKIP_1) | instid1(VALU_DEP_1)
	v_mul_f64_e64 v[18:19], |v[2:3]|, s[2:3]
	s_mov_b64 s[2:3], 0xbff921fb54442d18
	v_rndne_f64_e32 v[22:23], v[18:19]
	s_delay_alu instid0(VALU_DEP_1) | instskip(SKIP_2) | instid1(VALU_DEP_3)
	v_fma_f64 v[18:19], v[22:23], s[2:3], |v[2:3]|
	v_mul_f64_e32 v[20:21], 0xbc91a62633145c00, v[22:23]
	v_cvt_i32_f64_e32 v27, v[22:23]
	v_fmamk_f64 v[30:31], v[22:23], 0xbc91a62633145c00, v[18:19]
	s_delay_alu instid0(VALU_DEP_3) | instskip(NEXT) | instid1(VALU_DEP_1)
	v_add_f64_e32 v[24:25], v[18:19], v[20:21]
	v_add_f64_e64 v[28:29], v[18:19], -v[24:25]
	s_delay_alu instid0(VALU_DEP_3) | instskip(NEXT) | instid1(VALU_DEP_2)
	v_add_f64_e64 v[18:19], v[24:25], -v[30:31]
	v_add_f64_e32 v[24:25], v[28:29], v[20:21]
	v_fmamk_f64 v[20:21], v[22:23], 0x3c91a62633145c00, v[20:21]
	s_delay_alu instid0(VALU_DEP_2) | instskip(NEXT) | instid1(VALU_DEP_1)
	v_add_f64_e32 v[18:19], v[18:19], v[24:25]
	v_add_f64_e64 v[18:19], v[18:19], -v[20:21]
	s_delay_alu instid0(VALU_DEP_1) | instskip(NEXT) | instid1(VALU_DEP_1)
	v_fmamk_f64 v[20:21], v[22:23], 0xb97b839a252049c0, v[18:19]
	v_add_f64_e32 v[18:19], v[30:31], v[20:21]
	s_delay_alu instid0(VALU_DEP_1) | instskip(NEXT) | instid1(VALU_DEP_1)
	v_add_f64_e64 v[24:25], v[18:19], -v[30:31]
	v_add_f64_e64 v[20:21], v[20:21], -v[24:25]
.LBB3_13:
	s_or_b32 exec_lo, exec_lo, s0
	v_cmp_ngt_f64_e64 s0, 0x41d00000, |v[4:5]|
                                        ; implicit-def: $vgpr28
                                        ; implicit-def: $vgpr22_vgpr23
                                        ; implicit-def: $vgpr24_vgpr25
	s_and_saveexec_b32 s1, s0
	s_delay_alu instid0(SALU_CYCLE_1)
	s_xor_b32 s0, exec_lo, s1
	s_cbranch_execz .LBB3_15
; %bb.14:
	v_ldexp_f64 v[22:23], |v[4:5]|, 0xffffff80
	v_cmp_le_f64_e64 vcc_lo, 0x7b000000, |v[4:5]|
	v_trig_preop_f64 v[24:25], |v[4:5]|, 0
	v_and_b32_e32 v28, 0x7fffffff, v5
	v_trig_preop_f64 v[38:39], |v[4:5]|, 2
	s_mov_b64 s[2:3], 0x3ff921fb54442d18
	s_delay_alu instid0(VALU_DEP_2) | instskip(SKIP_2) | instid1(VALU_DEP_2)
	v_dual_mov_b32 v46, 0 :: v_dual_cndmask_b32 v23, v28, v23
	v_cndmask_b32_e32 v22, v4, v22, vcc_lo
	v_trig_preop_f64 v[28:29], |v[4:5]|, 1
	v_mul_f64_e32 v[30:31], v[24:25], v[22:23]
	s_delay_alu instid0(VALU_DEP_2) | instskip(NEXT) | instid1(VALU_DEP_2)
	v_mul_f64_e32 v[32:33], v[28:29], v[22:23]
	v_fma_f64 v[24:25], v[24:25], v[22:23], -v[30:31]
	s_delay_alu instid0(VALU_DEP_1) | instskip(NEXT) | instid1(VALU_DEP_1)
	v_add_f64_e32 v[34:35], v[32:33], v[24:25]
	v_add_f64_e64 v[36:37], v[34:35], -v[32:33]
	v_add_f64_e32 v[42:43], v[30:31], v[34:35]
	s_delay_alu instid0(VALU_DEP_2) | instskip(SKIP_2) | instid1(VALU_DEP_4)
	v_add_f64_e64 v[40:41], v[34:35], -v[36:37]
	v_fma_f64 v[28:29], v[28:29], v[22:23], -v[32:33]
	v_add_f64_e64 v[24:25], v[24:25], -v[36:37]
	v_ldexp_f64 v[36:37], v[42:43], -2
	v_mul_f64_e32 v[44:45], v[38:39], v[22:23]
	v_add_f64_e64 v[32:33], v[32:33], -v[40:41]
	s_delay_alu instid0(VALU_DEP_3) | instskip(NEXT) | instid1(VALU_DEP_3)
	v_cmp_neq_f64_e64 vcc_lo, 0x7ff00000, |v[36:37]|
	v_add_f64_e32 v[40:41], v[44:45], v[28:29]
	v_fma_f64 v[22:23], v[38:39], v[22:23], -v[44:45]
	s_delay_alu instid0(VALU_DEP_4) | instskip(SKIP_1) | instid1(VALU_DEP_1)
	v_add_f64_e32 v[24:25], v[24:25], v[32:33]
	v_fract_f64_e32 v[32:33], v[36:37]
	v_ldexp_f64 v[32:33], v[32:33], 2
	s_delay_alu instid0(VALU_DEP_1) | instskip(NEXT) | instid1(VALU_DEP_1)
	v_dual_add_f64 v[30:31], v[42:43], -v[30:31] :: v_dual_cndmask_b32 v33, 0, v33, vcc_lo
	v_dual_add_f64 v[30:31], v[34:35], -v[30:31] :: v_dual_cndmask_b32 v32, 0, v32, vcc_lo
	v_add_f64_e32 v[34:35], v[40:41], v[24:25]
	s_delay_alu instid0(VALU_DEP_1) | instskip(SKIP_1) | instid1(VALU_DEP_2)
	v_add_f64_e32 v[36:37], v[30:31], v[34:35]
	v_add_f64_e64 v[48:49], v[34:35], -v[40:41]
	v_add_f64_e32 v[42:43], v[36:37], v[32:33]
	s_delay_alu instid0(VALU_DEP_2) | instskip(SKIP_2) | instid1(VALU_DEP_4)
	v_add_f64_e64 v[54:55], v[34:35], -v[48:49]
	v_add_f64_e64 v[24:25], v[24:25], -v[48:49]
	;; [unrolled: 1-line block ×3, first 2 shown]
	v_cmp_gt_f64_e32 vcc_lo, 0, v[42:43]
	v_add_f64_e64 v[42:43], v[40:41], -v[44:45]
	v_cndmask_b32_e64 v47, 0, 0x40100000, vcc_lo
	s_delay_alu instid0(VALU_DEP_2) | instskip(SKIP_2) | instid1(VALU_DEP_4)
	v_add_f64_e64 v[52:53], v[40:41], -v[42:43]
	v_add_f64_e64 v[28:29], v[28:29], -v[42:43]
	v_add_f64_e64 v[40:41], v[40:41], -v[54:55]
	v_add_f64_e32 v[32:33], v[32:33], v[46:47]
	s_delay_alu instid0(VALU_DEP_4) | instskip(NEXT) | instid1(VALU_DEP_3)
	v_add_f64_e64 v[42:43], v[44:45], -v[52:53]
	v_add_f64_e32 v[24:25], v[24:25], v[40:41]
	s_delay_alu instid0(VALU_DEP_3) | instskip(NEXT) | instid1(VALU_DEP_3)
	v_add_f64_e32 v[50:51], v[36:37], v[32:33]
	v_add_f64_e32 v[28:29], v[28:29], v[42:43]
	s_delay_alu instid0(VALU_DEP_2) | instskip(NEXT) | instid1(VALU_DEP_2)
	v_cvt_i32_f64_e32 v47, v[50:51]
	v_add_f64_e32 v[24:25], v[28:29], v[24:25]
	v_add_f64_e64 v[28:29], v[34:35], -v[30:31]
	s_delay_alu instid0(VALU_DEP_3) | instskip(NEXT) | instid1(VALU_DEP_3)
	v_cvt_f64_i32_e32 v[48:49], v47
	v_add_f64_e32 v[22:23], v[22:23], v[24:25]
	s_delay_alu instid0(VALU_DEP_2) | instskip(NEXT) | instid1(VALU_DEP_2)
	v_add_f64_e64 v[32:33], v[32:33], -v[48:49]
	v_add_f64_e32 v[22:23], v[28:29], v[22:23]
	s_delay_alu instid0(VALU_DEP_2) | instskip(NEXT) | instid1(VALU_DEP_1)
	v_add_f64_e32 v[38:39], v[36:37], v[32:33]
	v_add_f64_e64 v[24:25], v[38:39], -v[32:33]
	v_cmp_le_f64_e32 vcc_lo, 0.5, v[38:39]
	s_delay_alu instid0(VALU_DEP_2) | instskip(SKIP_2) | instid1(VALU_DEP_3)
	v_add_f64_e64 v[24:25], v[36:37], -v[24:25]
	v_add_co_ci_u32_e64 v28, null, 0, v47, vcc_lo
	v_cndmask_b32_e64 v47, 0, 0x3ff00000, vcc_lo
	v_add_f64_e32 v[22:23], v[22:23], v[24:25]
	s_delay_alu instid0(VALU_DEP_2) | instskip(NEXT) | instid1(VALU_DEP_1)
	v_add_f64_e64 v[24:25], v[38:39], -v[46:47]
	v_add_f64_e32 v[30:31], v[24:25], v[22:23]
	s_delay_alu instid0(VALU_DEP_1) | instskip(SKIP_1) | instid1(VALU_DEP_2)
	v_mul_f64_e32 v[32:33], 0x3ff921fb54442d18, v[30:31]
	v_add_f64_e64 v[24:25], v[30:31], -v[24:25]
	v_fma_f64 v[34:35], v[30:31], s[2:3], -v[32:33]
	s_delay_alu instid0(VALU_DEP_2) | instskip(NEXT) | instid1(VALU_DEP_2)
	v_add_f64_e64 v[22:23], v[22:23], -v[24:25]
	v_fmamk_f64 v[24:25], v[30:31], 0x3c91a62633145c07, v[34:35]
	s_delay_alu instid0(VALU_DEP_1) | instskip(NEXT) | instid1(VALU_DEP_1)
	v_fmac_f64_e32 v[24:25], 0x3ff921fb54442d18, v[22:23]
	v_add_f64_e32 v[22:23], v[32:33], v[24:25]
	s_delay_alu instid0(VALU_DEP_1) | instskip(NEXT) | instid1(VALU_DEP_1)
	v_add_f64_e64 v[30:31], v[22:23], -v[32:33]
	v_add_f64_e64 v[24:25], v[24:25], -v[30:31]
.LBB3_15:
	s_and_not1_saveexec_b32 s0, s0
	s_cbranch_execz .LBB3_17
; %bb.16:
	s_mov_b64 s[2:3], 0x3fe45f306dc9c883
	s_delay_alu instid0(SALU_CYCLE_1) | instskip(SKIP_1) | instid1(VALU_DEP_1)
	v_mul_f64_e64 v[22:23], |v[4:5]|, s[2:3]
	s_mov_b64 s[2:3], 0xbff921fb54442d18
	v_rndne_f64_e32 v[28:29], v[22:23]
	s_delay_alu instid0(VALU_DEP_1) | instskip(SKIP_1) | instid1(VALU_DEP_2)
	v_fma_f64 v[22:23], v[28:29], s[2:3], |v[4:5]|
	v_mul_f64_e32 v[24:25], 0xbc91a62633145c00, v[28:29]
	v_fmamk_f64 v[34:35], v[28:29], 0xbc91a62633145c00, v[22:23]
	s_delay_alu instid0(VALU_DEP_2) | instskip(NEXT) | instid1(VALU_DEP_1)
	v_add_f64_e32 v[30:31], v[22:23], v[24:25]
	v_add_f64_e64 v[32:33], v[22:23], -v[30:31]
	s_delay_alu instid0(VALU_DEP_3) | instskip(NEXT) | instid1(VALU_DEP_2)
	v_add_f64_e64 v[22:23], v[30:31], -v[34:35]
	v_add_f64_e32 v[30:31], v[32:33], v[24:25]
	v_fmamk_f64 v[24:25], v[28:29], 0x3c91a62633145c00, v[24:25]
	s_delay_alu instid0(VALU_DEP_2) | instskip(NEXT) | instid1(VALU_DEP_1)
	v_add_f64_e32 v[22:23], v[22:23], v[30:31]
	v_add_f64_e64 v[22:23], v[22:23], -v[24:25]
	s_delay_alu instid0(VALU_DEP_1) | instskip(SKIP_1) | instid1(VALU_DEP_2)
	v_fmamk_f64 v[24:25], v[28:29], 0xb97b839a252049c0, v[22:23]
	v_cvt_i32_f64_e32 v28, v[28:29]
	v_add_f64_e32 v[22:23], v[34:35], v[24:25]
	s_delay_alu instid0(VALU_DEP_1) | instskip(NEXT) | instid1(VALU_DEP_1)
	v_add_f64_e64 v[30:31], v[22:23], -v[34:35]
	v_add_f64_e64 v[24:25], v[24:25], -v[30:31]
.LBB3_17:
	s_or_b32 exec_lo, exec_lo, s0
	v_mul_f64_e32 v[32:33], v[14:15], v[14:15]
	v_dual_mul_f64 v[30:31], v[18:19], v[18:19] :: v_dual_bitop2_b32 v29, 1, v1 bitop3:0x40
	v_lshlrev_b32_e32 v1, 30, v1
	v_mov_b64_e32 v[44:45], 0xbe5ae600b42fdfa7
	v_mul_f64_e32 v[46:47], 0.5, v[20:21]
	v_cmp_class_f64_e64 s6, v[4:5], 0x1f8
	v_cmp_class_f64_e64 s4, v[6:7], 0x1f8
	v_mov_b64_e32 v[56:57], 0x3e21eeb69037ab78
	v_cmp_eq_u32_e64 s3, 0, v29
	v_cmp_class_f64_e64 s0, v[2:3], 0x1f8
	v_cmp_class_f64_e64 s2, v[8:9], 0x1f8
	v_dual_lshlrev_b32 v6, 30, v28 :: v_dual_lshlrev_b32 v4, 30, v26
	v_lshlrev_b32_e32 v2, 30, v27
	v_xor_b32_e32 v1, v1, v7
	s_delay_alu instid0(VALU_DEP_3) | instskip(NEXT) | instid1(VALU_DEP_4)
	v_xor_b32_e32 v5, v6, v5
	v_xor_b32_e32 v4, v4, v9
	s_delay_alu instid0(VALU_DEP_4)
	v_dual_mul_f64 v[36:37], 0.5, v[32:33] :: v_dual_bitop2_b32 v2, v2, v3 bitop3:0x14
	v_mul_f64_e32 v[34:35], 0.5, v[30:31]
	v_mul_f64_e64 v[48:49], v[18:19], -v[30:31]
	v_fmamk_f64 v[50:51], v[30:31], 0x3de5e0b2f9a43bb8, v[44:45]
	v_fmamk_f64 v[58:59], v[30:31], 0xbda907db46cc5e42, v[56:57]
	v_mul_f64_e64 v[54:55], v[14:15], -v[32:33]
	s_delay_alu instid0(VALU_DEP_3) | instskip(NEXT) | instid1(VALU_DEP_3)
	v_fmaak_f64 v[50:51], v[30:31], v[50:51], 0x3ec71de3796cde01
	v_fmaak_f64 v[58:59], v[30:31], v[58:59], 0xbe927e4fa17f65f6
	s_delay_alu instid0(VALU_DEP_2) | instskip(NEXT) | instid1(VALU_DEP_2)
	v_fmaak_f64 v[50:51], v[30:31], v[50:51], 0xbf2a01a019e83e5c
	v_fmaak_f64 v[58:59], v[30:31], v[58:59], 0x3efa01a019f4ec90
	s_delay_alu instid0(VALU_DEP_1) | instskip(SKIP_2) | instid1(VALU_DEP_2)
	v_fmaak_f64 v[58:59], v[30:31], v[58:59], 0xbf56c16c16c16967
	v_add_f64_e64 v[40:41], -v[36:37], 1.0
	v_add_f64_e64 v[38:39], -v[34:35], 1.0
	;; [unrolled: 1-line block ×3, first 2 shown]
	s_delay_alu instid0(VALU_DEP_2) | instskip(NEXT) | instid1(VALU_DEP_2)
	v_add_f64_e64 v[42:43], -v[38:39], 1.0
	v_add_f64_e64 v[36:37], v[52:53], -v[36:37]
	s_delay_alu instid0(VALU_DEP_2) | instskip(SKIP_2) | instid1(VALU_DEP_2)
	v_add_f64_e64 v[34:35], v[42:43], -v[34:35]
	v_fmaak_f64 v[42:43], v[30:31], v[50:51], 0x3f81111111110bb3
	v_mul_f64_e32 v[52:53], v[30:31], v[30:31]
	v_fmac_f64_e32 v[46:47], v[48:49], v[42:43]
	v_fmamk_f64 v[42:43], v[32:33], 0x3de5e0b2f9a43bb8, v[44:45]
	s_delay_alu instid0(VALU_DEP_1) | instskip(NEXT) | instid1(VALU_DEP_1)
	v_fmaak_f64 v[42:43], v[32:33], v[42:43], 0x3ec71de3796cde01
	v_fmaak_f64 v[42:43], v[32:33], v[42:43], 0xbf2a01a019e83e5c
	s_delay_alu instid0(VALU_DEP_1)
	v_fmaak_f64 v[42:43], v[32:33], v[42:43], 0x3f81111111110bb3
	v_fma_f64 v[36:37], v[14:15], -v[16:17], v[36:37]
	v_fma_f64 v[34:35], v[18:19], -v[20:21], v[34:35]
	v_fma_f64 v[20:21], v[30:31], v[46:47], -v[20:21]
	v_fmaak_f64 v[30:31], v[30:31], v[58:59], 0x3fa5555555555555
	v_mul_f64_e32 v[46:47], v[22:23], v[22:23]
	v_fmamk_f64 v[58:59], v[32:33], 0xbda907db46cc5e42, v[56:57]
	s_delay_alu instid0(VALU_DEP_3) | instskip(SKIP_1) | instid1(VALU_DEP_3)
	v_fmac_f64_e32 v[34:35], v[52:53], v[30:31]
	v_mul_f64_e32 v[30:31], v[32:33], v[32:33]
	v_fmaak_f64 v[52:53], v[32:33], v[58:59], 0xbe927e4fa17f65f6
	v_fmac_f64_e32 v[20:21], 0xbfc5555555555555, v[48:49]
	s_delay_alu instid0(VALU_DEP_2) | instskip(SKIP_1) | instid1(VALU_DEP_2)
	v_fmaak_f64 v[52:53], v[32:33], v[52:53], 0x3efa01a019f4ec90
	v_mul_f64_e64 v[66:67], v[22:23], -v[46:47]
	v_fmaak_f64 v[52:53], v[32:33], v[52:53], 0xbf56c16c16c16967
	s_delay_alu instid0(VALU_DEP_4) | instskip(SKIP_2) | instid1(VALU_DEP_1)
	v_add_f64_e64 v[18:19], v[18:19], -v[20:21]
	v_add_f64_e32 v[20:21], v[38:39], v[34:35]
	v_mul_f64_e32 v[50:51], 0.5, v[16:17]
	v_fmac_f64_e32 v[50:51], v[54:55], v[42:43]
	v_mul_f64_e32 v[42:43], v[10:11], v[10:11]
	s_delay_alu instid0(VALU_DEP_2) | instskip(NEXT) | instid1(VALU_DEP_2)
	v_fma_f64 v[16:17], v[32:33], v[50:51], -v[16:17]
	v_fmamk_f64 v[58:59], v[42:43], 0xbda907db46cc5e42, v[56:57]
	v_fmac_f64_e32 v[56:57], 0xbda907db46cc5e42, v[46:47]
	v_fmamk_f64 v[50:51], v[42:43], 0x3de5e0b2f9a43bb8, v[44:45]
	v_fmac_f64_e32 v[44:45], 0x3de5e0b2f9a43bb8, v[46:47]
	v_fmaak_f64 v[32:33], v[32:33], v[52:53], 0x3fa5555555555555
	v_mul_f64_e32 v[52:53], 0.5, v[12:13]
	s_delay_alu instid0(VALU_DEP_4) | instskip(NEXT) | instid1(VALU_DEP_3)
	v_fmaak_f64 v[50:51], v[42:43], v[50:51], 0x3ec71de3796cde01
	v_fmac_f64_e32 v[36:37], v[30:31], v[32:33]
	v_mul_f64_e64 v[30:31], v[10:11], -v[42:43]
	v_mov_b64_e32 v[32:33], 0xbe927e4fa17f65f6
	s_delay_alu instid0(VALU_DEP_4) | instskip(NEXT) | instid1(VALU_DEP_1)
	v_fmaak_f64 v[50:51], v[42:43], v[50:51], 0xbf2a01a019e83e5c
	v_fmaak_f64 v[50:51], v[42:43], v[50:51], 0x3f81111111110bb3
	v_fmac_f64_e32 v[16:17], 0xbfc5555555555555, v[54:55]
	s_delay_alu instid0(VALU_DEP_4) | instskip(SKIP_1) | instid1(VALU_DEP_1)
	v_fmac_f64_e32 v[32:33], v[46:47], v[56:57]
	v_mov_b64_e32 v[56:57], 0x3ec71de3796cde01
	v_fmac_f64_e32 v[56:57], v[46:47], v[44:45]
	v_mul_f64_e32 v[44:45], 0.5, v[42:43]
	v_fmac_f64_e32 v[52:53], v[30:31], v[50:51]
	v_mov_b64_e32 v[50:51], 0x3efa01a019f4ec90
	v_add_f64_e64 v[14:15], v[14:15], -v[16:17]
	v_add_f64_e32 v[16:17], v[40:41], v[36:37]
	s_delay_alu instid0(VALU_DEP_3) | instskip(SKIP_1) | instid1(VALU_DEP_1)
	v_fmac_f64_e32 v[50:51], v[46:47], v[32:33]
	v_mov_b64_e32 v[32:33], 0xbf2a01a019e83e5c
	v_fmac_f64_e32 v[32:33], v[46:47], v[56:57]
	v_add_f64_e64 v[56:57], -v[44:45], 1.0
	v_fma_f64 v[48:49], v[42:43], v[52:53], -v[12:13]
	s_delay_alu instid0(VALU_DEP_2) | instskip(NEXT) | instid1(VALU_DEP_2)
	v_add_f64_e64 v[60:61], -v[56:57], 1.0
	v_fmac_f64_e32 v[48:49], 0xbfc5555555555555, v[30:31]
	s_delay_alu instid0(VALU_DEP_2) | instskip(SKIP_1) | instid1(VALU_DEP_1)
	v_add_f64_e64 v[44:45], v[60:61], -v[44:45]
	v_mul_f64_e32 v[60:61], 0.5, v[46:47]
	v_add_f64_e64 v[62:63], -v[60:61], 1.0
	s_delay_alu instid0(VALU_DEP_1) | instskip(NEXT) | instid1(VALU_DEP_1)
	v_add_f64_e64 v[64:65], -v[62:63], 1.0
	v_add_f64_e64 v[60:61], v[64:65], -v[60:61]
	v_mov_b64_e32 v[64:65], 0xbf56c16c16c16967
	s_delay_alu instid0(VALU_DEP_1) | instskip(SKIP_1) | instid1(VALU_DEP_1)
	v_fmac_f64_e32 v[64:65], v[46:47], v[50:51]
	v_mov_b64_e32 v[50:51], 0x3f81111111110bb3
	v_fmac_f64_e32 v[50:51], v[46:47], v[32:33]
	v_mul_f64_e32 v[32:33], 0.5, v[24:25]
	s_delay_alu instid0(VALU_DEP_1) | instskip(SKIP_1) | instid1(VALU_DEP_2)
	v_fmac_f64_e32 v[32:33], v[66:67], v[50:51]
	v_fma_f64 v[50:51], v[22:23], -v[24:25], v[60:61]
	v_fma_f64 v[24:25], v[46:47], v[32:33], -v[24:25]
	v_fmaak_f64 v[32:33], v[42:43], v[58:59], 0xbe927e4fa17f65f6
	s_delay_alu instid0(VALU_DEP_1) | instskip(NEXT) | instid1(VALU_DEP_1)
	v_fmaak_f64 v[32:33], v[42:43], v[32:33], 0x3efa01a019f4ec90
	v_fmaak_f64 v[32:33], v[42:43], v[32:33], 0xbf56c16c16c16967
	s_delay_alu instid0(VALU_DEP_1) | instskip(SKIP_2) | instid1(VALU_DEP_1)
	v_fmaak_f64 v[32:33], v[42:43], v[32:33], 0x3fa5555555555555
	v_mul_f64_e32 v[42:43], v[42:43], v[42:43]
	v_fmac_f64_e32 v[24:25], 0xbfc5555555555555, v[66:67]
	v_dual_add_f64 v[22:23], v[22:23], -v[24:25] :: v_dual_bitop2_b32 v24, 1, v27 bitop3:0x40
	v_and_b32_e32 v25, 1, v26
	s_delay_alu instid0(VALU_DEP_2) | instskip(NEXT) | instid1(VALU_DEP_2)
	v_cmp_eq_u32_e32 vcc_lo, 0, v24
	v_cmp_eq_u32_e64 s1, 0, v25
	v_dual_cndmask_b32 v18, v20, v18 :: v_dual_cndmask_b32 v3, v21, v19
	s_delay_alu instid0(VALU_DEP_2) | instskip(NEXT) | instid1(VALU_DEP_2)
	v_dual_cndmask_b32 v14, v16, v14, s1 :: v_dual_cndmask_b32 v7, v17, v15, s1
	v_bitop3_b32 v3, v3, v2, 0x80000000 bitop3:0x78
	s_delay_alu instid0(VALU_DEP_3)
	v_dual_fma_f64 v[12:13], v[10:11], -v[12:13], v[44:45] :: v_dual_cndmask_b32 v2, 0, v18, s0
	v_mov_b64_e32 v[44:45], 0x3fa5555555555555
	v_add_f64_e64 v[10:11], v[10:11], -v[48:49]
	v_bitop3_b32 v4, v7, v4, 0x80000000 bitop3:0x78
	v_cndmask_b32_e64 v3, 0x7ff80000, v3, s0
	s_mov_b32 s0, 0
	s_delay_alu instid0(VALU_DEP_4) | instskip(SKIP_3) | instid1(VALU_DEP_1)
	v_fmac_f64_e32 v[44:45], v[46:47], v[64:65]
	v_mul_f64_e32 v[46:47], v[46:47], v[46:47]
	v_fmac_f64_e32 v[12:13], v[42:43], v[32:33]
	v_and_b32_e32 v32, 1, v28
	v_cmp_eq_u32_e64 s5, 0, v32
	s_delay_alu instid0(VALU_DEP_3) | instskip(NEXT) | instid1(VALU_DEP_1)
	v_add_f64_e32 v[12:13], v[56:57], v[12:13]
	v_cndmask_b32_e64 v8, v13, v11, s3
	v_fmac_f64_e32 v[50:51], v[46:47], v[44:45]
	s_delay_alu instid0(VALU_DEP_3) | instskip(NEXT) | instid1(VALU_DEP_3)
	v_cndmask_b32_e64 v10, v12, v10, s3
	v_bitop3_b32 v1, v8, v1, 0x80000000 bitop3:0x78
	v_cndmask_b32_e64 v8, 0, v14, s2
	s_delay_alu instid0(VALU_DEP_3) | instskip(NEXT) | instid1(VALU_DEP_3)
	v_cndmask_b32_e64 v6, 0, v10, s4
	v_cndmask_b32_e64 v7, 0x7ff80000, v1, s4
	v_add_f64_e32 v[30:31], v[62:63], v[50:51]
	s_delay_alu instid0(VALU_DEP_1) | instskip(NEXT) | instid1(VALU_DEP_1)
	v_dual_cndmask_b32 v9, v31, v23, s5 :: v_dual_cndmask_b32 v12, v30, v22, s5
	v_bitop3_b32 v5, v9, v5, 0x80000000 bitop3:0x78
	v_cndmask_b32_e64 v9, 0x7ff80000, v4, s2
	s_delay_alu instid0(VALU_DEP_3) | instskip(SKIP_1) | instid1(VALU_DEP_3)
	v_cndmask_b32_e64 v4, 0, v12, s6
	s_add_nc_u64 s[2:3], s[8:9], s[14:15]
	v_cndmask_b32_e64 v5, 0x7ff80000, v5, s6
	s_clause 0x1
	global_store_b128 v0, v[6:9], s[2:3] scale_offset
	global_store_b128 v0, v[2:5], s[2:3] offset:4096 scale_offset
.LBB3_18:
	s_and_b32 vcc_lo, exec_lo, s0
	s_cbranch_vccz .LBB3_51
; %bb.19:
	v_mov_b64_e32 v[14:15], 0
	v_mov_b64_e32 v[16:17], 0
	v_cmp_gt_i32_e32 vcc_lo, s7, v0
	s_wait_xcnt 0x0
	v_dual_mov_b32 v4, v0 :: v_dual_bitop2_b32 v1, s12, v0 bitop3:0x54
	v_or_b32_e32 v18, 0x100, v0
	s_and_saveexec_b32 s0, vcc_lo
	s_cbranch_execz .LBB3_21
; %bb.20:
	global_load_b64 v[16:17], v1, s[10:11] scale_offset
	v_or_b32_e32 v4, 0x100, v0
.LBB3_21:
	s_wait_xcnt 0x0
	s_or_b32 exec_lo, exec_lo, s0
	s_delay_alu instid0(SALU_CYCLE_1) | instskip(NEXT) | instid1(VALU_DEP_1)
	s_mov_b32 s1, exec_lo
	v_cmpx_gt_i32_e64 s7, v4
	s_cbranch_execz .LBB3_23
; %bb.22:
	v_add_nc_u32_e32 v2, s12, v4
	v_add_nc_u32_e32 v4, 0x100, v4
	global_load_b64 v[14:15], v2, s[10:11] scale_offset
.LBB3_23:
	s_wait_xcnt 0x0
	s_or_b32 exec_lo, exec_lo, s1
	v_mov_b64_e32 v[2:3], 0
	v_mov_b64_e32 v[6:7], 0
	s_mov_b32 s1, exec_lo
	v_cmpx_gt_i32_e64 s7, v4
	s_cbranch_execz .LBB3_25
; %bb.24:
	v_add_nc_u32_e32 v5, s12, v4
	v_add_nc_u32_e32 v4, 0x100, v4
	global_load_b64 v[6:7], v5, s[10:11] scale_offset
.LBB3_25:
	s_wait_xcnt 0x0
	s_or_b32 exec_lo, exec_lo, s1
	s_delay_alu instid0(SALU_CYCLE_1)
	s_mov_b32 s1, exec_lo
	v_cmpx_gt_i32_e64 s7, v4
	s_cbranch_execz .LBB3_27
; %bb.26:
	v_add_nc_u32_e32 v2, s12, v4
	global_load_b64 v[2:3], v2, s[10:11] scale_offset
.LBB3_27:
	s_wait_xcnt 0x0
	s_or_b32 exec_lo, exec_lo, s1
	v_mov_b32_e32 v4, 0
	s_delay_alu instid0(VALU_DEP_1)
	v_dual_mov_b32 v5, v4 :: v_dual_mov_b32 v12, v4
	v_dual_mov_b32 v13, v4 :: v_dual_mov_b32 v10, v4
	;; [unrolled: 1-line block ×3, first 2 shown]
	v_mov_b32_e32 v9, v4
	s_and_saveexec_b32 s2, vcc_lo
	s_cbranch_execz .LBB3_33
; %bb.28:
	s_mov_b32 s1, exec_lo
                                        ; implicit-def: $vgpr10
                                        ; implicit-def: $vgpr4_vgpr5
                                        ; implicit-def: $vgpr8_vgpr9
	s_wait_loadcnt 0x0
	v_cmpx_ngt_f64_e64 0x41d00000, |v[16:17]|
	s_xor_b32 s1, exec_lo, s1
	s_cbranch_execz .LBB3_30
; %bb.29:
	v_ldexp_f64 v[4:5], |v[16:17]|, 0xffffff80
	v_cmp_le_f64_e64 s0, 0x7b000000, |v[16:17]|
	v_trig_preop_f64 v[8:9], |v[16:17]|, 0
	v_and_b32_e32 v10, 0x7fffffff, v17
	v_trig_preop_f64 v[26:27], |v[16:17]|, 2
	s_mov_b64 s[4:5], 0x3ff921fb54442d18
	s_delay_alu instid0(VALU_DEP_2) | instskip(SKIP_2) | instid1(VALU_DEP_2)
	v_dual_mov_b32 v34, 0 :: v_dual_cndmask_b32 v5, v10, v5, s0
	v_cndmask_b32_e64 v4, v16, v4, s0
	v_trig_preop_f64 v[10:11], |v[16:17]|, 1
	v_mul_f64_e32 v[12:13], v[8:9], v[4:5]
	v_mul_f64_e32 v[32:33], v[26:27], v[4:5]
	s_delay_alu instid0(VALU_DEP_3) | instskip(NEXT) | instid1(VALU_DEP_3)
	v_mul_f64_e32 v[20:21], v[10:11], v[4:5]
	v_fma_f64 v[8:9], v[8:9], v[4:5], -v[12:13]
	s_delay_alu instid0(VALU_DEP_2) | instskip(NEXT) | instid1(VALU_DEP_4)
	v_fma_f64 v[10:11], v[10:11], v[4:5], -v[20:21]
	v_fma_f64 v[4:5], v[26:27], v[4:5], -v[32:33]
	s_delay_alu instid0(VALU_DEP_3) | instskip(NEXT) | instid1(VALU_DEP_1)
	v_add_f64_e32 v[22:23], v[20:21], v[8:9]
	v_add_f64_e64 v[24:25], v[22:23], -v[20:21]
	v_add_f64_e32 v[30:31], v[12:13], v[22:23]
	s_delay_alu instid0(VALU_DEP_2) | instskip(SKIP_1) | instid1(VALU_DEP_3)
	v_add_f64_e64 v[28:29], v[22:23], -v[24:25]
	v_add_f64_e64 v[8:9], v[8:9], -v[24:25]
	v_ldexp_f64 v[24:25], v[30:31], -2
	s_delay_alu instid0(VALU_DEP_3) | instskip(NEXT) | instid1(VALU_DEP_2)
	v_add_f64_e64 v[20:21], v[20:21], -v[28:29]
	v_cmp_neq_f64_e64 s0, 0x7ff00000, |v[24:25]|
	s_delay_alu instid0(VALU_DEP_2) | instskip(SKIP_1) | instid1(VALU_DEP_1)
	v_add_f64_e32 v[8:9], v[8:9], v[20:21]
	v_fract_f64_e32 v[20:21], v[24:25]
	v_ldexp_f64 v[20:21], v[20:21], 2
	s_delay_alu instid0(VALU_DEP_1) | instskip(NEXT) | instid1(VALU_DEP_2)
	v_dual_add_f64 v[28:29], v[32:33], v[10:11] :: v_dual_cndmask_b32 v20, 0, v20, s0
	v_cndmask_b32_e64 v21, 0, v21, s0
	v_add_f64_e64 v[12:13], v[30:31], -v[12:13]
	s_delay_alu instid0(VALU_DEP_1) | instskip(NEXT) | instid1(VALU_DEP_4)
	v_add_f64_e64 v[12:13], v[22:23], -v[12:13]
	v_add_f64_e32 v[22:23], v[28:29], v[8:9]
	s_delay_alu instid0(VALU_DEP_1) | instskip(SKIP_1) | instid1(VALU_DEP_2)
	v_add_f64_e32 v[24:25], v[12:13], v[22:23]
	v_add_f64_e64 v[36:37], v[22:23], -v[28:29]
	v_add_f64_e32 v[30:31], v[24:25], v[20:21]
	s_delay_alu instid0(VALU_DEP_2) | instskip(SKIP_2) | instid1(VALU_DEP_4)
	v_add_f64_e64 v[42:43], v[22:23], -v[36:37]
	v_add_f64_e64 v[8:9], v[8:9], -v[36:37]
	;; [unrolled: 1-line block ×3, first 2 shown]
	v_cmp_gt_f64_e64 s0, 0, v[30:31]
	v_add_f64_e64 v[30:31], v[28:29], -v[32:33]
	s_delay_alu instid0(VALU_DEP_2) | instskip(NEXT) | instid1(VALU_DEP_2)
	v_cndmask_b32_e64 v35, 0, 0x40100000, s0
	v_add_f64_e64 v[40:41], v[28:29], -v[30:31]
	v_add_f64_e64 v[10:11], v[10:11], -v[30:31]
	;; [unrolled: 1-line block ×3, first 2 shown]
	s_delay_alu instid0(VALU_DEP_4) | instskip(NEXT) | instid1(VALU_DEP_4)
	v_add_f64_e32 v[20:21], v[20:21], v[34:35]
	v_add_f64_e64 v[30:31], v[32:33], -v[40:41]
	s_delay_alu instid0(VALU_DEP_3) | instskip(NEXT) | instid1(VALU_DEP_3)
	v_add_f64_e32 v[8:9], v[8:9], v[28:29]
	v_add_f64_e32 v[38:39], v[24:25], v[20:21]
	s_delay_alu instid0(VALU_DEP_3) | instskip(NEXT) | instid1(VALU_DEP_2)
	v_add_f64_e32 v[10:11], v[10:11], v[30:31]
	v_cvt_i32_f64_e32 v19, v[38:39]
	s_delay_alu instid0(VALU_DEP_2) | instskip(SKIP_1) | instid1(VALU_DEP_3)
	v_add_f64_e32 v[8:9], v[10:11], v[8:9]
	v_add_f64_e64 v[10:11], v[22:23], -v[12:13]
	v_cvt_f64_i32_e32 v[36:37], v19
	s_delay_alu instid0(VALU_DEP_3) | instskip(NEXT) | instid1(VALU_DEP_2)
	v_add_f64_e32 v[4:5], v[4:5], v[8:9]
	v_add_f64_e64 v[20:21], v[20:21], -v[36:37]
	s_delay_alu instid0(VALU_DEP_2) | instskip(NEXT) | instid1(VALU_DEP_2)
	v_add_f64_e32 v[4:5], v[10:11], v[4:5]
	v_add_f64_e32 v[26:27], v[24:25], v[20:21]
	s_delay_alu instid0(VALU_DEP_1) | instskip(SKIP_1) | instid1(VALU_DEP_2)
	v_add_f64_e64 v[8:9], v[26:27], -v[20:21]
	v_cmp_le_f64_e64 s0, 0.5, v[26:27]
	v_add_f64_e64 v[8:9], v[24:25], -v[8:9]
	s_delay_alu instid0(VALU_DEP_2) | instskip(SKIP_1) | instid1(VALU_DEP_3)
	v_cndmask_b32_e64 v35, 0, 0x3ff00000, s0
	v_add_co_ci_u32_e64 v10, null, 0, v19, s0
	v_add_f64_e32 v[4:5], v[4:5], v[8:9]
	s_delay_alu instid0(VALU_DEP_3) | instskip(NEXT) | instid1(VALU_DEP_1)
	v_add_f64_e64 v[8:9], v[26:27], -v[34:35]
	v_add_f64_e32 v[12:13], v[8:9], v[4:5]
	s_delay_alu instid0(VALU_DEP_1) | instskip(SKIP_1) | instid1(VALU_DEP_2)
	v_mul_f64_e32 v[20:21], 0x3ff921fb54442d18, v[12:13]
	v_add_f64_e64 v[8:9], v[12:13], -v[8:9]
	v_fma_f64 v[22:23], v[12:13], s[4:5], -v[20:21]
	s_delay_alu instid0(VALU_DEP_2) | instskip(NEXT) | instid1(VALU_DEP_2)
	v_add_f64_e64 v[4:5], v[4:5], -v[8:9]
	v_fmamk_f64 v[8:9], v[12:13], 0x3c91a62633145c07, v[22:23]
	s_delay_alu instid0(VALU_DEP_1) | instskip(NEXT) | instid1(VALU_DEP_1)
	v_fmac_f64_e32 v[8:9], 0x3ff921fb54442d18, v[4:5]
	v_add_f64_e32 v[4:5], v[20:21], v[8:9]
	s_delay_alu instid0(VALU_DEP_1) | instskip(NEXT) | instid1(VALU_DEP_1)
	v_add_f64_e64 v[12:13], v[4:5], -v[20:21]
	v_add_f64_e64 v[8:9], v[8:9], -v[12:13]
.LBB3_30:
	s_and_not1_saveexec_b32 s0, s1
	s_cbranch_execz .LBB3_32
; %bb.31:
	s_mov_b64 s[4:5], 0x3fe45f306dc9c883
	s_delay_alu instid0(SALU_CYCLE_1) | instskip(SKIP_1) | instid1(VALU_DEP_1)
	v_mul_f64_e64 v[4:5], |v[16:17]|, s[4:5]
	s_mov_b64 s[4:5], 0xbff921fb54442d18
	v_rndne_f64_e32 v[10:11], v[4:5]
	s_delay_alu instid0(VALU_DEP_1) | instskip(SKIP_1) | instid1(VALU_DEP_2)
	v_fma_f64 v[4:5], v[10:11], s[4:5], |v[16:17]|
	v_mul_f64_e32 v[8:9], 0xbc91a62633145c00, v[10:11]
	v_fmamk_f64 v[22:23], v[10:11], 0xbc91a62633145c00, v[4:5]
	s_delay_alu instid0(VALU_DEP_2) | instskip(NEXT) | instid1(VALU_DEP_1)
	v_add_f64_e32 v[12:13], v[4:5], v[8:9]
	v_add_f64_e64 v[20:21], v[4:5], -v[12:13]
	s_delay_alu instid0(VALU_DEP_3) | instskip(NEXT) | instid1(VALU_DEP_2)
	v_add_f64_e64 v[4:5], v[12:13], -v[22:23]
	v_add_f64_e32 v[12:13], v[20:21], v[8:9]
	v_fmamk_f64 v[8:9], v[10:11], 0x3c91a62633145c00, v[8:9]
	s_delay_alu instid0(VALU_DEP_2) | instskip(NEXT) | instid1(VALU_DEP_1)
	v_add_f64_e32 v[4:5], v[4:5], v[12:13]
	v_add_f64_e64 v[4:5], v[4:5], -v[8:9]
	s_delay_alu instid0(VALU_DEP_1) | instskip(SKIP_1) | instid1(VALU_DEP_2)
	v_fmamk_f64 v[8:9], v[10:11], 0xb97b839a252049c0, v[4:5]
	v_cvt_i32_f64_e32 v10, v[10:11]
	v_add_f64_e32 v[4:5], v[22:23], v[8:9]
	s_delay_alu instid0(VALU_DEP_1) | instskip(NEXT) | instid1(VALU_DEP_1)
	v_add_f64_e64 v[12:13], v[4:5], -v[22:23]
	v_add_f64_e64 v[8:9], v[8:9], -v[12:13]
.LBB3_32:
	s_or_b32 exec_lo, exec_lo, s0
	s_delay_alu instid0(VALU_DEP_4) | instskip(NEXT) | instid1(VALU_DEP_2)
	v_dual_mul_f64 v[12:13], v[4:5], v[4:5] :: v_dual_bitop2_b32 v11, 1, v10 bitop3:0x40
	v_mul_f64_e32 v[26:27], 0.5, v[8:9]
	s_mov_b64 s[0:1], 0x3de5e0b2f9a43bb8
	s_delay_alu instid0(VALU_DEP_2) | instskip(SKIP_3) | instid1(VALU_DEP_3)
	v_mul_f64_e32 v[20:21], 0.5, v[12:13]
	v_mul_f64_e64 v[28:29], v[4:5], -v[12:13]
	v_fmaak_f64 v[30:31], s[0:1], v[12:13], 0xbe5ae600b42fdfa7
	s_mov_b64 s[0:1], 0xbda907db46cc5e42
	v_add_f64_e64 v[22:23], -v[20:21], 1.0
	s_delay_alu instid0(VALU_DEP_1) | instskip(NEXT) | instid1(VALU_DEP_1)
	v_add_f64_e64 v[24:25], -v[22:23], 1.0
	v_add_f64_e64 v[20:21], v[24:25], -v[20:21]
	s_delay_alu instid0(VALU_DEP_4) | instskip(SKIP_1) | instid1(VALU_DEP_2)
	v_fmaak_f64 v[24:25], v[12:13], v[30:31], 0x3ec71de3796cde01
	v_mul_f64_e32 v[30:31], v[12:13], v[12:13]
	v_fmaak_f64 v[24:25], v[12:13], v[24:25], 0xbf2a01a019e83e5c
	s_delay_alu instid0(VALU_DEP_1) | instskip(NEXT) | instid1(VALU_DEP_1)
	v_fmaak_f64 v[24:25], v[12:13], v[24:25], 0x3f81111111110bb3
	v_fmac_f64_e32 v[26:27], v[28:29], v[24:25]
	v_fmaak_f64 v[24:25], s[0:1], v[12:13], 0x3e21eeb69037ab78
	v_cmp_class_f64_e64 s1, v[16:17], 0x1f8
	v_cmp_eq_u32_e64 s0, 0, v11
	s_delay_alu instid0(VALU_DEP_3) | instskip(SKIP_1) | instid1(VALU_DEP_2)
	v_fmaak_f64 v[24:25], v[12:13], v[24:25], 0xbe927e4fa17f65f6
	v_fma_f64 v[20:21], v[4:5], -v[8:9], v[20:21]
	v_fmaak_f64 v[24:25], v[12:13], v[24:25], 0x3efa01a019f4ec90
	s_delay_alu instid0(VALU_DEP_1) | instskip(SKIP_1) | instid1(VALU_DEP_2)
	v_fmaak_f64 v[24:25], v[12:13], v[24:25], 0xbf56c16c16c16967
	v_fma_f64 v[8:9], v[12:13], v[26:27], -v[8:9]
	v_fmaak_f64 v[12:13], v[12:13], v[24:25], 0x3fa5555555555555
	s_delay_alu instid0(VALU_DEP_1) | instskip(SKIP_1) | instid1(VALU_DEP_1)
	v_fmac_f64_e32 v[20:21], v[30:31], v[12:13]
	v_mov_b32_e32 v12, 0
	v_dual_mov_b32 v11, v12 :: v_dual_mov_b32 v13, v12
	v_fmamk_f64 v[8:9], v[28:29], 0xbfc5555555555555, v[8:9]
	s_delay_alu instid0(VALU_DEP_1) | instskip(SKIP_1) | instid1(VALU_DEP_1)
	v_add_f64_e64 v[4:5], v[4:5], -v[8:9]
	v_add_f64_e32 v[8:9], v[22:23], v[20:21]
	v_dual_cndmask_b32 v4, v8, v4, s0 :: v_dual_lshlrev_b32 v8, 30, v10
	s_delay_alu instid0(VALU_DEP_2) | instskip(SKIP_1) | instid1(VALU_DEP_3)
	v_dual_cndmask_b32 v5, v9, v5, s0 :: v_dual_mov_b32 v10, v12
	v_mov_b32_e32 v9, v12
	v_dual_cndmask_b32 v4, 0, v4, s1 :: v_dual_bitop2_b32 v8, v8, v17 bitop3:0x14
	s_delay_alu instid0(VALU_DEP_1) | instskip(SKIP_1) | instid1(VALU_DEP_2)
	v_bitop3_b32 v5, v5, v8, 0x80000000 bitop3:0x78
	v_mov_b32_e32 v8, v12
	v_cndmask_b32_e64 v5, 0x7ff80000, v5, s1
.LBB3_33:
	s_or_b32 exec_lo, exec_lo, s2
	s_delay_alu instid0(SALU_CYCLE_1)
	s_mov_b32 s1, exec_lo
	v_cmpx_gt_i32_e64 s7, v18
	s_cbranch_execz .LBB3_39
; %bb.34:
	s_mov_b32 s2, exec_lo
                                        ; implicit-def: $vgpr19
                                        ; implicit-def: $vgpr12_vgpr13
                                        ; implicit-def: $vgpr16_vgpr17
	s_wait_loadcnt 0x0
	v_cmpx_ngt_f64_e64 0x41d00000, |v[14:15]|
	s_xor_b32 s2, exec_lo, s2
	s_cbranch_execz .LBB3_36
; %bb.35:
	v_ldexp_f64 v[12:13], |v[14:15]|, 0xffffff80
	v_cmp_le_f64_e64 s0, 0x7b000000, |v[14:15]|
	v_trig_preop_f64 v[16:17], |v[14:15]|, 0
	v_and_b32_e32 v19, 0x7fffffff, v15
	v_trig_preop_f64 v[20:21], |v[14:15]|, 1
	v_trig_preop_f64 v[30:31], |v[14:15]|, 2
	s_mov_b64 s[4:5], 0x3ff921fb54442d18
	s_delay_alu instid0(VALU_DEP_3) | instskip(SKIP_1) | instid1(VALU_DEP_1)
	v_dual_mov_b32 v38, 0 :: v_dual_cndmask_b32 v13, v19, v13, s0
	v_cndmask_b32_e64 v12, v14, v12, s0
	v_mul_f64_e32 v[22:23], v[16:17], v[12:13]
	v_mul_f64_e32 v[24:25], v[20:21], v[12:13]
	;; [unrolled: 1-line block ×3, first 2 shown]
	s_delay_alu instid0(VALU_DEP_3) | instskip(NEXT) | instid1(VALU_DEP_3)
	v_fma_f64 v[16:17], v[16:17], v[12:13], -v[22:23]
	v_fma_f64 v[20:21], v[20:21], v[12:13], -v[24:25]
	s_delay_alu instid0(VALU_DEP_3) | instskip(NEXT) | instid1(VALU_DEP_3)
	v_fma_f64 v[12:13], v[30:31], v[12:13], -v[36:37]
	v_add_f64_e32 v[26:27], v[24:25], v[16:17]
	s_delay_alu instid0(VALU_DEP_1) | instskip(SKIP_1) | instid1(VALU_DEP_2)
	v_add_f64_e64 v[28:29], v[26:27], -v[24:25]
	v_add_f64_e32 v[34:35], v[22:23], v[26:27]
	v_add_f64_e64 v[32:33], v[26:27], -v[28:29]
	v_add_f64_e64 v[16:17], v[16:17], -v[28:29]
	s_delay_alu instid0(VALU_DEP_3) | instskip(NEXT) | instid1(VALU_DEP_3)
	v_ldexp_f64 v[28:29], v[34:35], -2
	v_add_f64_e64 v[24:25], v[24:25], -v[32:33]
	v_add_f64_e32 v[32:33], v[36:37], v[20:21]
	s_delay_alu instid0(VALU_DEP_3) | instskip(NEXT) | instid1(VALU_DEP_3)
	v_cmp_neq_f64_e64 s0, 0x7ff00000, |v[28:29]|
	v_add_f64_e32 v[16:17], v[16:17], v[24:25]
	v_fract_f64_e32 v[24:25], v[28:29]
	s_delay_alu instid0(VALU_DEP_1) | instskip(NEXT) | instid1(VALU_DEP_1)
	v_ldexp_f64 v[24:25], v[24:25], 2
	v_dual_add_f64 v[22:23], v[34:35], -v[22:23] :: v_dual_cndmask_b32 v25, 0, v25, s0
	s_delay_alu instid0(VALU_DEP_1) | instskip(SKIP_1) | instid1(VALU_DEP_1)
	v_dual_add_f64 v[22:23], v[26:27], -v[22:23] :: v_dual_cndmask_b32 v24, 0, v24, s0
	v_add_f64_e32 v[26:27], v[32:33], v[16:17]
	v_add_f64_e32 v[28:29], v[22:23], v[26:27]
	v_add_f64_e64 v[40:41], v[26:27], -v[32:33]
	s_delay_alu instid0(VALU_DEP_2) | instskip(NEXT) | instid1(VALU_DEP_2)
	v_add_f64_e32 v[34:35], v[28:29], v[24:25]
	v_add_f64_e64 v[46:47], v[26:27], -v[40:41]
	v_add_f64_e64 v[16:17], v[16:17], -v[40:41]
	v_add_f64_e64 v[22:23], v[28:29], -v[22:23]
	s_delay_alu instid0(VALU_DEP_4) | instskip(SKIP_1) | instid1(VALU_DEP_3)
	v_cmp_gt_f64_e64 s0, 0, v[34:35]
	v_add_f64_e64 v[34:35], v[32:33], -v[36:37]
	v_add_f64_e64 v[22:23], v[26:27], -v[22:23]
	s_delay_alu instid0(VALU_DEP_3) | instskip(NEXT) | instid1(VALU_DEP_3)
	v_cndmask_b32_e64 v39, 0, 0x40100000, s0
	v_add_f64_e64 v[44:45], v[32:33], -v[34:35]
	v_add_f64_e64 v[20:21], v[20:21], -v[34:35]
	;; [unrolled: 1-line block ×3, first 2 shown]
	s_delay_alu instid0(VALU_DEP_4) | instskip(NEXT) | instid1(VALU_DEP_4)
	v_add_f64_e32 v[24:25], v[24:25], v[38:39]
	v_add_f64_e64 v[34:35], v[36:37], -v[44:45]
	s_delay_alu instid0(VALU_DEP_3) | instskip(NEXT) | instid1(VALU_DEP_3)
	v_add_f64_e32 v[16:17], v[16:17], v[32:33]
	v_add_f64_e32 v[42:43], v[28:29], v[24:25]
	s_delay_alu instid0(VALU_DEP_3) | instskip(NEXT) | instid1(VALU_DEP_2)
	v_add_f64_e32 v[20:21], v[20:21], v[34:35]
	v_cvt_i32_f64_e32 v19, v[42:43]
	s_delay_alu instid0(VALU_DEP_2) | instskip(NEXT) | instid1(VALU_DEP_2)
	v_add_f64_e32 v[16:17], v[20:21], v[16:17]
	v_cvt_f64_i32_e32 v[40:41], v19
	s_delay_alu instid0(VALU_DEP_2) | instskip(NEXT) | instid1(VALU_DEP_2)
	v_add_f64_e32 v[12:13], v[12:13], v[16:17]
	v_add_f64_e64 v[24:25], v[24:25], -v[40:41]
	s_delay_alu instid0(VALU_DEP_2) | instskip(NEXT) | instid1(VALU_DEP_2)
	v_add_f64_e32 v[12:13], v[22:23], v[12:13]
	v_add_f64_e32 v[20:21], v[28:29], v[24:25]
	s_delay_alu instid0(VALU_DEP_1) | instskip(SKIP_1) | instid1(VALU_DEP_2)
	v_add_f64_e64 v[16:17], v[20:21], -v[24:25]
	v_cmp_le_f64_e64 s0, 0.5, v[20:21]
	v_add_f64_e64 v[16:17], v[28:29], -v[16:17]
	s_delay_alu instid0(VALU_DEP_2) | instskip(SKIP_1) | instid1(VALU_DEP_3)
	v_cndmask_b32_e64 v39, 0, 0x3ff00000, s0
	v_add_co_ci_u32_e64 v19, null, 0, v19, s0
	v_add_f64_e32 v[12:13], v[12:13], v[16:17]
	s_delay_alu instid0(VALU_DEP_3) | instskip(NEXT) | instid1(VALU_DEP_1)
	v_add_f64_e64 v[16:17], v[20:21], -v[38:39]
	v_add_f64_e32 v[20:21], v[16:17], v[12:13]
	s_delay_alu instid0(VALU_DEP_1) | instskip(SKIP_1) | instid1(VALU_DEP_2)
	v_mul_f64_e32 v[22:23], 0x3ff921fb54442d18, v[20:21]
	v_add_f64_e64 v[16:17], v[20:21], -v[16:17]
	v_fma_f64 v[24:25], v[20:21], s[4:5], -v[22:23]
	s_delay_alu instid0(VALU_DEP_2) | instskip(NEXT) | instid1(VALU_DEP_2)
	v_add_f64_e64 v[12:13], v[12:13], -v[16:17]
	v_fmamk_f64 v[16:17], v[20:21], 0x3c91a62633145c07, v[24:25]
	s_delay_alu instid0(VALU_DEP_1) | instskip(NEXT) | instid1(VALU_DEP_1)
	v_fmac_f64_e32 v[16:17], 0x3ff921fb54442d18, v[12:13]
	v_add_f64_e32 v[12:13], v[22:23], v[16:17]
	s_delay_alu instid0(VALU_DEP_1) | instskip(NEXT) | instid1(VALU_DEP_1)
	v_add_f64_e64 v[20:21], v[12:13], -v[22:23]
	v_add_f64_e64 v[16:17], v[16:17], -v[20:21]
.LBB3_36:
	s_and_not1_saveexec_b32 s0, s2
	s_cbranch_execz .LBB3_38
; %bb.37:
	s_mov_b64 s[2:3], 0x3fe45f306dc9c883
	s_delay_alu instid0(SALU_CYCLE_1) | instskip(SKIP_1) | instid1(VALU_DEP_1)
	v_mul_f64_e64 v[12:13], |v[14:15]|, s[2:3]
	s_mov_b64 s[2:3], 0xbff921fb54442d18
	v_rndne_f64_e32 v[20:21], v[12:13]
	s_delay_alu instid0(VALU_DEP_1) | instskip(SKIP_2) | instid1(VALU_DEP_3)
	v_fma_f64 v[12:13], v[20:21], s[2:3], |v[14:15]|
	v_mul_f64_e32 v[16:17], 0xbc91a62633145c00, v[20:21]
	v_cvt_i32_f64_e32 v19, v[20:21]
	v_fmamk_f64 v[26:27], v[20:21], 0xbc91a62633145c00, v[12:13]
	s_delay_alu instid0(VALU_DEP_3) | instskip(NEXT) | instid1(VALU_DEP_1)
	v_add_f64_e32 v[22:23], v[12:13], v[16:17]
	v_add_f64_e64 v[24:25], v[12:13], -v[22:23]
	s_delay_alu instid0(VALU_DEP_3) | instskip(NEXT) | instid1(VALU_DEP_2)
	v_add_f64_e64 v[12:13], v[22:23], -v[26:27]
	v_add_f64_e32 v[22:23], v[24:25], v[16:17]
	v_fmamk_f64 v[16:17], v[20:21], 0x3c91a62633145c00, v[16:17]
	s_delay_alu instid0(VALU_DEP_2) | instskip(NEXT) | instid1(VALU_DEP_1)
	v_add_f64_e32 v[12:13], v[12:13], v[22:23]
	v_add_f64_e64 v[12:13], v[12:13], -v[16:17]
	s_delay_alu instid0(VALU_DEP_1) | instskip(NEXT) | instid1(VALU_DEP_1)
	v_fmamk_f64 v[16:17], v[20:21], 0xb97b839a252049c0, v[12:13]
	v_add_f64_e32 v[12:13], v[26:27], v[16:17]
	s_delay_alu instid0(VALU_DEP_1) | instskip(NEXT) | instid1(VALU_DEP_1)
	v_add_f64_e64 v[22:23], v[12:13], -v[26:27]
	v_add_f64_e64 v[16:17], v[16:17], -v[22:23]
.LBB3_38:
	s_or_b32 exec_lo, exec_lo, s0
	v_mul_f64_e32 v[20:21], v[12:13], v[12:13]
	s_delay_alu instid0(VALU_DEP_2) | instskip(SKIP_1) | instid1(VALU_DEP_2)
	v_mul_f64_e32 v[28:29], 0.5, v[16:17]
	s_mov_b64 s[2:3], 0x3de5e0b2f9a43bb8
	v_mul_f64_e32 v[22:23], 0.5, v[20:21]
	v_mul_f64_e64 v[30:31], v[12:13], -v[20:21]
	v_fmaak_f64 v[32:33], s[2:3], v[20:21], 0xbe5ae600b42fdfa7
	s_mov_b64 s[2:3], 0xbda907db46cc5e42
	s_delay_alu instid0(VALU_DEP_3) | instskip(NEXT) | instid1(VALU_DEP_1)
	v_add_f64_e64 v[24:25], -v[22:23], 1.0
	v_add_f64_e64 v[26:27], -v[24:25], 1.0
	s_delay_alu instid0(VALU_DEP_1) | instskip(NEXT) | instid1(VALU_DEP_4)
	v_add_f64_e64 v[22:23], v[26:27], -v[22:23]
	v_fmaak_f64 v[26:27], v[20:21], v[32:33], 0x3ec71de3796cde01
	v_mul_f64_e32 v[32:33], v[20:21], v[20:21]
	s_delay_alu instid0(VALU_DEP_2) | instskip(NEXT) | instid1(VALU_DEP_1)
	v_fmaak_f64 v[26:27], v[20:21], v[26:27], 0xbf2a01a019e83e5c
	v_fmaak_f64 v[26:27], v[20:21], v[26:27], 0x3f81111111110bb3
	s_delay_alu instid0(VALU_DEP_1) | instskip(SKIP_1) | instid1(VALU_DEP_1)
	v_fmac_f64_e32 v[28:29], v[30:31], v[26:27]
	v_fmaak_f64 v[26:27], s[2:3], v[20:21], 0x3e21eeb69037ab78
	v_fmaak_f64 v[26:27], v[20:21], v[26:27], 0xbe927e4fa17f65f6
	v_fma_f64 v[22:23], v[12:13], -v[16:17], v[22:23]
	s_delay_alu instid0(VALU_DEP_2) | instskip(NEXT) | instid1(VALU_DEP_1)
	v_fmaak_f64 v[26:27], v[20:21], v[26:27], 0x3efa01a019f4ec90
	v_fmaak_f64 v[26:27], v[20:21], v[26:27], 0xbf56c16c16c16967
	v_fma_f64 v[16:17], v[20:21], v[28:29], -v[16:17]
	s_delay_alu instid0(VALU_DEP_2) | instskip(NEXT) | instid1(VALU_DEP_1)
	v_fmaak_f64 v[20:21], v[20:21], v[26:27], 0x3fa5555555555555
	v_fmac_f64_e32 v[22:23], v[32:33], v[20:21]
	v_dual_lshlrev_b32 v19, 30, v19 :: v_dual_bitop2_b32 v20, 1, v19 bitop3:0x40
	s_delay_alu instid0(VALU_DEP_1) | instskip(NEXT) | instid1(VALU_DEP_2)
	v_cmp_eq_u32_e64 s0, 0, v20
	v_xor_b32_e32 v19, v19, v15
	v_fmamk_f64 v[16:17], v[30:31], 0xbfc5555555555555, v[16:17]
	s_delay_alu instid0(VALU_DEP_1) | instskip(SKIP_1) | instid1(VALU_DEP_1)
	v_add_f64_e64 v[12:13], v[12:13], -v[16:17]
	v_add_f64_e32 v[16:17], v[24:25], v[22:23]
	v_dual_cndmask_b32 v12, v16, v12, s0 :: v_dual_cndmask_b32 v13, v17, v13, s0
	v_cmp_class_f64_e64 s0, v[14:15], 0x1f8
	s_delay_alu instid0(VALU_DEP_2) | instskip(NEXT) | instid1(VALU_DEP_1)
	v_bitop3_b32 v13, v13, v19, 0x80000000 bitop3:0x78
	v_cndmask_b32_e64 v13, 0x7ff80000, v13, s0
	s_delay_alu instid0(VALU_DEP_4)
	v_cndmask_b32_e64 v12, 0, v12, s0
.LBB3_39:
	s_or_b32 exec_lo, exec_lo, s1
	s_wait_loadcnt 0x0
	v_or_b32_e32 v14, 0x200, v0
	s_mov_b32 s1, exec_lo
	s_delay_alu instid0(VALU_DEP_1)
	v_cmpx_gt_i32_e64 s7, v14
	s_cbranch_execz .LBB3_45
; %bb.40:
	s_mov_b32 s2, exec_lo
                                        ; implicit-def: $vgpr16
                                        ; implicit-def: $vgpr10_vgpr11
                                        ; implicit-def: $vgpr14_vgpr15
	v_cmpx_ngt_f64_e64 0x41d00000, |v[6:7]|
	s_xor_b32 s2, exec_lo, s2
	s_cbranch_execz .LBB3_42
; %bb.41:
	v_ldexp_f64 v[10:11], |v[6:7]|, 0xffffff80
	v_cmp_le_f64_e64 s0, 0x7b000000, |v[6:7]|
	v_trig_preop_f64 v[14:15], |v[6:7]|, 0
	v_and_b32_e32 v16, 0x7fffffff, v7
	v_trig_preop_f64 v[28:29], |v[6:7]|, 2
	s_mov_b64 s[4:5], 0x3ff921fb54442d18
	s_delay_alu instid0(VALU_DEP_2) | instskip(SKIP_2) | instid1(VALU_DEP_2)
	v_dual_mov_b32 v36, 0 :: v_dual_cndmask_b32 v11, v16, v11, s0
	v_cndmask_b32_e64 v10, v6, v10, s0
	v_trig_preop_f64 v[16:17], |v[6:7]|, 1
	v_mul_f64_e32 v[20:21], v[14:15], v[10:11]
	v_mul_f64_e32 v[34:35], v[28:29], v[10:11]
	s_delay_alu instid0(VALU_DEP_3) | instskip(NEXT) | instid1(VALU_DEP_3)
	v_mul_f64_e32 v[22:23], v[16:17], v[10:11]
	v_fma_f64 v[14:15], v[14:15], v[10:11], -v[20:21]
	s_delay_alu instid0(VALU_DEP_2) | instskip(NEXT) | instid1(VALU_DEP_4)
	v_fma_f64 v[16:17], v[16:17], v[10:11], -v[22:23]
	v_fma_f64 v[10:11], v[28:29], v[10:11], -v[34:35]
	s_delay_alu instid0(VALU_DEP_3) | instskip(NEXT) | instid1(VALU_DEP_1)
	v_add_f64_e32 v[24:25], v[22:23], v[14:15]
	v_add_f64_e64 v[26:27], v[24:25], -v[22:23]
	v_add_f64_e32 v[32:33], v[20:21], v[24:25]
	s_delay_alu instid0(VALU_DEP_2) | instskip(SKIP_1) | instid1(VALU_DEP_3)
	v_add_f64_e64 v[30:31], v[24:25], -v[26:27]
	v_add_f64_e64 v[14:15], v[14:15], -v[26:27]
	v_ldexp_f64 v[26:27], v[32:33], -2
	s_delay_alu instid0(VALU_DEP_3) | instskip(NEXT) | instid1(VALU_DEP_2)
	v_add_f64_e64 v[22:23], v[22:23], -v[30:31]
	v_cmp_neq_f64_e64 s0, 0x7ff00000, |v[26:27]|
	s_delay_alu instid0(VALU_DEP_2) | instskip(SKIP_1) | instid1(VALU_DEP_1)
	v_add_f64_e32 v[14:15], v[14:15], v[22:23]
	v_fract_f64_e32 v[22:23], v[26:27]
	v_ldexp_f64 v[22:23], v[22:23], 2
	s_delay_alu instid0(VALU_DEP_1) | instskip(NEXT) | instid1(VALU_DEP_2)
	v_dual_add_f64 v[30:31], v[34:35], v[16:17] :: v_dual_cndmask_b32 v22, 0, v22, s0
	v_dual_add_f64 v[20:21], v[32:33], -v[20:21] :: v_dual_cndmask_b32 v23, 0, v23, s0
	s_delay_alu instid0(VALU_DEP_1) | instskip(NEXT) | instid1(VALU_DEP_3)
	v_add_f64_e64 v[20:21], v[24:25], -v[20:21]
	v_add_f64_e32 v[24:25], v[30:31], v[14:15]
	s_delay_alu instid0(VALU_DEP_1) | instskip(SKIP_1) | instid1(VALU_DEP_2)
	v_add_f64_e32 v[26:27], v[20:21], v[24:25]
	v_add_f64_e64 v[38:39], v[24:25], -v[30:31]
	v_add_f64_e32 v[32:33], v[26:27], v[22:23]
	s_delay_alu instid0(VALU_DEP_2) | instskip(SKIP_2) | instid1(VALU_DEP_4)
	v_add_f64_e64 v[44:45], v[24:25], -v[38:39]
	v_add_f64_e64 v[14:15], v[14:15], -v[38:39]
	;; [unrolled: 1-line block ×3, first 2 shown]
	v_cmp_gt_f64_e64 s0, 0, v[32:33]
	v_add_f64_e64 v[32:33], v[30:31], -v[34:35]
	s_delay_alu instid0(VALU_DEP_2) | instskip(NEXT) | instid1(VALU_DEP_2)
	v_cndmask_b32_e64 v37, 0, 0x40100000, s0
	v_add_f64_e64 v[42:43], v[30:31], -v[32:33]
	v_add_f64_e64 v[16:17], v[16:17], -v[32:33]
	;; [unrolled: 1-line block ×3, first 2 shown]
	s_delay_alu instid0(VALU_DEP_4) | instskip(NEXT) | instid1(VALU_DEP_4)
	v_add_f64_e32 v[22:23], v[22:23], v[36:37]
	v_add_f64_e64 v[32:33], v[34:35], -v[42:43]
	s_delay_alu instid0(VALU_DEP_3) | instskip(NEXT) | instid1(VALU_DEP_3)
	v_add_f64_e32 v[14:15], v[14:15], v[30:31]
	v_add_f64_e32 v[40:41], v[26:27], v[22:23]
	s_delay_alu instid0(VALU_DEP_3) | instskip(NEXT) | instid1(VALU_DEP_2)
	v_add_f64_e32 v[16:17], v[16:17], v[32:33]
	v_cvt_i32_f64_e32 v19, v[40:41]
	s_delay_alu instid0(VALU_DEP_2) | instskip(SKIP_1) | instid1(VALU_DEP_3)
	v_add_f64_e32 v[14:15], v[16:17], v[14:15]
	v_add_f64_e64 v[16:17], v[24:25], -v[20:21]
	v_cvt_f64_i32_e32 v[38:39], v19
	s_delay_alu instid0(VALU_DEP_3) | instskip(NEXT) | instid1(VALU_DEP_2)
	v_add_f64_e32 v[10:11], v[10:11], v[14:15]
	v_add_f64_e64 v[22:23], v[22:23], -v[38:39]
	s_delay_alu instid0(VALU_DEP_2) | instskip(NEXT) | instid1(VALU_DEP_2)
	v_add_f64_e32 v[10:11], v[16:17], v[10:11]
	v_add_f64_e32 v[28:29], v[26:27], v[22:23]
	s_delay_alu instid0(VALU_DEP_1) | instskip(SKIP_1) | instid1(VALU_DEP_2)
	v_add_f64_e64 v[14:15], v[28:29], -v[22:23]
	v_cmp_le_f64_e64 s0, 0.5, v[28:29]
	v_add_f64_e64 v[14:15], v[26:27], -v[14:15]
	s_delay_alu instid0(VALU_DEP_2) | instskip(SKIP_1) | instid1(VALU_DEP_3)
	v_cndmask_b32_e64 v37, 0, 0x3ff00000, s0
	v_add_co_ci_u32_e64 v16, null, 0, v19, s0
	v_add_f64_e32 v[10:11], v[10:11], v[14:15]
	s_delay_alu instid0(VALU_DEP_3) | instskip(NEXT) | instid1(VALU_DEP_1)
	v_add_f64_e64 v[14:15], v[28:29], -v[36:37]
	v_add_f64_e32 v[20:21], v[14:15], v[10:11]
	s_delay_alu instid0(VALU_DEP_1) | instskip(SKIP_1) | instid1(VALU_DEP_2)
	v_mul_f64_e32 v[22:23], 0x3ff921fb54442d18, v[20:21]
	v_add_f64_e64 v[14:15], v[20:21], -v[14:15]
	v_fma_f64 v[24:25], v[20:21], s[4:5], -v[22:23]
	s_delay_alu instid0(VALU_DEP_2) | instskip(NEXT) | instid1(VALU_DEP_2)
	v_add_f64_e64 v[10:11], v[10:11], -v[14:15]
	v_fmamk_f64 v[14:15], v[20:21], 0x3c91a62633145c07, v[24:25]
	s_delay_alu instid0(VALU_DEP_1) | instskip(NEXT) | instid1(VALU_DEP_1)
	v_fmac_f64_e32 v[14:15], 0x3ff921fb54442d18, v[10:11]
	v_add_f64_e32 v[10:11], v[22:23], v[14:15]
	s_delay_alu instid0(VALU_DEP_1) | instskip(NEXT) | instid1(VALU_DEP_1)
	v_add_f64_e64 v[20:21], v[10:11], -v[22:23]
	v_add_f64_e64 v[14:15], v[14:15], -v[20:21]
.LBB3_42:
	s_and_not1_saveexec_b32 s0, s2
	s_cbranch_execz .LBB3_44
; %bb.43:
	s_mov_b64 s[2:3], 0x3fe45f306dc9c883
	s_delay_alu instid0(SALU_CYCLE_1) | instskip(SKIP_1) | instid1(VALU_DEP_1)
	v_mul_f64_e64 v[10:11], |v[6:7]|, s[2:3]
	s_mov_b64 s[2:3], 0xbff921fb54442d18
	v_rndne_f64_e32 v[16:17], v[10:11]
	s_delay_alu instid0(VALU_DEP_1) | instskip(SKIP_1) | instid1(VALU_DEP_2)
	v_fma_f64 v[10:11], v[16:17], s[2:3], |v[6:7]|
	v_mul_f64_e32 v[14:15], 0xbc91a62633145c00, v[16:17]
	v_fmamk_f64 v[24:25], v[16:17], 0xbc91a62633145c00, v[10:11]
	s_delay_alu instid0(VALU_DEP_2) | instskip(NEXT) | instid1(VALU_DEP_1)
	v_add_f64_e32 v[20:21], v[10:11], v[14:15]
	v_add_f64_e64 v[22:23], v[10:11], -v[20:21]
	s_delay_alu instid0(VALU_DEP_3) | instskip(NEXT) | instid1(VALU_DEP_2)
	v_add_f64_e64 v[10:11], v[20:21], -v[24:25]
	v_add_f64_e32 v[20:21], v[22:23], v[14:15]
	v_fmamk_f64 v[14:15], v[16:17], 0x3c91a62633145c00, v[14:15]
	s_delay_alu instid0(VALU_DEP_2) | instskip(NEXT) | instid1(VALU_DEP_1)
	v_add_f64_e32 v[10:11], v[10:11], v[20:21]
	v_add_f64_e64 v[10:11], v[10:11], -v[14:15]
	s_delay_alu instid0(VALU_DEP_1) | instskip(SKIP_1) | instid1(VALU_DEP_2)
	v_fmamk_f64 v[14:15], v[16:17], 0xb97b839a252049c0, v[10:11]
	v_cvt_i32_f64_e32 v16, v[16:17]
	v_add_f64_e32 v[10:11], v[24:25], v[14:15]
	s_delay_alu instid0(VALU_DEP_1) | instskip(NEXT) | instid1(VALU_DEP_1)
	v_add_f64_e64 v[20:21], v[10:11], -v[24:25]
	v_add_f64_e64 v[14:15], v[14:15], -v[20:21]
.LBB3_44:
	s_or_b32 exec_lo, exec_lo, s0
	s_delay_alu instid0(VALU_DEP_4) | instskip(NEXT) | instid1(VALU_DEP_2)
	v_dual_mul_f64 v[20:21], v[10:11], v[10:11] :: v_dual_bitop2_b32 v17, 1, v16 bitop3:0x40
	v_dual_mul_f64 v[28:29], 0.5, v[14:15] :: v_dual_lshlrev_b32 v16, 30, v16
	s_mov_b64 s[2:3], 0x3de5e0b2f9a43bb8
	s_delay_alu instid0(VALU_DEP_2) | instskip(NEXT) | instid1(VALU_DEP_2)
	v_cmp_eq_u32_e64 s0, 0, v17
	v_dual_mul_f64 v[22:23], 0.5, v[20:21] :: v_dual_bitop2_b32 v16, v16, v7 bitop3:0x14
	v_mul_f64_e64 v[30:31], v[10:11], -v[20:21]
	v_fmaak_f64 v[32:33], s[2:3], v[20:21], 0xbe5ae600b42fdfa7
	s_mov_b64 s[2:3], 0xbda907db46cc5e42
	s_delay_alu instid0(VALU_DEP_3) | instskip(NEXT) | instid1(VALU_DEP_1)
	v_add_f64_e64 v[24:25], -v[22:23], 1.0
	v_add_f64_e64 v[26:27], -v[24:25], 1.0
	s_delay_alu instid0(VALU_DEP_1) | instskip(NEXT) | instid1(VALU_DEP_4)
	v_add_f64_e64 v[22:23], v[26:27], -v[22:23]
	v_fmaak_f64 v[26:27], v[20:21], v[32:33], 0x3ec71de3796cde01
	s_delay_alu instid0(VALU_DEP_1) | instskip(NEXT) | instid1(VALU_DEP_1)
	v_fmaak_f64 v[26:27], v[20:21], v[26:27], 0xbf2a01a019e83e5c
	v_fmaak_f64 v[26:27], v[20:21], v[26:27], 0x3f81111111110bb3
	s_delay_alu instid0(VALU_DEP_1) | instskip(SKIP_1) | instid1(VALU_DEP_1)
	v_fmac_f64_e32 v[28:29], v[30:31], v[26:27]
	v_fmaak_f64 v[26:27], s[2:3], v[20:21], 0x3e21eeb69037ab78
	v_fmaak_f64 v[26:27], v[20:21], v[26:27], 0xbe927e4fa17f65f6
	v_fma_f64 v[22:23], v[10:11], -v[14:15], v[22:23]
	s_delay_alu instid0(VALU_DEP_2) | instskip(NEXT) | instid1(VALU_DEP_1)
	v_fmaak_f64 v[26:27], v[20:21], v[26:27], 0x3efa01a019f4ec90
	v_fmaak_f64 v[26:27], v[20:21], v[26:27], 0xbf56c16c16c16967
	v_fma_f64 v[14:15], v[20:21], v[28:29], -v[14:15]
	s_delay_alu instid0(VALU_DEP_1) | instskip(NEXT) | instid1(VALU_DEP_1)
	v_fmamk_f64 v[14:15], v[30:31], 0xbfc5555555555555, v[14:15]
	v_add_f64_e64 v[10:11], v[10:11], -v[14:15]
	v_mul_f64_e32 v[32:33], v[20:21], v[20:21]
	v_fmaak_f64 v[20:21], v[20:21], v[26:27], 0x3fa5555555555555
	s_delay_alu instid0(VALU_DEP_1) | instskip(NEXT) | instid1(VALU_DEP_1)
	v_fmac_f64_e32 v[22:23], v[32:33], v[20:21]
	v_add_f64_e32 v[14:15], v[24:25], v[22:23]
	s_delay_alu instid0(VALU_DEP_1) | instskip(SKIP_1) | instid1(VALU_DEP_2)
	v_dual_cndmask_b32 v10, v14, v10, s0 :: v_dual_cndmask_b32 v11, v15, v11, s0
	v_cmp_class_f64_e64 s0, v[6:7], 0x1f8
	v_bitop3_b32 v11, v11, v16, 0x80000000 bitop3:0x78
	s_delay_alu instid0(VALU_DEP_1) | instskip(NEXT) | instid1(VALU_DEP_4)
	v_cndmask_b32_e64 v11, 0x7ff80000, v11, s0
	v_cndmask_b32_e64 v10, 0, v10, s0
.LBB3_45:
	s_or_b32 exec_lo, exec_lo, s1
	v_or_b32_e32 v6, 0x300, v0
	s_mov_b32 s1, exec_lo
	s_delay_alu instid0(VALU_DEP_1)
	v_cmpx_gt_i32_e64 s7, v6
	s_cbranch_execnz .LBB3_52
; %bb.46:
	s_or_b32 exec_lo, exec_lo, s1
	s_and_saveexec_b32 s0, vcc_lo
	s_delay_alu instid0(SALU_CYCLE_1)
	s_xor_b32 s0, exec_lo, s0
	s_cbranch_execnz .LBB3_57
.LBB3_47:
	s_or_b32 exec_lo, exec_lo, s0
	s_delay_alu instid0(SALU_CYCLE_1)
	s_mov_b32 s0, exec_lo
	v_cmpx_gt_i32_e64 s7, v0
	s_cbranch_execnz .LBB3_58
.LBB3_48:
	s_or_b32 exec_lo, exec_lo, s0
	s_delay_alu instid0(SALU_CYCLE_1)
	s_mov_b32 s0, exec_lo
	v_cmpx_gt_i32_e64 s7, v0
	s_cbranch_execnz .LBB3_59
.LBB3_49:
	s_or_b32 exec_lo, exec_lo, s0
	s_delay_alu instid0(SALU_CYCLE_1)
	s_mov_b32 s0, exec_lo
	v_cmpx_gt_i32_e64 s7, v0
	s_cbranch_execz .LBB3_51
.LBB3_50:
	v_add_nc_u32_e32 v0, s12, v0
	global_store_b64 v0, v[8:9], s[8:9] scale_offset
.LBB3_51:
	s_sendmsg sendmsg(MSG_DEALLOC_VGPRS)
	s_endpgm
.LBB3_52:
	s_mov_b32 s2, exec_lo
                                        ; implicit-def: $vgpr14
                                        ; implicit-def: $vgpr6_vgpr7
                                        ; implicit-def: $vgpr8_vgpr9
	v_cmpx_ngt_f64_e64 0x41d00000, |v[2:3]|
	s_xor_b32 s2, exec_lo, s2
	s_cbranch_execz .LBB3_54
; %bb.53:
	v_ldexp_f64 v[6:7], |v[2:3]|, 0xffffff80
	v_cmp_le_f64_e64 s0, 0x7b000000, |v[2:3]|
	v_trig_preop_f64 v[8:9], |v[2:3]|, 0
	v_and_b32_e32 v14, 0x7fffffff, v3
	v_trig_preop_f64 v[26:27], |v[2:3]|, 2
	s_mov_b64 s[4:5], 0x3ff921fb54442d18
	s_delay_alu instid0(VALU_DEP_2) | instskip(SKIP_2) | instid1(VALU_DEP_2)
	v_dual_mov_b32 v34, 0 :: v_dual_cndmask_b32 v7, v14, v7, s0
	v_cndmask_b32_e64 v6, v2, v6, s0
	v_trig_preop_f64 v[14:15], |v[2:3]|, 1
	v_mul_f64_e32 v[16:17], v[8:9], v[6:7]
	s_delay_alu instid0(VALU_DEP_2) | instskip(NEXT) | instid1(VALU_DEP_2)
	v_mul_f64_e32 v[20:21], v[14:15], v[6:7]
	v_fma_f64 v[8:9], v[8:9], v[6:7], -v[16:17]
	s_delay_alu instid0(VALU_DEP_1) | instskip(NEXT) | instid1(VALU_DEP_1)
	v_add_f64_e32 v[22:23], v[20:21], v[8:9]
	v_add_f64_e64 v[24:25], v[22:23], -v[20:21]
	v_add_f64_e32 v[30:31], v[16:17], v[22:23]
	s_delay_alu instid0(VALU_DEP_2) | instskip(SKIP_2) | instid1(VALU_DEP_4)
	v_add_f64_e64 v[28:29], v[22:23], -v[24:25]
	v_add_f64_e64 v[8:9], v[8:9], -v[24:25]
	v_fma_f64 v[14:15], v[14:15], v[6:7], -v[20:21]
	v_ldexp_f64 v[24:25], v[30:31], -2
	v_mul_f64_e32 v[32:33], v[26:27], v[6:7]
	v_add_f64_e64 v[20:21], v[20:21], -v[28:29]
	s_delay_alu instid0(VALU_DEP_3) | instskip(NEXT) | instid1(VALU_DEP_3)
	v_cmp_neq_f64_e64 s0, 0x7ff00000, |v[24:25]|
	v_add_f64_e32 v[28:29], v[32:33], v[14:15]
	v_fma_f64 v[6:7], v[26:27], v[6:7], -v[32:33]
	s_delay_alu instid0(VALU_DEP_4) | instskip(SKIP_1) | instid1(VALU_DEP_1)
	v_add_f64_e32 v[8:9], v[8:9], v[20:21]
	v_fract_f64_e32 v[20:21], v[24:25]
	v_ldexp_f64 v[20:21], v[20:21], 2
	s_delay_alu instid0(VALU_DEP_1) | instskip(SKIP_1) | instid1(VALU_DEP_3)
	v_cndmask_b32_e64 v21, 0, v21, s0
	v_add_f64_e64 v[16:17], v[30:31], -v[16:17]
	v_cndmask_b32_e64 v20, 0, v20, s0
	s_delay_alu instid0(VALU_DEP_2) | instskip(SKIP_1) | instid1(VALU_DEP_1)
	v_add_f64_e64 v[16:17], v[22:23], -v[16:17]
	v_add_f64_e32 v[22:23], v[28:29], v[8:9]
	v_add_f64_e32 v[24:25], v[16:17], v[22:23]
	v_add_f64_e64 v[36:37], v[22:23], -v[28:29]
	s_delay_alu instid0(VALU_DEP_2) | instskip(NEXT) | instid1(VALU_DEP_2)
	v_add_f64_e32 v[30:31], v[24:25], v[20:21]
	v_add_f64_e64 v[42:43], v[22:23], -v[36:37]
	v_add_f64_e64 v[8:9], v[8:9], -v[36:37]
	;; [unrolled: 1-line block ×3, first 2 shown]
	s_delay_alu instid0(VALU_DEP_4) | instskip(SKIP_1) | instid1(VALU_DEP_2)
	v_cmp_gt_f64_e64 s0, 0, v[30:31]
	v_add_f64_e64 v[30:31], v[28:29], -v[32:33]
	v_cndmask_b32_e64 v35, 0, 0x40100000, s0
	s_delay_alu instid0(VALU_DEP_2) | instskip(SKIP_2) | instid1(VALU_DEP_4)
	v_add_f64_e64 v[40:41], v[28:29], -v[30:31]
	v_add_f64_e64 v[14:15], v[14:15], -v[30:31]
	;; [unrolled: 1-line block ×3, first 2 shown]
	v_add_f64_e32 v[20:21], v[20:21], v[34:35]
	s_delay_alu instid0(VALU_DEP_4) | instskip(NEXT) | instid1(VALU_DEP_3)
	v_add_f64_e64 v[30:31], v[32:33], -v[40:41]
	v_add_f64_e32 v[8:9], v[8:9], v[28:29]
	s_delay_alu instid0(VALU_DEP_3) | instskip(NEXT) | instid1(VALU_DEP_3)
	v_add_f64_e32 v[38:39], v[24:25], v[20:21]
	v_add_f64_e32 v[14:15], v[14:15], v[30:31]
	s_delay_alu instid0(VALU_DEP_2) | instskip(NEXT) | instid1(VALU_DEP_2)
	v_cvt_i32_f64_e32 v19, v[38:39]
	v_add_f64_e32 v[8:9], v[14:15], v[8:9]
	v_add_f64_e64 v[14:15], v[22:23], -v[16:17]
	s_delay_alu instid0(VALU_DEP_3) | instskip(NEXT) | instid1(VALU_DEP_3)
	v_cvt_f64_i32_e32 v[36:37], v19
	v_add_f64_e32 v[6:7], v[6:7], v[8:9]
	s_delay_alu instid0(VALU_DEP_2) | instskip(NEXT) | instid1(VALU_DEP_2)
	v_add_f64_e64 v[20:21], v[20:21], -v[36:37]
	v_add_f64_e32 v[6:7], v[14:15], v[6:7]
	s_delay_alu instid0(VALU_DEP_2) | instskip(NEXT) | instid1(VALU_DEP_1)
	v_add_f64_e32 v[26:27], v[24:25], v[20:21]
	v_add_f64_e64 v[8:9], v[26:27], -v[20:21]
	v_cmp_le_f64_e64 s0, 0.5, v[26:27]
	s_delay_alu instid0(VALU_DEP_2) | instskip(NEXT) | instid1(VALU_DEP_2)
	v_add_f64_e64 v[8:9], v[24:25], -v[8:9]
	v_cndmask_b32_e64 v35, 0, 0x3ff00000, s0
	v_add_co_ci_u32_e64 v14, null, 0, v19, s0
	s_delay_alu instid0(VALU_DEP_3) | instskip(NEXT) | instid1(VALU_DEP_3)
	v_add_f64_e32 v[6:7], v[6:7], v[8:9]
	v_add_f64_e64 v[8:9], v[26:27], -v[34:35]
	s_delay_alu instid0(VALU_DEP_1) | instskip(NEXT) | instid1(VALU_DEP_1)
	v_add_f64_e32 v[16:17], v[8:9], v[6:7]
	v_mul_f64_e32 v[20:21], 0x3ff921fb54442d18, v[16:17]
	v_add_f64_e64 v[8:9], v[16:17], -v[8:9]
	s_delay_alu instid0(VALU_DEP_2) | instskip(NEXT) | instid1(VALU_DEP_2)
	v_fma_f64 v[22:23], v[16:17], s[4:5], -v[20:21]
	v_add_f64_e64 v[6:7], v[6:7], -v[8:9]
	s_delay_alu instid0(VALU_DEP_2) | instskip(NEXT) | instid1(VALU_DEP_1)
	v_fmamk_f64 v[8:9], v[16:17], 0x3c91a62633145c07, v[22:23]
	v_fmac_f64_e32 v[8:9], 0x3ff921fb54442d18, v[6:7]
	s_delay_alu instid0(VALU_DEP_1) | instskip(NEXT) | instid1(VALU_DEP_1)
	v_add_f64_e32 v[6:7], v[20:21], v[8:9]
	v_add_f64_e64 v[16:17], v[6:7], -v[20:21]
	s_delay_alu instid0(VALU_DEP_1)
	v_add_f64_e64 v[8:9], v[8:9], -v[16:17]
.LBB3_54:
	s_and_not1_saveexec_b32 s0, s2
	s_cbranch_execz .LBB3_56
; %bb.55:
	s_mov_b64 s[2:3], 0x3fe45f306dc9c883
	s_delay_alu instid0(SALU_CYCLE_1) | instskip(SKIP_1) | instid1(VALU_DEP_1)
	v_mul_f64_e64 v[6:7], |v[2:3]|, s[2:3]
	s_mov_b64 s[2:3], 0xbff921fb54442d18
	v_rndne_f64_e32 v[14:15], v[6:7]
	s_delay_alu instid0(VALU_DEP_1) | instskip(SKIP_1) | instid1(VALU_DEP_2)
	v_fma_f64 v[6:7], v[14:15], s[2:3], |v[2:3]|
	v_mul_f64_e32 v[8:9], 0xbc91a62633145c00, v[14:15]
	v_fmamk_f64 v[22:23], v[14:15], 0xbc91a62633145c00, v[6:7]
	s_delay_alu instid0(VALU_DEP_2) | instskip(NEXT) | instid1(VALU_DEP_1)
	v_add_f64_e32 v[16:17], v[6:7], v[8:9]
	v_add_f64_e64 v[20:21], v[6:7], -v[16:17]
	s_delay_alu instid0(VALU_DEP_3) | instskip(NEXT) | instid1(VALU_DEP_2)
	v_add_f64_e64 v[6:7], v[16:17], -v[22:23]
	v_add_f64_e32 v[16:17], v[20:21], v[8:9]
	v_fmamk_f64 v[8:9], v[14:15], 0x3c91a62633145c00, v[8:9]
	s_delay_alu instid0(VALU_DEP_2) | instskip(NEXT) | instid1(VALU_DEP_1)
	v_add_f64_e32 v[6:7], v[6:7], v[16:17]
	v_add_f64_e64 v[6:7], v[6:7], -v[8:9]
	s_delay_alu instid0(VALU_DEP_1) | instskip(SKIP_1) | instid1(VALU_DEP_2)
	v_fmamk_f64 v[8:9], v[14:15], 0xb97b839a252049c0, v[6:7]
	v_cvt_i32_f64_e32 v14, v[14:15]
	v_add_f64_e32 v[6:7], v[22:23], v[8:9]
	s_delay_alu instid0(VALU_DEP_1) | instskip(NEXT) | instid1(VALU_DEP_1)
	v_add_f64_e64 v[16:17], v[6:7], -v[22:23]
	v_add_f64_e64 v[8:9], v[8:9], -v[16:17]
.LBB3_56:
	s_or_b32 exec_lo, exec_lo, s0
	v_mul_f64_e32 v[16:17], v[6:7], v[6:7]
	s_delay_alu instid0(VALU_DEP_2) | instskip(SKIP_2) | instid1(VALU_DEP_1)
	v_mul_f64_e32 v[26:27], 0.5, v[8:9]
	s_mov_b64 s[2:3], 0x3de5e0b2f9a43bb8
	v_dual_lshlrev_b32 v14, 30, v14 :: v_dual_bitop2_b32 v15, 1, v14 bitop3:0x40
	v_cmp_eq_u32_e64 s0, 0, v15
	s_delay_alu instid0(VALU_DEP_2) | instskip(SKIP_3) | instid1(VALU_DEP_3)
	v_dual_mul_f64 v[20:21], 0.5, v[16:17] :: v_dual_bitop2_b32 v14, v14, v3 bitop3:0x14
	v_mul_f64_e64 v[28:29], v[6:7], -v[16:17]
	v_fmaak_f64 v[30:31], s[2:3], v[16:17], 0xbe5ae600b42fdfa7
	s_mov_b64 s[2:3], 0xbda907db46cc5e42
	v_add_f64_e64 v[22:23], -v[20:21], 1.0
	s_delay_alu instid0(VALU_DEP_1) | instskip(NEXT) | instid1(VALU_DEP_1)
	v_add_f64_e64 v[24:25], -v[22:23], 1.0
	v_add_f64_e64 v[20:21], v[24:25], -v[20:21]
	s_delay_alu instid0(VALU_DEP_4) | instskip(SKIP_1) | instid1(VALU_DEP_2)
	v_fmaak_f64 v[24:25], v[16:17], v[30:31], 0x3ec71de3796cde01
	v_mul_f64_e32 v[30:31], v[16:17], v[16:17]
	v_fmaak_f64 v[24:25], v[16:17], v[24:25], 0xbf2a01a019e83e5c
	s_delay_alu instid0(VALU_DEP_1) | instskip(NEXT) | instid1(VALU_DEP_1)
	v_fmaak_f64 v[24:25], v[16:17], v[24:25], 0x3f81111111110bb3
	v_fmac_f64_e32 v[26:27], v[28:29], v[24:25]
	v_fmaak_f64 v[24:25], s[2:3], v[16:17], 0x3e21eeb69037ab78
	s_delay_alu instid0(VALU_DEP_1) | instskip(SKIP_1) | instid1(VALU_DEP_2)
	v_fmaak_f64 v[24:25], v[16:17], v[24:25], 0xbe927e4fa17f65f6
	v_fma_f64 v[20:21], v[6:7], -v[8:9], v[20:21]
	v_fmaak_f64 v[24:25], v[16:17], v[24:25], 0x3efa01a019f4ec90
	s_delay_alu instid0(VALU_DEP_1) | instskip(SKIP_1) | instid1(VALU_DEP_2)
	v_fmaak_f64 v[24:25], v[16:17], v[24:25], 0xbf56c16c16c16967
	v_fma_f64 v[8:9], v[16:17], v[26:27], -v[8:9]
	v_fmaak_f64 v[16:17], v[16:17], v[24:25], 0x3fa5555555555555
	s_delay_alu instid0(VALU_DEP_1) | instskip(NEXT) | instid1(VALU_DEP_3)
	v_fmac_f64_e32 v[20:21], v[30:31], v[16:17]
	v_fmamk_f64 v[8:9], v[28:29], 0xbfc5555555555555, v[8:9]
	s_delay_alu instid0(VALU_DEP_1) | instskip(NEXT) | instid1(VALU_DEP_3)
	v_add_f64_e64 v[6:7], v[6:7], -v[8:9]
	v_add_f64_e32 v[8:9], v[22:23], v[20:21]
	s_delay_alu instid0(VALU_DEP_1) | instskip(SKIP_1) | instid1(VALU_DEP_2)
	v_dual_cndmask_b32 v6, v8, v6, s0 :: v_dual_cndmask_b32 v7, v9, v7, s0
	v_cmp_class_f64_e64 s0, v[2:3], 0x1f8
	v_bitop3_b32 v7, v7, v14, 0x80000000 bitop3:0x78
	s_delay_alu instid0(VALU_DEP_1) | instskip(NEXT) | instid1(VALU_DEP_4)
	v_cndmask_b32_e64 v9, 0x7ff80000, v7, s0
	v_cndmask_b32_e64 v8, 0, v6, s0
	s_or_b32 exec_lo, exec_lo, s1
	s_and_saveexec_b32 s0, vcc_lo
	s_delay_alu instid0(SALU_CYCLE_1)
	s_xor_b32 s0, exec_lo, s0
	s_cbranch_execz .LBB3_47
.LBB3_57:
	v_mov_b32_e32 v0, v18
	global_store_b64 v1, v[4:5], s[8:9] scale_offset
	s_wait_xcnt 0x0
	s_or_b32 exec_lo, exec_lo, s0
	s_delay_alu instid0(SALU_CYCLE_1)
	s_mov_b32 s0, exec_lo
	v_cmpx_gt_i32_e64 s7, v0
	s_cbranch_execz .LBB3_48
.LBB3_58:
	v_add_nc_u32_e32 v1, s12, v0
	v_add_nc_u32_e32 v0, 0x100, v0
	global_store_b64 v1, v[12:13], s[8:9] scale_offset
	s_wait_xcnt 0x0
	s_or_b32 exec_lo, exec_lo, s0
	s_delay_alu instid0(SALU_CYCLE_1)
	s_mov_b32 s0, exec_lo
	v_cmpx_gt_i32_e64 s7, v0
	s_cbranch_execz .LBB3_49
.LBB3_59:
	v_add_nc_u32_e32 v1, s12, v0
	v_add_nc_u32_e32 v0, 0x100, v0
	global_store_b64 v1, v[10:11], s[8:9] scale_offset
	s_wait_xcnt 0x0
	s_or_b32 exec_lo, exec_lo, s0
	s_delay_alu instid0(SALU_CYCLE_1)
	s_mov_b32 s0, exec_lo
	v_cmpx_gt_i32_e64 s7, v0
	s_cbranch_execnz .LBB3_50
	s_branch .LBB3_51
	.section	.rodata,"a",@progbits
	.p2align	6, 0x0
	.amdhsa_kernel _ZN2at6native29vectorized_elementwise_kernelILi2EZZZNS0_15sin_kernel_cudaERNS_18TensorIteratorBaseEENKUlvE0_clEvENKUlvE_clEvEUldE_St5arrayIPcLm2EEEEviT0_T1_
		.amdhsa_group_segment_fixed_size 0
		.amdhsa_private_segment_fixed_size 0
		.amdhsa_kernarg_size 24
		.amdhsa_user_sgpr_count 2
		.amdhsa_user_sgpr_dispatch_ptr 0
		.amdhsa_user_sgpr_queue_ptr 0
		.amdhsa_user_sgpr_kernarg_segment_ptr 1
		.amdhsa_user_sgpr_dispatch_id 0
		.amdhsa_user_sgpr_kernarg_preload_length 0
		.amdhsa_user_sgpr_kernarg_preload_offset 0
		.amdhsa_user_sgpr_private_segment_size 0
		.amdhsa_wavefront_size32 1
		.amdhsa_uses_dynamic_stack 0
		.amdhsa_enable_private_segment 0
		.amdhsa_system_sgpr_workgroup_id_x 1
		.amdhsa_system_sgpr_workgroup_id_y 0
		.amdhsa_system_sgpr_workgroup_id_z 0
		.amdhsa_system_sgpr_workgroup_info 0
		.amdhsa_system_vgpr_workitem_id 0
		.amdhsa_next_free_vgpr 68
		.amdhsa_next_free_sgpr 16
		.amdhsa_named_barrier_count 0
		.amdhsa_reserve_vcc 1
		.amdhsa_float_round_mode_32 0
		.amdhsa_float_round_mode_16_64 0
		.amdhsa_float_denorm_mode_32 3
		.amdhsa_float_denorm_mode_16_64 3
		.amdhsa_fp16_overflow 0
		.amdhsa_memory_ordered 1
		.amdhsa_forward_progress 1
		.amdhsa_inst_pref_size 81
		.amdhsa_round_robin_scheduling 0
		.amdhsa_exception_fp_ieee_invalid_op 0
		.amdhsa_exception_fp_denorm_src 0
		.amdhsa_exception_fp_ieee_div_zero 0
		.amdhsa_exception_fp_ieee_overflow 0
		.amdhsa_exception_fp_ieee_underflow 0
		.amdhsa_exception_fp_ieee_inexact 0
		.amdhsa_exception_int_div_zero 0
	.end_amdhsa_kernel
	.section	.text._ZN2at6native29vectorized_elementwise_kernelILi2EZZZNS0_15sin_kernel_cudaERNS_18TensorIteratorBaseEENKUlvE0_clEvENKUlvE_clEvEUldE_St5arrayIPcLm2EEEEviT0_T1_,"axG",@progbits,_ZN2at6native29vectorized_elementwise_kernelILi2EZZZNS0_15sin_kernel_cudaERNS_18TensorIteratorBaseEENKUlvE0_clEvENKUlvE_clEvEUldE_St5arrayIPcLm2EEEEviT0_T1_,comdat
.Lfunc_end3:
	.size	_ZN2at6native29vectorized_elementwise_kernelILi2EZZZNS0_15sin_kernel_cudaERNS_18TensorIteratorBaseEENKUlvE0_clEvENKUlvE_clEvEUldE_St5arrayIPcLm2EEEEviT0_T1_, .Lfunc_end3-_ZN2at6native29vectorized_elementwise_kernelILi2EZZZNS0_15sin_kernel_cudaERNS_18TensorIteratorBaseEENKUlvE0_clEvENKUlvE_clEvEUldE_St5arrayIPcLm2EEEEviT0_T1_
                                        ; -- End function
	.set _ZN2at6native29vectorized_elementwise_kernelILi2EZZZNS0_15sin_kernel_cudaERNS_18TensorIteratorBaseEENKUlvE0_clEvENKUlvE_clEvEUldE_St5arrayIPcLm2EEEEviT0_T1_.num_vgpr, 68
	.set _ZN2at6native29vectorized_elementwise_kernelILi2EZZZNS0_15sin_kernel_cudaERNS_18TensorIteratorBaseEENKUlvE0_clEvENKUlvE_clEvEUldE_St5arrayIPcLm2EEEEviT0_T1_.num_agpr, 0
	.set _ZN2at6native29vectorized_elementwise_kernelILi2EZZZNS0_15sin_kernel_cudaERNS_18TensorIteratorBaseEENKUlvE0_clEvENKUlvE_clEvEUldE_St5arrayIPcLm2EEEEviT0_T1_.numbered_sgpr, 16
	.set _ZN2at6native29vectorized_elementwise_kernelILi2EZZZNS0_15sin_kernel_cudaERNS_18TensorIteratorBaseEENKUlvE0_clEvENKUlvE_clEvEUldE_St5arrayIPcLm2EEEEviT0_T1_.num_named_barrier, 0
	.set _ZN2at6native29vectorized_elementwise_kernelILi2EZZZNS0_15sin_kernel_cudaERNS_18TensorIteratorBaseEENKUlvE0_clEvENKUlvE_clEvEUldE_St5arrayIPcLm2EEEEviT0_T1_.private_seg_size, 0
	.set _ZN2at6native29vectorized_elementwise_kernelILi2EZZZNS0_15sin_kernel_cudaERNS_18TensorIteratorBaseEENKUlvE0_clEvENKUlvE_clEvEUldE_St5arrayIPcLm2EEEEviT0_T1_.uses_vcc, 1
	.set _ZN2at6native29vectorized_elementwise_kernelILi2EZZZNS0_15sin_kernel_cudaERNS_18TensorIteratorBaseEENKUlvE0_clEvENKUlvE_clEvEUldE_St5arrayIPcLm2EEEEviT0_T1_.uses_flat_scratch, 0
	.set _ZN2at6native29vectorized_elementwise_kernelILi2EZZZNS0_15sin_kernel_cudaERNS_18TensorIteratorBaseEENKUlvE0_clEvENKUlvE_clEvEUldE_St5arrayIPcLm2EEEEviT0_T1_.has_dyn_sized_stack, 0
	.set _ZN2at6native29vectorized_elementwise_kernelILi2EZZZNS0_15sin_kernel_cudaERNS_18TensorIteratorBaseEENKUlvE0_clEvENKUlvE_clEvEUldE_St5arrayIPcLm2EEEEviT0_T1_.has_recursion, 0
	.set _ZN2at6native29vectorized_elementwise_kernelILi2EZZZNS0_15sin_kernel_cudaERNS_18TensorIteratorBaseEENKUlvE0_clEvENKUlvE_clEvEUldE_St5arrayIPcLm2EEEEviT0_T1_.has_indirect_call, 0
	.section	.AMDGPU.csdata,"",@progbits
; Kernel info:
; codeLenInByte = 10300
; TotalNumSgprs: 18
; NumVgprs: 68
; ScratchSize: 0
; MemoryBound: 0
; FloatMode: 240
; IeeeMode: 1
; LDSByteSize: 0 bytes/workgroup (compile time only)
; SGPRBlocks: 0
; VGPRBlocks: 4
; NumSGPRsForWavesPerEU: 18
; NumVGPRsForWavesPerEU: 68
; NamedBarCnt: 0
; Occupancy: 12
; WaveLimiterHint : 1
; COMPUTE_PGM_RSRC2:SCRATCH_EN: 0
; COMPUTE_PGM_RSRC2:USER_SGPR: 2
; COMPUTE_PGM_RSRC2:TRAP_HANDLER: 0
; COMPUTE_PGM_RSRC2:TGID_X_EN: 1
; COMPUTE_PGM_RSRC2:TGID_Y_EN: 0
; COMPUTE_PGM_RSRC2:TGID_Z_EN: 0
; COMPUTE_PGM_RSRC2:TIDIG_COMP_CNT: 0
	.section	.text._ZN2at6native27unrolled_elementwise_kernelIZZZNS0_15sin_kernel_cudaERNS_18TensorIteratorBaseEENKUlvE0_clEvENKUlvE_clEvEUldE_St5arrayIPcLm2EELi4E23TrivialOffsetCalculatorILi1EjESB_NS0_6memory15LoadWithoutCastENSC_16StoreWithoutCastEEEviT_T0_T2_T3_T4_T5_,"axG",@progbits,_ZN2at6native27unrolled_elementwise_kernelIZZZNS0_15sin_kernel_cudaERNS_18TensorIteratorBaseEENKUlvE0_clEvENKUlvE_clEvEUldE_St5arrayIPcLm2EELi4E23TrivialOffsetCalculatorILi1EjESB_NS0_6memory15LoadWithoutCastENSC_16StoreWithoutCastEEEviT_T0_T2_T3_T4_T5_,comdat
	.globl	_ZN2at6native27unrolled_elementwise_kernelIZZZNS0_15sin_kernel_cudaERNS_18TensorIteratorBaseEENKUlvE0_clEvENKUlvE_clEvEUldE_St5arrayIPcLm2EELi4E23TrivialOffsetCalculatorILi1EjESB_NS0_6memory15LoadWithoutCastENSC_16StoreWithoutCastEEEviT_T0_T2_T3_T4_T5_ ; -- Begin function _ZN2at6native27unrolled_elementwise_kernelIZZZNS0_15sin_kernel_cudaERNS_18TensorIteratorBaseEENKUlvE0_clEvENKUlvE_clEvEUldE_St5arrayIPcLm2EELi4E23TrivialOffsetCalculatorILi1EjESB_NS0_6memory15LoadWithoutCastENSC_16StoreWithoutCastEEEviT_T0_T2_T3_T4_T5_
	.p2align	8
	.type	_ZN2at6native27unrolled_elementwise_kernelIZZZNS0_15sin_kernel_cudaERNS_18TensorIteratorBaseEENKUlvE0_clEvENKUlvE_clEvEUldE_St5arrayIPcLm2EELi4E23TrivialOffsetCalculatorILi1EjESB_NS0_6memory15LoadWithoutCastENSC_16StoreWithoutCastEEEviT_T0_T2_T3_T4_T5_,@function
_ZN2at6native27unrolled_elementwise_kernelIZZZNS0_15sin_kernel_cudaERNS_18TensorIteratorBaseEENKUlvE0_clEvENKUlvE_clEvEUldE_St5arrayIPcLm2EELi4E23TrivialOffsetCalculatorILi1EjESB_NS0_6memory15LoadWithoutCastENSC_16StoreWithoutCastEEEviT_T0_T2_T3_T4_T5_: ; @_ZN2at6native27unrolled_elementwise_kernelIZZZNS0_15sin_kernel_cudaERNS_18TensorIteratorBaseEENKUlvE0_clEvENKUlvE_clEvEUldE_St5arrayIPcLm2EELi4E23TrivialOffsetCalculatorILi1EjESB_NS0_6memory15LoadWithoutCastENSC_16StoreWithoutCastEEEviT_T0_T2_T3_T4_T5_
; %bb.0:
	s_clause 0x1
	s_load_b32 s3, s[0:1], 0x0
	s_load_b128 s[4:7], s[0:1], 0x8
	s_bfe_u32 s2, ttmp6, 0x4000c
	s_wait_xcnt 0x0
	s_and_b32 s0, ttmp6, 15
	s_add_co_i32 s2, s2, 1
	v_mov_b64_e32 v[14:15], 0
	s_mul_i32 s1, ttmp9, s2
	s_getreg_b32 s2, hwreg(HW_REG_IB_STS2, 6, 4)
	s_add_co_i32 s0, s0, s1
	s_cmp_eq_u32 s2, 0
	v_mov_b64_e32 v[16:17], 0
	s_cselect_b32 s0, ttmp9, s0
	v_or_b32_e32 v1, 0x100, v0
	s_lshl_b32 s2, s0, 10
	s_delay_alu instid0(SALU_CYCLE_1) | instskip(SKIP_2) | instid1(SALU_CYCLE_1)
	v_dual_mov_b32 v4, v0 :: v_dual_bitop2_b32 v18, s2, v0 bitop3:0x54
	s_wait_kmcnt 0x0
	s_sub_co_i32 s3, s3, s2
	v_cmp_gt_i32_e32 vcc_lo, s3, v0
	s_and_saveexec_b32 s0, vcc_lo
	s_cbranch_execz .LBB4_2
; %bb.1:
	global_load_b64 v[16:17], v18, s[6:7] scale_offset
	v_or_b32_e32 v4, 0x100, v0
.LBB4_2:
	s_wait_xcnt 0x0
	s_or_b32 exec_lo, exec_lo, s0
	s_delay_alu instid0(SALU_CYCLE_1) | instskip(NEXT) | instid1(VALU_DEP_1)
	s_mov_b32 s1, exec_lo
	v_cmpx_gt_i32_e64 s3, v4
	s_cbranch_execz .LBB4_4
; %bb.3:
	v_add_nc_u32_e32 v2, s2, v4
	v_add_nc_u32_e32 v4, 0x100, v4
	global_load_b64 v[14:15], v2, s[6:7] scale_offset
.LBB4_4:
	s_wait_xcnt 0x0
	s_or_b32 exec_lo, exec_lo, s1
	v_mov_b64_e32 v[2:3], 0
	v_mov_b64_e32 v[6:7], 0
	s_mov_b32 s1, exec_lo
	v_cmpx_gt_i32_e64 s3, v4
	s_cbranch_execz .LBB4_6
; %bb.5:
	v_add_nc_u32_e32 v5, s2, v4
	v_add_nc_u32_e32 v4, 0x100, v4
	global_load_b64 v[6:7], v5, s[6:7] scale_offset
.LBB4_6:
	s_wait_xcnt 0x0
	s_or_b32 exec_lo, exec_lo, s1
	s_delay_alu instid0(SALU_CYCLE_1)
	s_mov_b32 s1, exec_lo
	v_cmpx_gt_i32_e64 s3, v4
	s_cbranch_execz .LBB4_8
; %bb.7:
	v_add_nc_u32_e32 v2, s2, v4
	global_load_b64 v[2:3], v2, s[6:7] scale_offset
.LBB4_8:
	s_wait_xcnt 0x0
	s_or_b32 exec_lo, exec_lo, s1
	v_mov_b32_e32 v4, 0
	s_delay_alu instid0(VALU_DEP_1)
	v_dual_mov_b32 v5, v4 :: v_dual_mov_b32 v12, v4
	v_dual_mov_b32 v13, v4 :: v_dual_mov_b32 v10, v4
	;; [unrolled: 1-line block ×3, first 2 shown]
	v_mov_b32_e32 v9, v4
	s_and_saveexec_b32 s6, vcc_lo
	s_cbranch_execz .LBB4_14
; %bb.9:
	s_mov_b32 s1, exec_lo
                                        ; implicit-def: $vgpr10
                                        ; implicit-def: $vgpr4_vgpr5
                                        ; implicit-def: $vgpr8_vgpr9
	s_wait_loadcnt 0x0
	v_cmpx_ngt_f64_e64 0x41d00000, |v[16:17]|
	s_xor_b32 s1, exec_lo, s1
	s_cbranch_execz .LBB4_11
; %bb.10:
	v_ldexp_f64 v[4:5], |v[16:17]|, 0xffffff80
	v_cmp_le_f64_e64 s0, 0x7b000000, |v[16:17]|
	v_trig_preop_f64 v[8:9], |v[16:17]|, 0
	v_and_b32_e32 v10, 0x7fffffff, v17
	v_trig_preop_f64 v[26:27], |v[16:17]|, 2
	s_mov_b64 s[8:9], 0x3ff921fb54442d18
	s_delay_alu instid0(VALU_DEP_2) | instskip(SKIP_2) | instid1(VALU_DEP_2)
	v_dual_mov_b32 v34, 0 :: v_dual_cndmask_b32 v5, v10, v5, s0
	v_cndmask_b32_e64 v4, v16, v4, s0
	v_trig_preop_f64 v[10:11], |v[16:17]|, 1
	v_mul_f64_e32 v[12:13], v[8:9], v[4:5]
	v_mul_f64_e32 v[32:33], v[26:27], v[4:5]
	s_delay_alu instid0(VALU_DEP_3) | instskip(NEXT) | instid1(VALU_DEP_3)
	v_mul_f64_e32 v[20:21], v[10:11], v[4:5]
	v_fma_f64 v[8:9], v[8:9], v[4:5], -v[12:13]
	s_delay_alu instid0(VALU_DEP_2) | instskip(NEXT) | instid1(VALU_DEP_4)
	v_fma_f64 v[10:11], v[10:11], v[4:5], -v[20:21]
	v_fma_f64 v[4:5], v[26:27], v[4:5], -v[32:33]
	s_delay_alu instid0(VALU_DEP_3) | instskip(NEXT) | instid1(VALU_DEP_1)
	v_add_f64_e32 v[22:23], v[20:21], v[8:9]
	v_add_f64_e64 v[24:25], v[22:23], -v[20:21]
	v_add_f64_e32 v[30:31], v[12:13], v[22:23]
	s_delay_alu instid0(VALU_DEP_2) | instskip(SKIP_1) | instid1(VALU_DEP_3)
	v_add_f64_e64 v[28:29], v[22:23], -v[24:25]
	v_add_f64_e64 v[8:9], v[8:9], -v[24:25]
	v_ldexp_f64 v[24:25], v[30:31], -2
	s_delay_alu instid0(VALU_DEP_3) | instskip(NEXT) | instid1(VALU_DEP_2)
	v_add_f64_e64 v[20:21], v[20:21], -v[28:29]
	v_cmp_neq_f64_e64 s0, 0x7ff00000, |v[24:25]|
	s_delay_alu instid0(VALU_DEP_2) | instskip(SKIP_1) | instid1(VALU_DEP_1)
	v_add_f64_e32 v[8:9], v[8:9], v[20:21]
	v_fract_f64_e32 v[20:21], v[24:25]
	v_ldexp_f64 v[20:21], v[20:21], 2
	s_delay_alu instid0(VALU_DEP_1) | instskip(NEXT) | instid1(VALU_DEP_2)
	v_dual_add_f64 v[28:29], v[32:33], v[10:11] :: v_dual_cndmask_b32 v20, 0, v20, s0
	v_cndmask_b32_e64 v21, 0, v21, s0
	v_add_f64_e64 v[12:13], v[30:31], -v[12:13]
	s_delay_alu instid0(VALU_DEP_1) | instskip(NEXT) | instid1(VALU_DEP_4)
	v_add_f64_e64 v[12:13], v[22:23], -v[12:13]
	v_add_f64_e32 v[22:23], v[28:29], v[8:9]
	s_delay_alu instid0(VALU_DEP_1) | instskip(SKIP_1) | instid1(VALU_DEP_2)
	v_add_f64_e32 v[24:25], v[12:13], v[22:23]
	v_add_f64_e64 v[36:37], v[22:23], -v[28:29]
	v_add_f64_e32 v[30:31], v[24:25], v[20:21]
	s_delay_alu instid0(VALU_DEP_2) | instskip(SKIP_2) | instid1(VALU_DEP_4)
	v_add_f64_e64 v[42:43], v[22:23], -v[36:37]
	v_add_f64_e64 v[8:9], v[8:9], -v[36:37]
	;; [unrolled: 1-line block ×3, first 2 shown]
	v_cmp_gt_f64_e64 s0, 0, v[30:31]
	v_add_f64_e64 v[30:31], v[28:29], -v[32:33]
	s_delay_alu instid0(VALU_DEP_2) | instskip(NEXT) | instid1(VALU_DEP_2)
	v_cndmask_b32_e64 v35, 0, 0x40100000, s0
	v_add_f64_e64 v[40:41], v[28:29], -v[30:31]
	v_add_f64_e64 v[10:11], v[10:11], -v[30:31]
	;; [unrolled: 1-line block ×3, first 2 shown]
	s_delay_alu instid0(VALU_DEP_4) | instskip(NEXT) | instid1(VALU_DEP_4)
	v_add_f64_e32 v[20:21], v[20:21], v[34:35]
	v_add_f64_e64 v[30:31], v[32:33], -v[40:41]
	s_delay_alu instid0(VALU_DEP_3) | instskip(NEXT) | instid1(VALU_DEP_3)
	v_add_f64_e32 v[8:9], v[8:9], v[28:29]
	v_add_f64_e32 v[38:39], v[24:25], v[20:21]
	s_delay_alu instid0(VALU_DEP_3) | instskip(NEXT) | instid1(VALU_DEP_2)
	v_add_f64_e32 v[10:11], v[10:11], v[30:31]
	v_cvt_i32_f64_e32 v19, v[38:39]
	s_delay_alu instid0(VALU_DEP_2) | instskip(SKIP_1) | instid1(VALU_DEP_3)
	v_add_f64_e32 v[8:9], v[10:11], v[8:9]
	v_add_f64_e64 v[10:11], v[22:23], -v[12:13]
	v_cvt_f64_i32_e32 v[36:37], v19
	s_delay_alu instid0(VALU_DEP_3) | instskip(NEXT) | instid1(VALU_DEP_2)
	v_add_f64_e32 v[4:5], v[4:5], v[8:9]
	v_add_f64_e64 v[20:21], v[20:21], -v[36:37]
	s_delay_alu instid0(VALU_DEP_2) | instskip(NEXT) | instid1(VALU_DEP_2)
	v_add_f64_e32 v[4:5], v[10:11], v[4:5]
	v_add_f64_e32 v[26:27], v[24:25], v[20:21]
	s_delay_alu instid0(VALU_DEP_1) | instskip(SKIP_1) | instid1(VALU_DEP_2)
	v_add_f64_e64 v[8:9], v[26:27], -v[20:21]
	v_cmp_le_f64_e64 s0, 0.5, v[26:27]
	v_add_f64_e64 v[8:9], v[24:25], -v[8:9]
	s_delay_alu instid0(VALU_DEP_2) | instskip(SKIP_1) | instid1(VALU_DEP_3)
	v_cndmask_b32_e64 v35, 0, 0x3ff00000, s0
	v_add_co_ci_u32_e64 v10, null, 0, v19, s0
	v_add_f64_e32 v[4:5], v[4:5], v[8:9]
	s_delay_alu instid0(VALU_DEP_3) | instskip(NEXT) | instid1(VALU_DEP_1)
	v_add_f64_e64 v[8:9], v[26:27], -v[34:35]
	v_add_f64_e32 v[12:13], v[8:9], v[4:5]
	s_delay_alu instid0(VALU_DEP_1) | instskip(SKIP_1) | instid1(VALU_DEP_2)
	v_mul_f64_e32 v[20:21], 0x3ff921fb54442d18, v[12:13]
	v_add_f64_e64 v[8:9], v[12:13], -v[8:9]
	v_fma_f64 v[22:23], v[12:13], s[8:9], -v[20:21]
	s_delay_alu instid0(VALU_DEP_2) | instskip(NEXT) | instid1(VALU_DEP_2)
	v_add_f64_e64 v[4:5], v[4:5], -v[8:9]
	v_fmamk_f64 v[8:9], v[12:13], 0x3c91a62633145c07, v[22:23]
	s_delay_alu instid0(VALU_DEP_1) | instskip(NEXT) | instid1(VALU_DEP_1)
	v_fmac_f64_e32 v[8:9], 0x3ff921fb54442d18, v[4:5]
	v_add_f64_e32 v[4:5], v[20:21], v[8:9]
	s_delay_alu instid0(VALU_DEP_1) | instskip(NEXT) | instid1(VALU_DEP_1)
	v_add_f64_e64 v[12:13], v[4:5], -v[20:21]
	v_add_f64_e64 v[8:9], v[8:9], -v[12:13]
.LBB4_11:
	s_and_not1_saveexec_b32 s0, s1
	s_cbranch_execz .LBB4_13
; %bb.12:
	s_mov_b64 s[8:9], 0x3fe45f306dc9c883
	s_delay_alu instid0(SALU_CYCLE_1) | instskip(SKIP_1) | instid1(VALU_DEP_1)
	v_mul_f64_e64 v[4:5], |v[16:17]|, s[8:9]
	s_mov_b64 s[8:9], 0xbff921fb54442d18
	v_rndne_f64_e32 v[10:11], v[4:5]
	s_delay_alu instid0(VALU_DEP_1) | instskip(SKIP_1) | instid1(VALU_DEP_2)
	v_fma_f64 v[4:5], v[10:11], s[8:9], |v[16:17]|
	v_mul_f64_e32 v[8:9], 0xbc91a62633145c00, v[10:11]
	v_fmamk_f64 v[22:23], v[10:11], 0xbc91a62633145c00, v[4:5]
	s_delay_alu instid0(VALU_DEP_2) | instskip(NEXT) | instid1(VALU_DEP_1)
	v_add_f64_e32 v[12:13], v[4:5], v[8:9]
	v_add_f64_e64 v[20:21], v[4:5], -v[12:13]
	s_delay_alu instid0(VALU_DEP_3) | instskip(NEXT) | instid1(VALU_DEP_2)
	v_add_f64_e64 v[4:5], v[12:13], -v[22:23]
	v_add_f64_e32 v[12:13], v[20:21], v[8:9]
	v_fmamk_f64 v[8:9], v[10:11], 0x3c91a62633145c00, v[8:9]
	s_delay_alu instid0(VALU_DEP_2) | instskip(NEXT) | instid1(VALU_DEP_1)
	v_add_f64_e32 v[4:5], v[4:5], v[12:13]
	v_add_f64_e64 v[4:5], v[4:5], -v[8:9]
	s_delay_alu instid0(VALU_DEP_1) | instskip(SKIP_1) | instid1(VALU_DEP_2)
	v_fmamk_f64 v[8:9], v[10:11], 0xb97b839a252049c0, v[4:5]
	v_cvt_i32_f64_e32 v10, v[10:11]
	v_add_f64_e32 v[4:5], v[22:23], v[8:9]
	s_delay_alu instid0(VALU_DEP_1) | instskip(NEXT) | instid1(VALU_DEP_1)
	v_add_f64_e64 v[12:13], v[4:5], -v[22:23]
	v_add_f64_e64 v[8:9], v[8:9], -v[12:13]
.LBB4_13:
	s_or_b32 exec_lo, exec_lo, s0
	s_delay_alu instid0(VALU_DEP_4) | instskip(NEXT) | instid1(VALU_DEP_2)
	v_dual_mul_f64 v[12:13], v[4:5], v[4:5] :: v_dual_bitop2_b32 v11, 1, v10 bitop3:0x40
	v_mul_f64_e32 v[26:27], 0.5, v[8:9]
	s_mov_b64 s[0:1], 0x3de5e0b2f9a43bb8
	s_delay_alu instid0(VALU_DEP_2) | instskip(SKIP_3) | instid1(VALU_DEP_3)
	v_mul_f64_e32 v[20:21], 0.5, v[12:13]
	v_mul_f64_e64 v[28:29], v[4:5], -v[12:13]
	v_fmaak_f64 v[30:31], s[0:1], v[12:13], 0xbe5ae600b42fdfa7
	s_mov_b64 s[0:1], 0xbda907db46cc5e42
	v_add_f64_e64 v[22:23], -v[20:21], 1.0
	s_delay_alu instid0(VALU_DEP_1) | instskip(NEXT) | instid1(VALU_DEP_1)
	v_add_f64_e64 v[24:25], -v[22:23], 1.0
	v_add_f64_e64 v[20:21], v[24:25], -v[20:21]
	s_delay_alu instid0(VALU_DEP_4) | instskip(SKIP_1) | instid1(VALU_DEP_2)
	v_fmaak_f64 v[24:25], v[12:13], v[30:31], 0x3ec71de3796cde01
	v_mul_f64_e32 v[30:31], v[12:13], v[12:13]
	v_fmaak_f64 v[24:25], v[12:13], v[24:25], 0xbf2a01a019e83e5c
	s_delay_alu instid0(VALU_DEP_1) | instskip(NEXT) | instid1(VALU_DEP_1)
	v_fmaak_f64 v[24:25], v[12:13], v[24:25], 0x3f81111111110bb3
	v_fmac_f64_e32 v[26:27], v[28:29], v[24:25]
	v_fmaak_f64 v[24:25], s[0:1], v[12:13], 0x3e21eeb69037ab78
	v_cmp_class_f64_e64 s1, v[16:17], 0x1f8
	v_cmp_eq_u32_e64 s0, 0, v11
	s_delay_alu instid0(VALU_DEP_3) | instskip(SKIP_1) | instid1(VALU_DEP_2)
	v_fmaak_f64 v[24:25], v[12:13], v[24:25], 0xbe927e4fa17f65f6
	v_fma_f64 v[20:21], v[4:5], -v[8:9], v[20:21]
	v_fmaak_f64 v[24:25], v[12:13], v[24:25], 0x3efa01a019f4ec90
	s_delay_alu instid0(VALU_DEP_1) | instskip(SKIP_1) | instid1(VALU_DEP_2)
	v_fmaak_f64 v[24:25], v[12:13], v[24:25], 0xbf56c16c16c16967
	v_fma_f64 v[8:9], v[12:13], v[26:27], -v[8:9]
	v_fmaak_f64 v[12:13], v[12:13], v[24:25], 0x3fa5555555555555
	s_delay_alu instid0(VALU_DEP_1) | instskip(SKIP_1) | instid1(VALU_DEP_1)
	v_fmac_f64_e32 v[20:21], v[30:31], v[12:13]
	v_mov_b32_e32 v12, 0
	v_dual_mov_b32 v11, v12 :: v_dual_mov_b32 v13, v12
	v_fmamk_f64 v[8:9], v[28:29], 0xbfc5555555555555, v[8:9]
	s_delay_alu instid0(VALU_DEP_1) | instskip(SKIP_1) | instid1(VALU_DEP_1)
	v_add_f64_e64 v[4:5], v[4:5], -v[8:9]
	v_add_f64_e32 v[8:9], v[22:23], v[20:21]
	v_dual_cndmask_b32 v4, v8, v4, s0 :: v_dual_lshlrev_b32 v8, 30, v10
	s_delay_alu instid0(VALU_DEP_2) | instskip(SKIP_1) | instid1(VALU_DEP_3)
	v_dual_cndmask_b32 v5, v9, v5, s0 :: v_dual_mov_b32 v10, v12
	v_mov_b32_e32 v9, v12
	v_dual_cndmask_b32 v4, 0, v4, s1 :: v_dual_bitop2_b32 v8, v8, v17 bitop3:0x14
	s_delay_alu instid0(VALU_DEP_1) | instskip(SKIP_1) | instid1(VALU_DEP_2)
	v_bitop3_b32 v5, v5, v8, 0x80000000 bitop3:0x78
	v_mov_b32_e32 v8, v12
	v_cndmask_b32_e64 v5, 0x7ff80000, v5, s1
.LBB4_14:
	s_or_b32 exec_lo, exec_lo, s6
	s_delay_alu instid0(SALU_CYCLE_1)
	s_mov_b32 s1, exec_lo
	v_cmpx_gt_i32_e64 s3, v1
	s_cbranch_execz .LBB4_20
; %bb.15:
	s_mov_b32 s6, exec_lo
                                        ; implicit-def: $vgpr19
                                        ; implicit-def: $vgpr12_vgpr13
                                        ; implicit-def: $vgpr16_vgpr17
	s_wait_loadcnt 0x0
	v_cmpx_ngt_f64_e64 0x41d00000, |v[14:15]|
	s_xor_b32 s6, exec_lo, s6
	s_cbranch_execz .LBB4_17
; %bb.16:
	v_ldexp_f64 v[12:13], |v[14:15]|, 0xffffff80
	v_cmp_le_f64_e64 s0, 0x7b000000, |v[14:15]|
	v_trig_preop_f64 v[16:17], |v[14:15]|, 0
	v_and_b32_e32 v19, 0x7fffffff, v15
	v_trig_preop_f64 v[20:21], |v[14:15]|, 1
	v_trig_preop_f64 v[30:31], |v[14:15]|, 2
	s_mov_b64 s[8:9], 0x3ff921fb54442d18
	s_delay_alu instid0(VALU_DEP_3) | instskip(SKIP_1) | instid1(VALU_DEP_1)
	v_dual_mov_b32 v38, 0 :: v_dual_cndmask_b32 v13, v19, v13, s0
	v_cndmask_b32_e64 v12, v14, v12, s0
	v_mul_f64_e32 v[22:23], v[16:17], v[12:13]
	v_mul_f64_e32 v[24:25], v[20:21], v[12:13]
	;; [unrolled: 1-line block ×3, first 2 shown]
	s_delay_alu instid0(VALU_DEP_3) | instskip(NEXT) | instid1(VALU_DEP_3)
	v_fma_f64 v[16:17], v[16:17], v[12:13], -v[22:23]
	v_fma_f64 v[20:21], v[20:21], v[12:13], -v[24:25]
	s_delay_alu instid0(VALU_DEP_3) | instskip(NEXT) | instid1(VALU_DEP_3)
	v_fma_f64 v[12:13], v[30:31], v[12:13], -v[36:37]
	v_add_f64_e32 v[26:27], v[24:25], v[16:17]
	s_delay_alu instid0(VALU_DEP_1) | instskip(SKIP_1) | instid1(VALU_DEP_2)
	v_add_f64_e64 v[28:29], v[26:27], -v[24:25]
	v_add_f64_e32 v[34:35], v[22:23], v[26:27]
	v_add_f64_e64 v[32:33], v[26:27], -v[28:29]
	v_add_f64_e64 v[16:17], v[16:17], -v[28:29]
	s_delay_alu instid0(VALU_DEP_3) | instskip(NEXT) | instid1(VALU_DEP_3)
	v_ldexp_f64 v[28:29], v[34:35], -2
	v_add_f64_e64 v[24:25], v[24:25], -v[32:33]
	v_add_f64_e32 v[32:33], v[36:37], v[20:21]
	s_delay_alu instid0(VALU_DEP_3) | instskip(NEXT) | instid1(VALU_DEP_3)
	v_cmp_neq_f64_e64 s0, 0x7ff00000, |v[28:29]|
	v_add_f64_e32 v[16:17], v[16:17], v[24:25]
	v_fract_f64_e32 v[24:25], v[28:29]
	s_delay_alu instid0(VALU_DEP_1) | instskip(NEXT) | instid1(VALU_DEP_1)
	v_ldexp_f64 v[24:25], v[24:25], 2
	v_dual_add_f64 v[22:23], v[34:35], -v[22:23] :: v_dual_cndmask_b32 v25, 0, v25, s0
	s_delay_alu instid0(VALU_DEP_1) | instskip(SKIP_1) | instid1(VALU_DEP_1)
	v_dual_add_f64 v[22:23], v[26:27], -v[22:23] :: v_dual_cndmask_b32 v24, 0, v24, s0
	v_add_f64_e32 v[26:27], v[32:33], v[16:17]
	v_add_f64_e32 v[28:29], v[22:23], v[26:27]
	v_add_f64_e64 v[40:41], v[26:27], -v[32:33]
	s_delay_alu instid0(VALU_DEP_2) | instskip(NEXT) | instid1(VALU_DEP_2)
	v_add_f64_e32 v[34:35], v[28:29], v[24:25]
	v_add_f64_e64 v[46:47], v[26:27], -v[40:41]
	v_add_f64_e64 v[16:17], v[16:17], -v[40:41]
	;; [unrolled: 1-line block ×3, first 2 shown]
	s_delay_alu instid0(VALU_DEP_4) | instskip(SKIP_1) | instid1(VALU_DEP_3)
	v_cmp_gt_f64_e64 s0, 0, v[34:35]
	v_add_f64_e64 v[34:35], v[32:33], -v[36:37]
	v_add_f64_e64 v[22:23], v[26:27], -v[22:23]
	s_delay_alu instid0(VALU_DEP_3) | instskip(NEXT) | instid1(VALU_DEP_3)
	v_cndmask_b32_e64 v39, 0, 0x40100000, s0
	v_add_f64_e64 v[44:45], v[32:33], -v[34:35]
	v_add_f64_e64 v[20:21], v[20:21], -v[34:35]
	;; [unrolled: 1-line block ×3, first 2 shown]
	s_delay_alu instid0(VALU_DEP_4) | instskip(NEXT) | instid1(VALU_DEP_4)
	v_add_f64_e32 v[24:25], v[24:25], v[38:39]
	v_add_f64_e64 v[34:35], v[36:37], -v[44:45]
	s_delay_alu instid0(VALU_DEP_3) | instskip(NEXT) | instid1(VALU_DEP_3)
	v_add_f64_e32 v[16:17], v[16:17], v[32:33]
	v_add_f64_e32 v[42:43], v[28:29], v[24:25]
	s_delay_alu instid0(VALU_DEP_3) | instskip(NEXT) | instid1(VALU_DEP_2)
	v_add_f64_e32 v[20:21], v[20:21], v[34:35]
	v_cvt_i32_f64_e32 v19, v[42:43]
	s_delay_alu instid0(VALU_DEP_2) | instskip(NEXT) | instid1(VALU_DEP_2)
	v_add_f64_e32 v[16:17], v[20:21], v[16:17]
	v_cvt_f64_i32_e32 v[40:41], v19
	s_delay_alu instid0(VALU_DEP_2) | instskip(NEXT) | instid1(VALU_DEP_2)
	v_add_f64_e32 v[12:13], v[12:13], v[16:17]
	v_add_f64_e64 v[24:25], v[24:25], -v[40:41]
	s_delay_alu instid0(VALU_DEP_2) | instskip(NEXT) | instid1(VALU_DEP_2)
	v_add_f64_e32 v[12:13], v[22:23], v[12:13]
	v_add_f64_e32 v[20:21], v[28:29], v[24:25]
	s_delay_alu instid0(VALU_DEP_1) | instskip(SKIP_1) | instid1(VALU_DEP_2)
	v_add_f64_e64 v[16:17], v[20:21], -v[24:25]
	v_cmp_le_f64_e64 s0, 0.5, v[20:21]
	v_add_f64_e64 v[16:17], v[28:29], -v[16:17]
	s_delay_alu instid0(VALU_DEP_2) | instskip(SKIP_1) | instid1(VALU_DEP_3)
	v_cndmask_b32_e64 v39, 0, 0x3ff00000, s0
	v_add_co_ci_u32_e64 v19, null, 0, v19, s0
	v_add_f64_e32 v[12:13], v[12:13], v[16:17]
	s_delay_alu instid0(VALU_DEP_3) | instskip(NEXT) | instid1(VALU_DEP_1)
	v_add_f64_e64 v[16:17], v[20:21], -v[38:39]
	v_add_f64_e32 v[20:21], v[16:17], v[12:13]
	s_delay_alu instid0(VALU_DEP_1) | instskip(SKIP_1) | instid1(VALU_DEP_2)
	v_mul_f64_e32 v[22:23], 0x3ff921fb54442d18, v[20:21]
	v_add_f64_e64 v[16:17], v[20:21], -v[16:17]
	v_fma_f64 v[24:25], v[20:21], s[8:9], -v[22:23]
	s_delay_alu instid0(VALU_DEP_2) | instskip(NEXT) | instid1(VALU_DEP_2)
	v_add_f64_e64 v[12:13], v[12:13], -v[16:17]
	v_fmamk_f64 v[16:17], v[20:21], 0x3c91a62633145c07, v[24:25]
	s_delay_alu instid0(VALU_DEP_1) | instskip(NEXT) | instid1(VALU_DEP_1)
	v_fmac_f64_e32 v[16:17], 0x3ff921fb54442d18, v[12:13]
	v_add_f64_e32 v[12:13], v[22:23], v[16:17]
	s_delay_alu instid0(VALU_DEP_1) | instskip(NEXT) | instid1(VALU_DEP_1)
	v_add_f64_e64 v[20:21], v[12:13], -v[22:23]
	v_add_f64_e64 v[16:17], v[16:17], -v[20:21]
.LBB4_17:
	s_and_not1_saveexec_b32 s0, s6
	s_cbranch_execz .LBB4_19
; %bb.18:
	s_mov_b64 s[6:7], 0x3fe45f306dc9c883
	s_delay_alu instid0(SALU_CYCLE_1) | instskip(SKIP_1) | instid1(VALU_DEP_1)
	v_mul_f64_e64 v[12:13], |v[14:15]|, s[6:7]
	s_mov_b64 s[6:7], 0xbff921fb54442d18
	v_rndne_f64_e32 v[20:21], v[12:13]
	s_delay_alu instid0(VALU_DEP_1) | instskip(SKIP_2) | instid1(VALU_DEP_3)
	v_fma_f64 v[12:13], v[20:21], s[6:7], |v[14:15]|
	v_mul_f64_e32 v[16:17], 0xbc91a62633145c00, v[20:21]
	v_cvt_i32_f64_e32 v19, v[20:21]
	v_fmamk_f64 v[26:27], v[20:21], 0xbc91a62633145c00, v[12:13]
	s_delay_alu instid0(VALU_DEP_3) | instskip(NEXT) | instid1(VALU_DEP_1)
	v_add_f64_e32 v[22:23], v[12:13], v[16:17]
	v_add_f64_e64 v[24:25], v[12:13], -v[22:23]
	s_delay_alu instid0(VALU_DEP_3) | instskip(NEXT) | instid1(VALU_DEP_2)
	v_add_f64_e64 v[12:13], v[22:23], -v[26:27]
	v_add_f64_e32 v[22:23], v[24:25], v[16:17]
	v_fmamk_f64 v[16:17], v[20:21], 0x3c91a62633145c00, v[16:17]
	s_delay_alu instid0(VALU_DEP_2) | instskip(NEXT) | instid1(VALU_DEP_1)
	v_add_f64_e32 v[12:13], v[12:13], v[22:23]
	v_add_f64_e64 v[12:13], v[12:13], -v[16:17]
	s_delay_alu instid0(VALU_DEP_1) | instskip(NEXT) | instid1(VALU_DEP_1)
	v_fmamk_f64 v[16:17], v[20:21], 0xb97b839a252049c0, v[12:13]
	v_add_f64_e32 v[12:13], v[26:27], v[16:17]
	s_delay_alu instid0(VALU_DEP_1) | instskip(NEXT) | instid1(VALU_DEP_1)
	v_add_f64_e64 v[22:23], v[12:13], -v[26:27]
	v_add_f64_e64 v[16:17], v[16:17], -v[22:23]
.LBB4_19:
	s_or_b32 exec_lo, exec_lo, s0
	v_mul_f64_e32 v[20:21], v[12:13], v[12:13]
	s_delay_alu instid0(VALU_DEP_2) | instskip(SKIP_1) | instid1(VALU_DEP_2)
	v_mul_f64_e32 v[28:29], 0.5, v[16:17]
	s_mov_b64 s[6:7], 0x3de5e0b2f9a43bb8
	v_mul_f64_e32 v[22:23], 0.5, v[20:21]
	v_mul_f64_e64 v[30:31], v[12:13], -v[20:21]
	v_fmaak_f64 v[32:33], s[6:7], v[20:21], 0xbe5ae600b42fdfa7
	s_mov_b64 s[6:7], 0xbda907db46cc5e42
	s_delay_alu instid0(VALU_DEP_3) | instskip(NEXT) | instid1(VALU_DEP_1)
	v_add_f64_e64 v[24:25], -v[22:23], 1.0
	v_add_f64_e64 v[26:27], -v[24:25], 1.0
	s_delay_alu instid0(VALU_DEP_1) | instskip(NEXT) | instid1(VALU_DEP_4)
	v_add_f64_e64 v[22:23], v[26:27], -v[22:23]
	v_fmaak_f64 v[26:27], v[20:21], v[32:33], 0x3ec71de3796cde01
	v_mul_f64_e32 v[32:33], v[20:21], v[20:21]
	s_delay_alu instid0(VALU_DEP_2) | instskip(NEXT) | instid1(VALU_DEP_1)
	v_fmaak_f64 v[26:27], v[20:21], v[26:27], 0xbf2a01a019e83e5c
	v_fmaak_f64 v[26:27], v[20:21], v[26:27], 0x3f81111111110bb3
	s_delay_alu instid0(VALU_DEP_1) | instskip(SKIP_1) | instid1(VALU_DEP_1)
	v_fmac_f64_e32 v[28:29], v[30:31], v[26:27]
	v_fmaak_f64 v[26:27], s[6:7], v[20:21], 0x3e21eeb69037ab78
	v_fmaak_f64 v[26:27], v[20:21], v[26:27], 0xbe927e4fa17f65f6
	v_fma_f64 v[22:23], v[12:13], -v[16:17], v[22:23]
	s_delay_alu instid0(VALU_DEP_2) | instskip(NEXT) | instid1(VALU_DEP_1)
	v_fmaak_f64 v[26:27], v[20:21], v[26:27], 0x3efa01a019f4ec90
	v_fmaak_f64 v[26:27], v[20:21], v[26:27], 0xbf56c16c16c16967
	v_fma_f64 v[16:17], v[20:21], v[28:29], -v[16:17]
	s_delay_alu instid0(VALU_DEP_2) | instskip(NEXT) | instid1(VALU_DEP_1)
	v_fmaak_f64 v[20:21], v[20:21], v[26:27], 0x3fa5555555555555
	v_fmac_f64_e32 v[22:23], v[32:33], v[20:21]
	v_dual_lshlrev_b32 v19, 30, v19 :: v_dual_bitop2_b32 v20, 1, v19 bitop3:0x40
	s_delay_alu instid0(VALU_DEP_1) | instskip(NEXT) | instid1(VALU_DEP_2)
	v_cmp_eq_u32_e64 s0, 0, v20
	v_xor_b32_e32 v19, v19, v15
	v_fmamk_f64 v[16:17], v[30:31], 0xbfc5555555555555, v[16:17]
	s_delay_alu instid0(VALU_DEP_1) | instskip(SKIP_1) | instid1(VALU_DEP_1)
	v_add_f64_e64 v[12:13], v[12:13], -v[16:17]
	v_add_f64_e32 v[16:17], v[24:25], v[22:23]
	v_dual_cndmask_b32 v12, v16, v12, s0 :: v_dual_cndmask_b32 v13, v17, v13, s0
	v_cmp_class_f64_e64 s0, v[14:15], 0x1f8
	s_delay_alu instid0(VALU_DEP_2) | instskip(NEXT) | instid1(VALU_DEP_1)
	v_bitop3_b32 v13, v13, v19, 0x80000000 bitop3:0x78
	v_cndmask_b32_e64 v13, 0x7ff80000, v13, s0
	s_delay_alu instid0(VALU_DEP_4)
	v_cndmask_b32_e64 v12, 0, v12, s0
.LBB4_20:
	s_or_b32 exec_lo, exec_lo, s1
	s_wait_loadcnt 0x0
	v_or_b32_e32 v14, 0x200, v0
	s_mov_b32 s1, exec_lo
	s_delay_alu instid0(VALU_DEP_1)
	v_cmpx_gt_i32_e64 s3, v14
	s_cbranch_execz .LBB4_26
; %bb.21:
	s_mov_b32 s6, exec_lo
                                        ; implicit-def: $vgpr16
                                        ; implicit-def: $vgpr10_vgpr11
                                        ; implicit-def: $vgpr14_vgpr15
	v_cmpx_ngt_f64_e64 0x41d00000, |v[6:7]|
	s_xor_b32 s6, exec_lo, s6
	s_cbranch_execz .LBB4_23
; %bb.22:
	v_ldexp_f64 v[10:11], |v[6:7]|, 0xffffff80
	v_cmp_le_f64_e64 s0, 0x7b000000, |v[6:7]|
	v_trig_preop_f64 v[14:15], |v[6:7]|, 0
	v_and_b32_e32 v16, 0x7fffffff, v7
	v_trig_preop_f64 v[28:29], |v[6:7]|, 2
	s_mov_b64 s[8:9], 0x3ff921fb54442d18
	s_delay_alu instid0(VALU_DEP_2) | instskip(SKIP_2) | instid1(VALU_DEP_2)
	v_dual_mov_b32 v36, 0 :: v_dual_cndmask_b32 v11, v16, v11, s0
	v_cndmask_b32_e64 v10, v6, v10, s0
	v_trig_preop_f64 v[16:17], |v[6:7]|, 1
	v_mul_f64_e32 v[20:21], v[14:15], v[10:11]
	v_mul_f64_e32 v[34:35], v[28:29], v[10:11]
	s_delay_alu instid0(VALU_DEP_3) | instskip(NEXT) | instid1(VALU_DEP_3)
	v_mul_f64_e32 v[22:23], v[16:17], v[10:11]
	v_fma_f64 v[14:15], v[14:15], v[10:11], -v[20:21]
	s_delay_alu instid0(VALU_DEP_2) | instskip(NEXT) | instid1(VALU_DEP_4)
	v_fma_f64 v[16:17], v[16:17], v[10:11], -v[22:23]
	v_fma_f64 v[10:11], v[28:29], v[10:11], -v[34:35]
	s_delay_alu instid0(VALU_DEP_3) | instskip(NEXT) | instid1(VALU_DEP_1)
	v_add_f64_e32 v[24:25], v[22:23], v[14:15]
	v_add_f64_e64 v[26:27], v[24:25], -v[22:23]
	v_add_f64_e32 v[32:33], v[20:21], v[24:25]
	s_delay_alu instid0(VALU_DEP_2) | instskip(SKIP_1) | instid1(VALU_DEP_3)
	v_add_f64_e64 v[30:31], v[24:25], -v[26:27]
	v_add_f64_e64 v[14:15], v[14:15], -v[26:27]
	v_ldexp_f64 v[26:27], v[32:33], -2
	s_delay_alu instid0(VALU_DEP_3) | instskip(NEXT) | instid1(VALU_DEP_2)
	v_add_f64_e64 v[22:23], v[22:23], -v[30:31]
	v_cmp_neq_f64_e64 s0, 0x7ff00000, |v[26:27]|
	s_delay_alu instid0(VALU_DEP_2) | instskip(SKIP_1) | instid1(VALU_DEP_1)
	v_add_f64_e32 v[14:15], v[14:15], v[22:23]
	v_fract_f64_e32 v[22:23], v[26:27]
	v_ldexp_f64 v[22:23], v[22:23], 2
	s_delay_alu instid0(VALU_DEP_1) | instskip(NEXT) | instid1(VALU_DEP_2)
	v_dual_add_f64 v[30:31], v[34:35], v[16:17] :: v_dual_cndmask_b32 v22, 0, v22, s0
	v_dual_add_f64 v[20:21], v[32:33], -v[20:21] :: v_dual_cndmask_b32 v23, 0, v23, s0
	s_delay_alu instid0(VALU_DEP_1) | instskip(NEXT) | instid1(VALU_DEP_3)
	v_add_f64_e64 v[20:21], v[24:25], -v[20:21]
	v_add_f64_e32 v[24:25], v[30:31], v[14:15]
	s_delay_alu instid0(VALU_DEP_1) | instskip(SKIP_1) | instid1(VALU_DEP_2)
	v_add_f64_e32 v[26:27], v[20:21], v[24:25]
	v_add_f64_e64 v[38:39], v[24:25], -v[30:31]
	v_add_f64_e32 v[32:33], v[26:27], v[22:23]
	s_delay_alu instid0(VALU_DEP_2) | instskip(SKIP_2) | instid1(VALU_DEP_4)
	v_add_f64_e64 v[44:45], v[24:25], -v[38:39]
	v_add_f64_e64 v[14:15], v[14:15], -v[38:39]
	;; [unrolled: 1-line block ×3, first 2 shown]
	v_cmp_gt_f64_e64 s0, 0, v[32:33]
	v_add_f64_e64 v[32:33], v[30:31], -v[34:35]
	s_delay_alu instid0(VALU_DEP_2) | instskip(NEXT) | instid1(VALU_DEP_2)
	v_cndmask_b32_e64 v37, 0, 0x40100000, s0
	v_add_f64_e64 v[42:43], v[30:31], -v[32:33]
	v_add_f64_e64 v[16:17], v[16:17], -v[32:33]
	v_add_f64_e64 v[30:31], v[30:31], -v[44:45]
	s_delay_alu instid0(VALU_DEP_4) | instskip(NEXT) | instid1(VALU_DEP_4)
	v_add_f64_e32 v[22:23], v[22:23], v[36:37]
	v_add_f64_e64 v[32:33], v[34:35], -v[42:43]
	s_delay_alu instid0(VALU_DEP_3) | instskip(NEXT) | instid1(VALU_DEP_3)
	v_add_f64_e32 v[14:15], v[14:15], v[30:31]
	v_add_f64_e32 v[40:41], v[26:27], v[22:23]
	s_delay_alu instid0(VALU_DEP_3) | instskip(NEXT) | instid1(VALU_DEP_2)
	v_add_f64_e32 v[16:17], v[16:17], v[32:33]
	v_cvt_i32_f64_e32 v19, v[40:41]
	s_delay_alu instid0(VALU_DEP_2) | instskip(SKIP_1) | instid1(VALU_DEP_3)
	v_add_f64_e32 v[14:15], v[16:17], v[14:15]
	v_add_f64_e64 v[16:17], v[24:25], -v[20:21]
	v_cvt_f64_i32_e32 v[38:39], v19
	s_delay_alu instid0(VALU_DEP_3) | instskip(NEXT) | instid1(VALU_DEP_2)
	v_add_f64_e32 v[10:11], v[10:11], v[14:15]
	v_add_f64_e64 v[22:23], v[22:23], -v[38:39]
	s_delay_alu instid0(VALU_DEP_2) | instskip(NEXT) | instid1(VALU_DEP_2)
	v_add_f64_e32 v[10:11], v[16:17], v[10:11]
	v_add_f64_e32 v[28:29], v[26:27], v[22:23]
	s_delay_alu instid0(VALU_DEP_1) | instskip(SKIP_1) | instid1(VALU_DEP_2)
	v_add_f64_e64 v[14:15], v[28:29], -v[22:23]
	v_cmp_le_f64_e64 s0, 0.5, v[28:29]
	v_add_f64_e64 v[14:15], v[26:27], -v[14:15]
	s_delay_alu instid0(VALU_DEP_2) | instskip(SKIP_1) | instid1(VALU_DEP_3)
	v_cndmask_b32_e64 v37, 0, 0x3ff00000, s0
	v_add_co_ci_u32_e64 v16, null, 0, v19, s0
	v_add_f64_e32 v[10:11], v[10:11], v[14:15]
	s_delay_alu instid0(VALU_DEP_3) | instskip(NEXT) | instid1(VALU_DEP_1)
	v_add_f64_e64 v[14:15], v[28:29], -v[36:37]
	v_add_f64_e32 v[20:21], v[14:15], v[10:11]
	s_delay_alu instid0(VALU_DEP_1) | instskip(SKIP_1) | instid1(VALU_DEP_2)
	v_mul_f64_e32 v[22:23], 0x3ff921fb54442d18, v[20:21]
	v_add_f64_e64 v[14:15], v[20:21], -v[14:15]
	v_fma_f64 v[24:25], v[20:21], s[8:9], -v[22:23]
	s_delay_alu instid0(VALU_DEP_2) | instskip(NEXT) | instid1(VALU_DEP_2)
	v_add_f64_e64 v[10:11], v[10:11], -v[14:15]
	v_fmamk_f64 v[14:15], v[20:21], 0x3c91a62633145c07, v[24:25]
	s_delay_alu instid0(VALU_DEP_1) | instskip(NEXT) | instid1(VALU_DEP_1)
	v_fmac_f64_e32 v[14:15], 0x3ff921fb54442d18, v[10:11]
	v_add_f64_e32 v[10:11], v[22:23], v[14:15]
	s_delay_alu instid0(VALU_DEP_1) | instskip(NEXT) | instid1(VALU_DEP_1)
	v_add_f64_e64 v[20:21], v[10:11], -v[22:23]
	v_add_f64_e64 v[14:15], v[14:15], -v[20:21]
.LBB4_23:
	s_and_not1_saveexec_b32 s0, s6
	s_cbranch_execz .LBB4_25
; %bb.24:
	s_mov_b64 s[6:7], 0x3fe45f306dc9c883
	s_delay_alu instid0(SALU_CYCLE_1) | instskip(SKIP_1) | instid1(VALU_DEP_1)
	v_mul_f64_e64 v[10:11], |v[6:7]|, s[6:7]
	s_mov_b64 s[6:7], 0xbff921fb54442d18
	v_rndne_f64_e32 v[16:17], v[10:11]
	s_delay_alu instid0(VALU_DEP_1) | instskip(SKIP_1) | instid1(VALU_DEP_2)
	v_fma_f64 v[10:11], v[16:17], s[6:7], |v[6:7]|
	v_mul_f64_e32 v[14:15], 0xbc91a62633145c00, v[16:17]
	v_fmamk_f64 v[24:25], v[16:17], 0xbc91a62633145c00, v[10:11]
	s_delay_alu instid0(VALU_DEP_2) | instskip(NEXT) | instid1(VALU_DEP_1)
	v_add_f64_e32 v[20:21], v[10:11], v[14:15]
	v_add_f64_e64 v[22:23], v[10:11], -v[20:21]
	s_delay_alu instid0(VALU_DEP_3) | instskip(NEXT) | instid1(VALU_DEP_2)
	v_add_f64_e64 v[10:11], v[20:21], -v[24:25]
	v_add_f64_e32 v[20:21], v[22:23], v[14:15]
	v_fmamk_f64 v[14:15], v[16:17], 0x3c91a62633145c00, v[14:15]
	s_delay_alu instid0(VALU_DEP_2) | instskip(NEXT) | instid1(VALU_DEP_1)
	v_add_f64_e32 v[10:11], v[10:11], v[20:21]
	v_add_f64_e64 v[10:11], v[10:11], -v[14:15]
	s_delay_alu instid0(VALU_DEP_1) | instskip(SKIP_1) | instid1(VALU_DEP_2)
	v_fmamk_f64 v[14:15], v[16:17], 0xb97b839a252049c0, v[10:11]
	v_cvt_i32_f64_e32 v16, v[16:17]
	v_add_f64_e32 v[10:11], v[24:25], v[14:15]
	s_delay_alu instid0(VALU_DEP_1) | instskip(NEXT) | instid1(VALU_DEP_1)
	v_add_f64_e64 v[20:21], v[10:11], -v[24:25]
	v_add_f64_e64 v[14:15], v[14:15], -v[20:21]
.LBB4_25:
	s_or_b32 exec_lo, exec_lo, s0
	s_delay_alu instid0(VALU_DEP_4) | instskip(NEXT) | instid1(VALU_DEP_2)
	v_dual_mul_f64 v[20:21], v[10:11], v[10:11] :: v_dual_bitop2_b32 v17, 1, v16 bitop3:0x40
	v_dual_mul_f64 v[28:29], 0.5, v[14:15] :: v_dual_lshlrev_b32 v16, 30, v16
	s_mov_b64 s[6:7], 0x3de5e0b2f9a43bb8
	s_delay_alu instid0(VALU_DEP_2) | instskip(NEXT) | instid1(VALU_DEP_2)
	v_cmp_eq_u32_e64 s0, 0, v17
	v_dual_mul_f64 v[22:23], 0.5, v[20:21] :: v_dual_bitop2_b32 v16, v16, v7 bitop3:0x14
	v_mul_f64_e64 v[30:31], v[10:11], -v[20:21]
	v_fmaak_f64 v[32:33], s[6:7], v[20:21], 0xbe5ae600b42fdfa7
	s_mov_b64 s[6:7], 0xbda907db46cc5e42
	s_delay_alu instid0(VALU_DEP_3) | instskip(NEXT) | instid1(VALU_DEP_1)
	v_add_f64_e64 v[24:25], -v[22:23], 1.0
	v_add_f64_e64 v[26:27], -v[24:25], 1.0
	s_delay_alu instid0(VALU_DEP_1) | instskip(NEXT) | instid1(VALU_DEP_4)
	v_add_f64_e64 v[22:23], v[26:27], -v[22:23]
	v_fmaak_f64 v[26:27], v[20:21], v[32:33], 0x3ec71de3796cde01
	s_delay_alu instid0(VALU_DEP_1) | instskip(NEXT) | instid1(VALU_DEP_1)
	v_fmaak_f64 v[26:27], v[20:21], v[26:27], 0xbf2a01a019e83e5c
	v_fmaak_f64 v[26:27], v[20:21], v[26:27], 0x3f81111111110bb3
	s_delay_alu instid0(VALU_DEP_1) | instskip(SKIP_1) | instid1(VALU_DEP_1)
	v_fmac_f64_e32 v[28:29], v[30:31], v[26:27]
	v_fmaak_f64 v[26:27], s[6:7], v[20:21], 0x3e21eeb69037ab78
	v_fmaak_f64 v[26:27], v[20:21], v[26:27], 0xbe927e4fa17f65f6
	v_fma_f64 v[22:23], v[10:11], -v[14:15], v[22:23]
	s_delay_alu instid0(VALU_DEP_2) | instskip(NEXT) | instid1(VALU_DEP_1)
	v_fmaak_f64 v[26:27], v[20:21], v[26:27], 0x3efa01a019f4ec90
	v_fmaak_f64 v[26:27], v[20:21], v[26:27], 0xbf56c16c16c16967
	v_fma_f64 v[14:15], v[20:21], v[28:29], -v[14:15]
	s_delay_alu instid0(VALU_DEP_1) | instskip(NEXT) | instid1(VALU_DEP_1)
	v_fmamk_f64 v[14:15], v[30:31], 0xbfc5555555555555, v[14:15]
	v_add_f64_e64 v[10:11], v[10:11], -v[14:15]
	v_mul_f64_e32 v[32:33], v[20:21], v[20:21]
	v_fmaak_f64 v[20:21], v[20:21], v[26:27], 0x3fa5555555555555
	s_delay_alu instid0(VALU_DEP_1) | instskip(NEXT) | instid1(VALU_DEP_1)
	v_fmac_f64_e32 v[22:23], v[32:33], v[20:21]
	v_add_f64_e32 v[14:15], v[24:25], v[22:23]
	s_delay_alu instid0(VALU_DEP_1) | instskip(SKIP_1) | instid1(VALU_DEP_2)
	v_dual_cndmask_b32 v10, v14, v10, s0 :: v_dual_cndmask_b32 v11, v15, v11, s0
	v_cmp_class_f64_e64 s0, v[6:7], 0x1f8
	v_bitop3_b32 v11, v11, v16, 0x80000000 bitop3:0x78
	s_delay_alu instid0(VALU_DEP_1) | instskip(NEXT) | instid1(VALU_DEP_4)
	v_cndmask_b32_e64 v11, 0x7ff80000, v11, s0
	v_cndmask_b32_e64 v10, 0, v10, s0
.LBB4_26:
	s_or_b32 exec_lo, exec_lo, s1
	v_or_b32_e32 v6, 0x300, v0
	s_mov_b32 s1, exec_lo
	s_delay_alu instid0(VALU_DEP_1)
	v_cmpx_gt_i32_e64 s3, v6
	s_cbranch_execnz .LBB4_32
; %bb.27:
	s_or_b32 exec_lo, exec_lo, s1
	s_and_saveexec_b32 s0, vcc_lo
	s_delay_alu instid0(SALU_CYCLE_1)
	s_xor_b32 s0, exec_lo, s0
	s_cbranch_execnz .LBB4_37
.LBB4_28:
	s_or_b32 exec_lo, exec_lo, s0
	s_delay_alu instid0(SALU_CYCLE_1)
	s_mov_b32 s0, exec_lo
	v_cmpx_gt_i32_e64 s3, v0
	s_cbranch_execnz .LBB4_38
.LBB4_29:
	s_or_b32 exec_lo, exec_lo, s0
	s_delay_alu instid0(SALU_CYCLE_1)
	s_mov_b32 s0, exec_lo
	v_cmpx_gt_i32_e64 s3, v0
	s_cbranch_execnz .LBB4_39
.LBB4_30:
	s_or_b32 exec_lo, exec_lo, s0
	s_delay_alu instid0(SALU_CYCLE_1)
	s_mov_b32 s0, exec_lo
	v_cmpx_gt_i32_e64 s3, v0
	s_cbranch_execnz .LBB4_40
.LBB4_31:
	s_endpgm
.LBB4_32:
	s_mov_b32 s6, exec_lo
                                        ; implicit-def: $vgpr14
                                        ; implicit-def: $vgpr6_vgpr7
                                        ; implicit-def: $vgpr8_vgpr9
	v_cmpx_ngt_f64_e64 0x41d00000, |v[2:3]|
	s_xor_b32 s6, exec_lo, s6
	s_cbranch_execz .LBB4_34
; %bb.33:
	v_ldexp_f64 v[6:7], |v[2:3]|, 0xffffff80
	v_cmp_le_f64_e64 s0, 0x7b000000, |v[2:3]|
	v_trig_preop_f64 v[8:9], |v[2:3]|, 0
	v_and_b32_e32 v14, 0x7fffffff, v3
	v_trig_preop_f64 v[26:27], |v[2:3]|, 2
	s_mov_b64 s[8:9], 0x3ff921fb54442d18
	s_delay_alu instid0(VALU_DEP_2) | instskip(SKIP_2) | instid1(VALU_DEP_2)
	v_dual_mov_b32 v34, 0 :: v_dual_cndmask_b32 v7, v14, v7, s0
	v_cndmask_b32_e64 v6, v2, v6, s0
	v_trig_preop_f64 v[14:15], |v[2:3]|, 1
	v_mul_f64_e32 v[16:17], v[8:9], v[6:7]
	s_delay_alu instid0(VALU_DEP_2) | instskip(NEXT) | instid1(VALU_DEP_2)
	v_mul_f64_e32 v[20:21], v[14:15], v[6:7]
	v_fma_f64 v[8:9], v[8:9], v[6:7], -v[16:17]
	s_delay_alu instid0(VALU_DEP_1) | instskip(NEXT) | instid1(VALU_DEP_1)
	v_add_f64_e32 v[22:23], v[20:21], v[8:9]
	v_add_f64_e64 v[24:25], v[22:23], -v[20:21]
	v_add_f64_e32 v[30:31], v[16:17], v[22:23]
	s_delay_alu instid0(VALU_DEP_2) | instskip(SKIP_2) | instid1(VALU_DEP_4)
	v_add_f64_e64 v[28:29], v[22:23], -v[24:25]
	v_add_f64_e64 v[8:9], v[8:9], -v[24:25]
	v_fma_f64 v[14:15], v[14:15], v[6:7], -v[20:21]
	v_ldexp_f64 v[24:25], v[30:31], -2
	v_mul_f64_e32 v[32:33], v[26:27], v[6:7]
	v_add_f64_e64 v[20:21], v[20:21], -v[28:29]
	s_delay_alu instid0(VALU_DEP_3) | instskip(NEXT) | instid1(VALU_DEP_3)
	v_cmp_neq_f64_e64 s0, 0x7ff00000, |v[24:25]|
	v_add_f64_e32 v[28:29], v[32:33], v[14:15]
	v_fma_f64 v[6:7], v[26:27], v[6:7], -v[32:33]
	s_delay_alu instid0(VALU_DEP_4) | instskip(SKIP_1) | instid1(VALU_DEP_1)
	v_add_f64_e32 v[8:9], v[8:9], v[20:21]
	v_fract_f64_e32 v[20:21], v[24:25]
	v_ldexp_f64 v[20:21], v[20:21], 2
	s_delay_alu instid0(VALU_DEP_1) | instskip(SKIP_1) | instid1(VALU_DEP_3)
	v_cndmask_b32_e64 v21, 0, v21, s0
	v_add_f64_e64 v[16:17], v[30:31], -v[16:17]
	v_cndmask_b32_e64 v20, 0, v20, s0
	s_delay_alu instid0(VALU_DEP_2) | instskip(SKIP_1) | instid1(VALU_DEP_1)
	v_add_f64_e64 v[16:17], v[22:23], -v[16:17]
	v_add_f64_e32 v[22:23], v[28:29], v[8:9]
	v_add_f64_e32 v[24:25], v[16:17], v[22:23]
	v_add_f64_e64 v[36:37], v[22:23], -v[28:29]
	s_delay_alu instid0(VALU_DEP_2) | instskip(NEXT) | instid1(VALU_DEP_2)
	v_add_f64_e32 v[30:31], v[24:25], v[20:21]
	v_add_f64_e64 v[42:43], v[22:23], -v[36:37]
	v_add_f64_e64 v[8:9], v[8:9], -v[36:37]
	;; [unrolled: 1-line block ×3, first 2 shown]
	s_delay_alu instid0(VALU_DEP_4) | instskip(SKIP_1) | instid1(VALU_DEP_2)
	v_cmp_gt_f64_e64 s0, 0, v[30:31]
	v_add_f64_e64 v[30:31], v[28:29], -v[32:33]
	v_cndmask_b32_e64 v35, 0, 0x40100000, s0
	s_delay_alu instid0(VALU_DEP_2) | instskip(SKIP_2) | instid1(VALU_DEP_4)
	v_add_f64_e64 v[40:41], v[28:29], -v[30:31]
	v_add_f64_e64 v[14:15], v[14:15], -v[30:31]
	;; [unrolled: 1-line block ×3, first 2 shown]
	v_add_f64_e32 v[20:21], v[20:21], v[34:35]
	s_delay_alu instid0(VALU_DEP_4) | instskip(NEXT) | instid1(VALU_DEP_3)
	v_add_f64_e64 v[30:31], v[32:33], -v[40:41]
	v_add_f64_e32 v[8:9], v[8:9], v[28:29]
	s_delay_alu instid0(VALU_DEP_3) | instskip(NEXT) | instid1(VALU_DEP_3)
	v_add_f64_e32 v[38:39], v[24:25], v[20:21]
	v_add_f64_e32 v[14:15], v[14:15], v[30:31]
	s_delay_alu instid0(VALU_DEP_2) | instskip(NEXT) | instid1(VALU_DEP_2)
	v_cvt_i32_f64_e32 v19, v[38:39]
	v_add_f64_e32 v[8:9], v[14:15], v[8:9]
	v_add_f64_e64 v[14:15], v[22:23], -v[16:17]
	s_delay_alu instid0(VALU_DEP_3) | instskip(NEXT) | instid1(VALU_DEP_3)
	v_cvt_f64_i32_e32 v[36:37], v19
	v_add_f64_e32 v[6:7], v[6:7], v[8:9]
	s_delay_alu instid0(VALU_DEP_2) | instskip(NEXT) | instid1(VALU_DEP_2)
	v_add_f64_e64 v[20:21], v[20:21], -v[36:37]
	v_add_f64_e32 v[6:7], v[14:15], v[6:7]
	s_delay_alu instid0(VALU_DEP_2) | instskip(NEXT) | instid1(VALU_DEP_1)
	v_add_f64_e32 v[26:27], v[24:25], v[20:21]
	v_add_f64_e64 v[8:9], v[26:27], -v[20:21]
	v_cmp_le_f64_e64 s0, 0.5, v[26:27]
	s_delay_alu instid0(VALU_DEP_2) | instskip(NEXT) | instid1(VALU_DEP_2)
	v_add_f64_e64 v[8:9], v[24:25], -v[8:9]
	v_cndmask_b32_e64 v35, 0, 0x3ff00000, s0
	v_add_co_ci_u32_e64 v14, null, 0, v19, s0
	s_delay_alu instid0(VALU_DEP_3) | instskip(NEXT) | instid1(VALU_DEP_3)
	v_add_f64_e32 v[6:7], v[6:7], v[8:9]
	v_add_f64_e64 v[8:9], v[26:27], -v[34:35]
	s_delay_alu instid0(VALU_DEP_1) | instskip(NEXT) | instid1(VALU_DEP_1)
	v_add_f64_e32 v[16:17], v[8:9], v[6:7]
	v_mul_f64_e32 v[20:21], 0x3ff921fb54442d18, v[16:17]
	v_add_f64_e64 v[8:9], v[16:17], -v[8:9]
	s_delay_alu instid0(VALU_DEP_2) | instskip(NEXT) | instid1(VALU_DEP_2)
	v_fma_f64 v[22:23], v[16:17], s[8:9], -v[20:21]
	v_add_f64_e64 v[6:7], v[6:7], -v[8:9]
	s_delay_alu instid0(VALU_DEP_2) | instskip(NEXT) | instid1(VALU_DEP_1)
	v_fmamk_f64 v[8:9], v[16:17], 0x3c91a62633145c07, v[22:23]
	v_fmac_f64_e32 v[8:9], 0x3ff921fb54442d18, v[6:7]
	s_delay_alu instid0(VALU_DEP_1) | instskip(NEXT) | instid1(VALU_DEP_1)
	v_add_f64_e32 v[6:7], v[20:21], v[8:9]
	v_add_f64_e64 v[16:17], v[6:7], -v[20:21]
	s_delay_alu instid0(VALU_DEP_1)
	v_add_f64_e64 v[8:9], v[8:9], -v[16:17]
.LBB4_34:
	s_and_not1_saveexec_b32 s0, s6
	s_cbranch_execz .LBB4_36
; %bb.35:
	s_mov_b64 s[6:7], 0x3fe45f306dc9c883
	s_delay_alu instid0(SALU_CYCLE_1) | instskip(SKIP_1) | instid1(VALU_DEP_1)
	v_mul_f64_e64 v[6:7], |v[2:3]|, s[6:7]
	s_mov_b64 s[6:7], 0xbff921fb54442d18
	v_rndne_f64_e32 v[14:15], v[6:7]
	s_delay_alu instid0(VALU_DEP_1) | instskip(SKIP_1) | instid1(VALU_DEP_2)
	v_fma_f64 v[6:7], v[14:15], s[6:7], |v[2:3]|
	v_mul_f64_e32 v[8:9], 0xbc91a62633145c00, v[14:15]
	v_fmamk_f64 v[22:23], v[14:15], 0xbc91a62633145c00, v[6:7]
	s_delay_alu instid0(VALU_DEP_2) | instskip(NEXT) | instid1(VALU_DEP_1)
	v_add_f64_e32 v[16:17], v[6:7], v[8:9]
	v_add_f64_e64 v[20:21], v[6:7], -v[16:17]
	s_delay_alu instid0(VALU_DEP_3) | instskip(NEXT) | instid1(VALU_DEP_2)
	v_add_f64_e64 v[6:7], v[16:17], -v[22:23]
	v_add_f64_e32 v[16:17], v[20:21], v[8:9]
	v_fmamk_f64 v[8:9], v[14:15], 0x3c91a62633145c00, v[8:9]
	s_delay_alu instid0(VALU_DEP_2) | instskip(NEXT) | instid1(VALU_DEP_1)
	v_add_f64_e32 v[6:7], v[6:7], v[16:17]
	v_add_f64_e64 v[6:7], v[6:7], -v[8:9]
	s_delay_alu instid0(VALU_DEP_1) | instskip(SKIP_1) | instid1(VALU_DEP_2)
	v_fmamk_f64 v[8:9], v[14:15], 0xb97b839a252049c0, v[6:7]
	v_cvt_i32_f64_e32 v14, v[14:15]
	v_add_f64_e32 v[6:7], v[22:23], v[8:9]
	s_delay_alu instid0(VALU_DEP_1) | instskip(NEXT) | instid1(VALU_DEP_1)
	v_add_f64_e64 v[16:17], v[6:7], -v[22:23]
	v_add_f64_e64 v[8:9], v[8:9], -v[16:17]
.LBB4_36:
	s_or_b32 exec_lo, exec_lo, s0
	v_mul_f64_e32 v[16:17], v[6:7], v[6:7]
	s_delay_alu instid0(VALU_DEP_2) | instskip(SKIP_2) | instid1(VALU_DEP_1)
	v_mul_f64_e32 v[26:27], 0.5, v[8:9]
	s_mov_b64 s[6:7], 0x3de5e0b2f9a43bb8
	v_dual_lshlrev_b32 v14, 30, v14 :: v_dual_bitop2_b32 v15, 1, v14 bitop3:0x40
	v_cmp_eq_u32_e64 s0, 0, v15
	s_delay_alu instid0(VALU_DEP_2) | instskip(SKIP_3) | instid1(VALU_DEP_3)
	v_dual_mul_f64 v[20:21], 0.5, v[16:17] :: v_dual_bitop2_b32 v14, v14, v3 bitop3:0x14
	v_mul_f64_e64 v[28:29], v[6:7], -v[16:17]
	v_fmaak_f64 v[30:31], s[6:7], v[16:17], 0xbe5ae600b42fdfa7
	s_mov_b64 s[6:7], 0xbda907db46cc5e42
	v_add_f64_e64 v[22:23], -v[20:21], 1.0
	s_delay_alu instid0(VALU_DEP_1) | instskip(NEXT) | instid1(VALU_DEP_1)
	v_add_f64_e64 v[24:25], -v[22:23], 1.0
	v_add_f64_e64 v[20:21], v[24:25], -v[20:21]
	s_delay_alu instid0(VALU_DEP_4) | instskip(SKIP_1) | instid1(VALU_DEP_2)
	v_fmaak_f64 v[24:25], v[16:17], v[30:31], 0x3ec71de3796cde01
	v_mul_f64_e32 v[30:31], v[16:17], v[16:17]
	v_fmaak_f64 v[24:25], v[16:17], v[24:25], 0xbf2a01a019e83e5c
	s_delay_alu instid0(VALU_DEP_1) | instskip(NEXT) | instid1(VALU_DEP_1)
	v_fmaak_f64 v[24:25], v[16:17], v[24:25], 0x3f81111111110bb3
	v_fmac_f64_e32 v[26:27], v[28:29], v[24:25]
	v_fmaak_f64 v[24:25], s[6:7], v[16:17], 0x3e21eeb69037ab78
	s_delay_alu instid0(VALU_DEP_1) | instskip(SKIP_1) | instid1(VALU_DEP_2)
	v_fmaak_f64 v[24:25], v[16:17], v[24:25], 0xbe927e4fa17f65f6
	v_fma_f64 v[20:21], v[6:7], -v[8:9], v[20:21]
	v_fmaak_f64 v[24:25], v[16:17], v[24:25], 0x3efa01a019f4ec90
	s_delay_alu instid0(VALU_DEP_1) | instskip(SKIP_1) | instid1(VALU_DEP_2)
	v_fmaak_f64 v[24:25], v[16:17], v[24:25], 0xbf56c16c16c16967
	v_fma_f64 v[8:9], v[16:17], v[26:27], -v[8:9]
	v_fmaak_f64 v[16:17], v[16:17], v[24:25], 0x3fa5555555555555
	s_delay_alu instid0(VALU_DEP_1) | instskip(NEXT) | instid1(VALU_DEP_3)
	v_fmac_f64_e32 v[20:21], v[30:31], v[16:17]
	v_fmamk_f64 v[8:9], v[28:29], 0xbfc5555555555555, v[8:9]
	s_delay_alu instid0(VALU_DEP_1) | instskip(NEXT) | instid1(VALU_DEP_3)
	v_add_f64_e64 v[6:7], v[6:7], -v[8:9]
	v_add_f64_e32 v[8:9], v[22:23], v[20:21]
	s_delay_alu instid0(VALU_DEP_1) | instskip(SKIP_1) | instid1(VALU_DEP_2)
	v_dual_cndmask_b32 v6, v8, v6, s0 :: v_dual_cndmask_b32 v7, v9, v7, s0
	v_cmp_class_f64_e64 s0, v[2:3], 0x1f8
	v_bitop3_b32 v7, v7, v14, 0x80000000 bitop3:0x78
	s_delay_alu instid0(VALU_DEP_1) | instskip(NEXT) | instid1(VALU_DEP_4)
	v_cndmask_b32_e64 v9, 0x7ff80000, v7, s0
	v_cndmask_b32_e64 v8, 0, v6, s0
	s_or_b32 exec_lo, exec_lo, s1
	s_and_saveexec_b32 s0, vcc_lo
	s_delay_alu instid0(SALU_CYCLE_1)
	s_xor_b32 s0, exec_lo, s0
	s_cbranch_execz .LBB4_28
.LBB4_37:
	v_mov_b32_e32 v0, v1
	global_store_b64 v18, v[4:5], s[4:5] scale_offset
	s_wait_xcnt 0x0
	s_or_b32 exec_lo, exec_lo, s0
	s_delay_alu instid0(SALU_CYCLE_1)
	s_mov_b32 s0, exec_lo
	v_cmpx_gt_i32_e64 s3, v0
	s_cbranch_execz .LBB4_29
.LBB4_38:
	v_add_nc_u32_e32 v1, 0x100, v0
	s_delay_alu instid0(VALU_DEP_1) | instskip(SKIP_3) | instid1(SALU_CYCLE_1)
	v_dual_add_nc_u32 v2, s2, v0 :: v_dual_mov_b32 v0, v1
	global_store_b64 v2, v[12:13], s[4:5] scale_offset
	s_wait_xcnt 0x0
	s_or_b32 exec_lo, exec_lo, s0
	s_mov_b32 s0, exec_lo
	v_cmpx_gt_i32_e64 s3, v0
	s_cbranch_execz .LBB4_30
.LBB4_39:
	v_add_nc_u32_e32 v1, 0x100, v0
	s_delay_alu instid0(VALU_DEP_1) | instskip(SKIP_3) | instid1(SALU_CYCLE_1)
	v_dual_add_nc_u32 v2, s2, v0 :: v_dual_mov_b32 v0, v1
	global_store_b64 v2, v[10:11], s[4:5] scale_offset
	s_wait_xcnt 0x0
	s_or_b32 exec_lo, exec_lo, s0
	s_mov_b32 s0, exec_lo
	v_cmpx_gt_i32_e64 s3, v0
	s_cbranch_execz .LBB4_31
.LBB4_40:
	v_add_nc_u32_e32 v0, s2, v0
	global_store_b64 v0, v[8:9], s[4:5] scale_offset
	s_endpgm
	.section	.rodata,"a",@progbits
	.p2align	6, 0x0
	.amdhsa_kernel _ZN2at6native27unrolled_elementwise_kernelIZZZNS0_15sin_kernel_cudaERNS_18TensorIteratorBaseEENKUlvE0_clEvENKUlvE_clEvEUldE_St5arrayIPcLm2EELi4E23TrivialOffsetCalculatorILi1EjESB_NS0_6memory15LoadWithoutCastENSC_16StoreWithoutCastEEEviT_T0_T2_T3_T4_T5_
		.amdhsa_group_segment_fixed_size 0
		.amdhsa_private_segment_fixed_size 0
		.amdhsa_kernarg_size 28
		.amdhsa_user_sgpr_count 2
		.amdhsa_user_sgpr_dispatch_ptr 0
		.amdhsa_user_sgpr_queue_ptr 0
		.amdhsa_user_sgpr_kernarg_segment_ptr 1
		.amdhsa_user_sgpr_dispatch_id 0
		.amdhsa_user_sgpr_kernarg_preload_length 0
		.amdhsa_user_sgpr_kernarg_preload_offset 0
		.amdhsa_user_sgpr_private_segment_size 0
		.amdhsa_wavefront_size32 1
		.amdhsa_uses_dynamic_stack 0
		.amdhsa_enable_private_segment 0
		.amdhsa_system_sgpr_workgroup_id_x 1
		.amdhsa_system_sgpr_workgroup_id_y 0
		.amdhsa_system_sgpr_workgroup_id_z 0
		.amdhsa_system_sgpr_workgroup_info 0
		.amdhsa_system_vgpr_workitem_id 0
		.amdhsa_next_free_vgpr 48
		.amdhsa_next_free_sgpr 10
		.amdhsa_named_barrier_count 0
		.amdhsa_reserve_vcc 1
		.amdhsa_float_round_mode_32 0
		.amdhsa_float_round_mode_16_64 0
		.amdhsa_float_denorm_mode_32 3
		.amdhsa_float_denorm_mode_16_64 3
		.amdhsa_fp16_overflow 0
		.amdhsa_memory_ordered 1
		.amdhsa_forward_progress 1
		.amdhsa_inst_pref_size 44
		.amdhsa_round_robin_scheduling 0
		.amdhsa_exception_fp_ieee_invalid_op 0
		.amdhsa_exception_fp_denorm_src 0
		.amdhsa_exception_fp_ieee_div_zero 0
		.amdhsa_exception_fp_ieee_overflow 0
		.amdhsa_exception_fp_ieee_underflow 0
		.amdhsa_exception_fp_ieee_inexact 0
		.amdhsa_exception_int_div_zero 0
	.end_amdhsa_kernel
	.section	.text._ZN2at6native27unrolled_elementwise_kernelIZZZNS0_15sin_kernel_cudaERNS_18TensorIteratorBaseEENKUlvE0_clEvENKUlvE_clEvEUldE_St5arrayIPcLm2EELi4E23TrivialOffsetCalculatorILi1EjESB_NS0_6memory15LoadWithoutCastENSC_16StoreWithoutCastEEEviT_T0_T2_T3_T4_T5_,"axG",@progbits,_ZN2at6native27unrolled_elementwise_kernelIZZZNS0_15sin_kernel_cudaERNS_18TensorIteratorBaseEENKUlvE0_clEvENKUlvE_clEvEUldE_St5arrayIPcLm2EELi4E23TrivialOffsetCalculatorILi1EjESB_NS0_6memory15LoadWithoutCastENSC_16StoreWithoutCastEEEviT_T0_T2_T3_T4_T5_,comdat
.Lfunc_end4:
	.size	_ZN2at6native27unrolled_elementwise_kernelIZZZNS0_15sin_kernel_cudaERNS_18TensorIteratorBaseEENKUlvE0_clEvENKUlvE_clEvEUldE_St5arrayIPcLm2EELi4E23TrivialOffsetCalculatorILi1EjESB_NS0_6memory15LoadWithoutCastENSC_16StoreWithoutCastEEEviT_T0_T2_T3_T4_T5_, .Lfunc_end4-_ZN2at6native27unrolled_elementwise_kernelIZZZNS0_15sin_kernel_cudaERNS_18TensorIteratorBaseEENKUlvE0_clEvENKUlvE_clEvEUldE_St5arrayIPcLm2EELi4E23TrivialOffsetCalculatorILi1EjESB_NS0_6memory15LoadWithoutCastENSC_16StoreWithoutCastEEEviT_T0_T2_T3_T4_T5_
                                        ; -- End function
	.set _ZN2at6native27unrolled_elementwise_kernelIZZZNS0_15sin_kernel_cudaERNS_18TensorIteratorBaseEENKUlvE0_clEvENKUlvE_clEvEUldE_St5arrayIPcLm2EELi4E23TrivialOffsetCalculatorILi1EjESB_NS0_6memory15LoadWithoutCastENSC_16StoreWithoutCastEEEviT_T0_T2_T3_T4_T5_.num_vgpr, 48
	.set _ZN2at6native27unrolled_elementwise_kernelIZZZNS0_15sin_kernel_cudaERNS_18TensorIteratorBaseEENKUlvE0_clEvENKUlvE_clEvEUldE_St5arrayIPcLm2EELi4E23TrivialOffsetCalculatorILi1EjESB_NS0_6memory15LoadWithoutCastENSC_16StoreWithoutCastEEEviT_T0_T2_T3_T4_T5_.num_agpr, 0
	.set _ZN2at6native27unrolled_elementwise_kernelIZZZNS0_15sin_kernel_cudaERNS_18TensorIteratorBaseEENKUlvE0_clEvENKUlvE_clEvEUldE_St5arrayIPcLm2EELi4E23TrivialOffsetCalculatorILi1EjESB_NS0_6memory15LoadWithoutCastENSC_16StoreWithoutCastEEEviT_T0_T2_T3_T4_T5_.numbered_sgpr, 10
	.set _ZN2at6native27unrolled_elementwise_kernelIZZZNS0_15sin_kernel_cudaERNS_18TensorIteratorBaseEENKUlvE0_clEvENKUlvE_clEvEUldE_St5arrayIPcLm2EELi4E23TrivialOffsetCalculatorILi1EjESB_NS0_6memory15LoadWithoutCastENSC_16StoreWithoutCastEEEviT_T0_T2_T3_T4_T5_.num_named_barrier, 0
	.set _ZN2at6native27unrolled_elementwise_kernelIZZZNS0_15sin_kernel_cudaERNS_18TensorIteratorBaseEENKUlvE0_clEvENKUlvE_clEvEUldE_St5arrayIPcLm2EELi4E23TrivialOffsetCalculatorILi1EjESB_NS0_6memory15LoadWithoutCastENSC_16StoreWithoutCastEEEviT_T0_T2_T3_T4_T5_.private_seg_size, 0
	.set _ZN2at6native27unrolled_elementwise_kernelIZZZNS0_15sin_kernel_cudaERNS_18TensorIteratorBaseEENKUlvE0_clEvENKUlvE_clEvEUldE_St5arrayIPcLm2EELi4E23TrivialOffsetCalculatorILi1EjESB_NS0_6memory15LoadWithoutCastENSC_16StoreWithoutCastEEEviT_T0_T2_T3_T4_T5_.uses_vcc, 1
	.set _ZN2at6native27unrolled_elementwise_kernelIZZZNS0_15sin_kernel_cudaERNS_18TensorIteratorBaseEENKUlvE0_clEvENKUlvE_clEvEUldE_St5arrayIPcLm2EELi4E23TrivialOffsetCalculatorILi1EjESB_NS0_6memory15LoadWithoutCastENSC_16StoreWithoutCastEEEviT_T0_T2_T3_T4_T5_.uses_flat_scratch, 0
	.set _ZN2at6native27unrolled_elementwise_kernelIZZZNS0_15sin_kernel_cudaERNS_18TensorIteratorBaseEENKUlvE0_clEvENKUlvE_clEvEUldE_St5arrayIPcLm2EELi4E23TrivialOffsetCalculatorILi1EjESB_NS0_6memory15LoadWithoutCastENSC_16StoreWithoutCastEEEviT_T0_T2_T3_T4_T5_.has_dyn_sized_stack, 0
	.set _ZN2at6native27unrolled_elementwise_kernelIZZZNS0_15sin_kernel_cudaERNS_18TensorIteratorBaseEENKUlvE0_clEvENKUlvE_clEvEUldE_St5arrayIPcLm2EELi4E23TrivialOffsetCalculatorILi1EjESB_NS0_6memory15LoadWithoutCastENSC_16StoreWithoutCastEEEviT_T0_T2_T3_T4_T5_.has_recursion, 0
	.set _ZN2at6native27unrolled_elementwise_kernelIZZZNS0_15sin_kernel_cudaERNS_18TensorIteratorBaseEENKUlvE0_clEvENKUlvE_clEvEUldE_St5arrayIPcLm2EELi4E23TrivialOffsetCalculatorILi1EjESB_NS0_6memory15LoadWithoutCastENSC_16StoreWithoutCastEEEviT_T0_T2_T3_T4_T5_.has_indirect_call, 0
	.section	.AMDGPU.csdata,"",@progbits
; Kernel info:
; codeLenInByte = 5580
; TotalNumSgprs: 12
; NumVgprs: 48
; ScratchSize: 0
; MemoryBound: 0
; FloatMode: 240
; IeeeMode: 1
; LDSByteSize: 0 bytes/workgroup (compile time only)
; SGPRBlocks: 0
; VGPRBlocks: 2
; NumSGPRsForWavesPerEU: 12
; NumVGPRsForWavesPerEU: 48
; NamedBarCnt: 0
; Occupancy: 16
; WaveLimiterHint : 0
; COMPUTE_PGM_RSRC2:SCRATCH_EN: 0
; COMPUTE_PGM_RSRC2:USER_SGPR: 2
; COMPUTE_PGM_RSRC2:TRAP_HANDLER: 0
; COMPUTE_PGM_RSRC2:TGID_X_EN: 1
; COMPUTE_PGM_RSRC2:TGID_Y_EN: 0
; COMPUTE_PGM_RSRC2:TGID_Z_EN: 0
; COMPUTE_PGM_RSRC2:TIDIG_COMP_CNT: 0
	.section	.text._ZN2at6native32elementwise_kernel_manual_unrollILi128ELi4EZNS0_22gpu_kernel_impl_nocastIZZZNS0_15sin_kernel_cudaERNS_18TensorIteratorBaseEENKUlvE0_clEvENKUlvE_clEvEUldE_EEvS4_RKT_EUlibE_EEviT1_,"axG",@progbits,_ZN2at6native32elementwise_kernel_manual_unrollILi128ELi4EZNS0_22gpu_kernel_impl_nocastIZZZNS0_15sin_kernel_cudaERNS_18TensorIteratorBaseEENKUlvE0_clEvENKUlvE_clEvEUldE_EEvS4_RKT_EUlibE_EEviT1_,comdat
	.globl	_ZN2at6native32elementwise_kernel_manual_unrollILi128ELi4EZNS0_22gpu_kernel_impl_nocastIZZZNS0_15sin_kernel_cudaERNS_18TensorIteratorBaseEENKUlvE0_clEvENKUlvE_clEvEUldE_EEvS4_RKT_EUlibE_EEviT1_ ; -- Begin function _ZN2at6native32elementwise_kernel_manual_unrollILi128ELi4EZNS0_22gpu_kernel_impl_nocastIZZZNS0_15sin_kernel_cudaERNS_18TensorIteratorBaseEENKUlvE0_clEvENKUlvE_clEvEUldE_EEvS4_RKT_EUlibE_EEviT1_
	.p2align	8
	.type	_ZN2at6native32elementwise_kernel_manual_unrollILi128ELi4EZNS0_22gpu_kernel_impl_nocastIZZZNS0_15sin_kernel_cudaERNS_18TensorIteratorBaseEENKUlvE0_clEvENKUlvE_clEvEUldE_EEvS4_RKT_EUlibE_EEviT1_,@function
_ZN2at6native32elementwise_kernel_manual_unrollILi128ELi4EZNS0_22gpu_kernel_impl_nocastIZZZNS0_15sin_kernel_cudaERNS_18TensorIteratorBaseEENKUlvE0_clEvENKUlvE_clEvEUldE_EEvS4_RKT_EUlibE_EEviT1_: ; @_ZN2at6native32elementwise_kernel_manual_unrollILi128ELi4EZNS0_22gpu_kernel_impl_nocastIZZZNS0_15sin_kernel_cudaERNS_18TensorIteratorBaseEENKUlvE0_clEvENKUlvE_clEvEUldE_EEvS4_RKT_EUlibE_EEviT1_
; %bb.0:
	s_clause 0x1
	s_load_b32 s28, s[0:1], 0x8
	s_load_b32 s34, s[0:1], 0x0
	s_bfe_u32 s2, ttmp6, 0x4000c
	s_and_b32 s3, ttmp6, 15
	s_add_co_i32 s2, s2, 1
	s_getreg_b32 s4, hwreg(HW_REG_IB_STS2, 6, 4)
	s_mul_i32 s2, ttmp9, s2
	s_mov_b32 s17, 0
	s_add_co_i32 s3, s3, s2
	s_cmp_eq_u32 s4, 0
	s_cselect_b32 s2, ttmp9, s3
	s_delay_alu instid0(SALU_CYCLE_1) | instskip(SKIP_3) | instid1(VALU_DEP_1)
	v_lshl_or_b32 v0, s2, 9, v0
	s_add_nc_u64 s[2:3], s[0:1], 8
	s_wait_xcnt 0x0
	s_mov_b32 s0, exec_lo
	v_or_b32_e32 v8, 0x180, v0
	s_wait_kmcnt 0x0
	s_add_co_i32 s29, s28, -1
	s_delay_alu instid0(SALU_CYCLE_1)
	s_cmp_gt_u32 s29, 1
	s_cselect_b32 s30, -1, 0
	v_cmpx_le_i32_e64 s34, v8
	s_xor_b32 s31, exec_lo, s0
	s_cbranch_execz .LBB5_7
; %bb.1:
	s_clause 0x3
	s_load_b128 s[8:11], s[2:3], 0x4
	s_load_b64 s[0:1], s[2:3], 0x14
	s_load_b128 s[12:15], s[2:3], 0xc4
	s_load_b128 s[4:7], s[2:3], 0x148
	s_cmp_lg_u32 s28, 0
	s_add_nc_u64 s[20:21], s[2:3], 0xc4
	s_cselect_b32 s36, -1, 0
	s_min_u32 s35, s29, 15
	s_cmp_gt_u32 s28, 1
	s_mov_b32 s19, s17
	s_cselect_b32 s33, -1, 0
	s_wait_kmcnt 0x0
	s_mov_b32 s16, s9
	s_mov_b32 s18, s0
	s_mov_b32 s9, exec_lo
	v_cmpx_gt_i32_e64 s34, v0
	s_cbranch_execz .LBB5_14
; %bb.2:
	s_and_not1_b32 vcc_lo, exec_lo, s30
	s_cbranch_vccnz .LBB5_21
; %bb.3:
	s_and_not1_b32 vcc_lo, exec_lo, s36
	s_cbranch_vccnz .LBB5_89
; %bb.4:
	s_add_co_i32 s0, s35, 1
	s_cmp_eq_u32 s29, 2
	s_cbranch_scc1 .LBB5_91
; %bb.5:
	v_dual_mov_b32 v2, 0 :: v_dual_mov_b32 v3, 0
	v_mov_b32_e32 v1, v0
	s_and_b32 s22, s0, 28
	s_mov_b32 s23, 0
	s_mov_b64 s[24:25], s[2:3]
	s_mov_b64 s[26:27], s[20:21]
.LBB5_6:                                ; =>This Inner Loop Header: Depth=1
	s_clause 0x1
	s_load_b256 s[40:47], s[24:25], 0x4
	s_load_b128 s[56:59], s[24:25], 0x24
	s_load_b256 s[48:55], s[26:27], 0x0
	s_add_co_i32 s23, s23, 4
	s_wait_xcnt 0x0
	s_add_nc_u64 s[24:25], s[24:25], 48
	s_cmp_lg_u32 s22, s23
	s_add_nc_u64 s[26:27], s[26:27], 32
	s_wait_kmcnt 0x0
	v_mul_hi_u32 v4, s41, v1
	s_delay_alu instid0(VALU_DEP_1) | instskip(NEXT) | instid1(VALU_DEP_1)
	v_add_nc_u32_e32 v4, v1, v4
	v_lshrrev_b32_e32 v4, s42, v4
	s_delay_alu instid0(VALU_DEP_1) | instskip(NEXT) | instid1(VALU_DEP_1)
	v_mul_hi_u32 v5, s44, v4
	v_add_nc_u32_e32 v5, v4, v5
	s_delay_alu instid0(VALU_DEP_1) | instskip(NEXT) | instid1(VALU_DEP_1)
	v_lshrrev_b32_e32 v5, s45, v5
	v_mul_hi_u32 v6, s47, v5
	s_delay_alu instid0(VALU_DEP_1) | instskip(SKIP_1) | instid1(VALU_DEP_1)
	v_add_nc_u32_e32 v6, v5, v6
	v_mul_lo_u32 v7, v4, s40
	v_sub_nc_u32_e32 v1, v1, v7
	v_mul_lo_u32 v7, v5, s43
	s_delay_alu instid0(VALU_DEP_4) | instskip(NEXT) | instid1(VALU_DEP_3)
	v_lshrrev_b32_e32 v6, s56, v6
	v_mad_u32 v3, v1, s49, v3
	v_mad_u32 v1, v1, s48, v2
	s_delay_alu instid0(VALU_DEP_4) | instskip(NEXT) | instid1(VALU_DEP_4)
	v_sub_nc_u32_e32 v2, v4, v7
	v_mul_hi_u32 v8, s58, v6
	v_mul_lo_u32 v4, v6, s46
	s_delay_alu instid0(VALU_DEP_3) | instskip(SKIP_1) | instid1(VALU_DEP_4)
	v_mad_u32 v3, v2, s51, v3
	v_mad_u32 v2, v2, s50, v1
	v_add_nc_u32_e32 v7, v6, v8
	s_delay_alu instid0(VALU_DEP_1) | instskip(NEXT) | instid1(VALU_DEP_1)
	v_dual_sub_nc_u32 v4, v5, v4 :: v_dual_lshrrev_b32 v1, s59, v7
	v_mad_u32 v3, v4, s53, v3
	s_delay_alu instid0(VALU_DEP_4) | instskip(NEXT) | instid1(VALU_DEP_3)
	v_mad_u32 v2, v4, s52, v2
	v_mul_lo_u32 v5, v1, s57
	s_delay_alu instid0(VALU_DEP_1) | instskip(NEXT) | instid1(VALU_DEP_1)
	v_sub_nc_u32_e32 v4, v6, v5
	v_mad_u32 v3, v4, s55, v3
	s_delay_alu instid0(VALU_DEP_4)
	v_mad_u32 v2, v4, s54, v2
	s_cbranch_scc1 .LBB5_6
	s_branch .LBB5_92
.LBB5_7:
	s_and_not1_saveexec_b32 s0, s31
	s_cbranch_execz .LBB5_125
.LBB5_8:
	v_cndmask_b32_e64 v6, 0, 1, s30
	s_and_not1_b32 vcc_lo, exec_lo, s30
	s_cbranch_vccnz .LBB5_20
; %bb.9:
	s_cmp_lg_u32 s28, 0
	s_mov_b32 s8, 0
	s_cbranch_scc0 .LBB5_23
; %bb.10:
	s_min_u32 s1, s29, 15
	s_delay_alu instid0(SALU_CYCLE_1)
	s_add_co_i32 s1, s1, 1
	s_cmp_eq_u32 s29, 2
	s_cbranch_scc1 .LBB5_24
; %bb.11:
	v_dual_mov_b32 v2, 0 :: v_dual_mov_b32 v3, 0
	v_mov_b32_e32 v1, v0
	s_and_b32 s0, s1, 28
	s_add_nc_u64 s[4:5], s[2:3], 0xc4
	s_mov_b32 s9, 0
	s_mov_b64 s[6:7], s[2:3]
.LBB5_12:                               ; =>This Inner Loop Header: Depth=1
	s_clause 0x1
	s_load_b256 s[12:19], s[6:7], 0x4
	s_load_b128 s[36:39], s[6:7], 0x24
	s_load_b256 s[20:27], s[4:5], 0x0
	s_add_co_i32 s9, s9, 4
	s_wait_xcnt 0x0
	s_add_nc_u64 s[6:7], s[6:7], 48
	s_cmp_lg_u32 s0, s9
	s_add_nc_u64 s[4:5], s[4:5], 32
	s_wait_kmcnt 0x0
	v_mul_hi_u32 v4, s13, v1
	s_delay_alu instid0(VALU_DEP_1) | instskip(NEXT) | instid1(VALU_DEP_1)
	v_add_nc_u32_e32 v4, v1, v4
	v_lshrrev_b32_e32 v4, s14, v4
	s_delay_alu instid0(VALU_DEP_1) | instskip(NEXT) | instid1(VALU_DEP_1)
	v_mul_hi_u32 v5, s16, v4
	v_add_nc_u32_e32 v5, v4, v5
	s_delay_alu instid0(VALU_DEP_1) | instskip(NEXT) | instid1(VALU_DEP_1)
	v_lshrrev_b32_e32 v5, s17, v5
	v_mul_hi_u32 v7, s19, v5
	s_delay_alu instid0(VALU_DEP_1) | instskip(SKIP_1) | instid1(VALU_DEP_2)
	v_add_nc_u32_e32 v7, v5, v7
	v_mul_lo_u32 v9, v4, s12
	v_lshrrev_b32_e32 v7, s36, v7
	s_delay_alu instid0(VALU_DEP_1) | instskip(NEXT) | instid1(VALU_DEP_3)
	v_mul_hi_u32 v10, s38, v7
	v_sub_nc_u32_e32 v1, v1, v9
	v_mul_lo_u32 v9, v5, s15
	s_delay_alu instid0(VALU_DEP_2) | instskip(SKIP_1) | instid1(VALU_DEP_3)
	v_mad_u32 v3, v1, s21, v3
	v_mad_u32 v1, v1, s20, v2
	v_sub_nc_u32_e32 v2, v4, v9
	v_mul_lo_u32 v4, v7, s18
	v_add_nc_u32_e32 v9, v7, v10
	s_delay_alu instid0(VALU_DEP_3) | instskip(SKIP_1) | instid1(VALU_DEP_3)
	v_mad_u32 v3, v2, s23, v3
	v_mad_u32 v2, v2, s22, v1
	v_dual_sub_nc_u32 v4, v5, v4 :: v_dual_lshrrev_b32 v1, s39, v9
	s_delay_alu instid0(VALU_DEP_1) | instskip(NEXT) | instid1(VALU_DEP_2)
	v_mad_u32 v3, v4, s25, v3
	v_mul_lo_u32 v5, v1, s37
	s_delay_alu instid0(VALU_DEP_4) | instskip(NEXT) | instid1(VALU_DEP_2)
	v_mad_u32 v2, v4, s24, v2
	v_sub_nc_u32_e32 v4, v7, v5
	s_delay_alu instid0(VALU_DEP_1) | instskip(NEXT) | instid1(VALU_DEP_3)
	v_mad_u32 v3, v4, s27, v3
	v_mad_u32 v2, v4, s26, v2
	s_cbranch_scc1 .LBB5_12
; %bb.13:
	s_and_b32 s6, s1, 3
	s_mov_b32 s1, 0
	s_cmp_eq_u32 s6, 0
	s_cbranch_scc0 .LBB5_25
	s_branch .LBB5_27
.LBB5_14:
	s_or_b32 exec_lo, exec_lo, s9
	s_delay_alu instid0(SALU_CYCLE_1)
	s_mov_b32 s9, exec_lo
	v_cmpx_gt_i32_e64 s34, v0
	s_cbranch_execz .LBB5_103
.LBB5_15:
	s_and_not1_b32 vcc_lo, exec_lo, s30
	s_cbranch_vccnz .LBB5_22
; %bb.16:
	s_and_not1_b32 vcc_lo, exec_lo, s36
	s_cbranch_vccnz .LBB5_90
; %bb.17:
	s_add_co_i32 s0, s35, 1
	s_cmp_eq_u32 s29, 2
	s_cbranch_scc1 .LBB5_111
; %bb.18:
	v_dual_mov_b32 v2, 0 :: v_dual_mov_b32 v3, 0
	v_mov_b32_e32 v1, v0
	s_and_b32 s22, s0, 28
	s_mov_b32 s23, 0
	s_mov_b64 s[24:25], s[2:3]
	s_mov_b64 s[26:27], s[20:21]
.LBB5_19:                               ; =>This Inner Loop Header: Depth=1
	s_clause 0x1
	s_load_b256 s[40:47], s[24:25], 0x4
	s_load_b128 s[56:59], s[24:25], 0x24
	s_load_b256 s[48:55], s[26:27], 0x0
	s_add_co_i32 s23, s23, 4
	s_wait_xcnt 0x0
	s_add_nc_u64 s[24:25], s[24:25], 48
	s_cmp_eq_u32 s22, s23
	s_add_nc_u64 s[26:27], s[26:27], 32
	s_wait_kmcnt 0x0
	v_mul_hi_u32 v4, s41, v1
	s_delay_alu instid0(VALU_DEP_1) | instskip(NEXT) | instid1(VALU_DEP_1)
	v_add_nc_u32_e32 v4, v1, v4
	v_lshrrev_b32_e32 v4, s42, v4
	s_delay_alu instid0(VALU_DEP_1) | instskip(NEXT) | instid1(VALU_DEP_1)
	v_mul_hi_u32 v5, s44, v4
	v_add_nc_u32_e32 v5, v4, v5
	s_delay_alu instid0(VALU_DEP_1) | instskip(NEXT) | instid1(VALU_DEP_1)
	v_lshrrev_b32_e32 v5, s45, v5
	v_mul_hi_u32 v6, s47, v5
	s_delay_alu instid0(VALU_DEP_1) | instskip(SKIP_1) | instid1(VALU_DEP_1)
	v_add_nc_u32_e32 v6, v5, v6
	v_mul_lo_u32 v7, v4, s40
	v_sub_nc_u32_e32 v1, v1, v7
	v_mul_lo_u32 v7, v5, s43
	s_delay_alu instid0(VALU_DEP_4) | instskip(NEXT) | instid1(VALU_DEP_3)
	v_lshrrev_b32_e32 v6, s56, v6
	v_mad_u32 v3, v1, s49, v3
	v_mad_u32 v1, v1, s48, v2
	s_delay_alu instid0(VALU_DEP_4) | instskip(NEXT) | instid1(VALU_DEP_4)
	v_sub_nc_u32_e32 v2, v4, v7
	v_mul_hi_u32 v8, s58, v6
	v_mul_lo_u32 v4, v6, s46
	s_delay_alu instid0(VALU_DEP_3) | instskip(SKIP_1) | instid1(VALU_DEP_4)
	v_mad_u32 v3, v2, s51, v3
	v_mad_u32 v2, v2, s50, v1
	v_add_nc_u32_e32 v7, v6, v8
	s_delay_alu instid0(VALU_DEP_1) | instskip(NEXT) | instid1(VALU_DEP_1)
	v_dual_sub_nc_u32 v4, v5, v4 :: v_dual_lshrrev_b32 v1, s59, v7
	v_mad_u32 v3, v4, s53, v3
	s_delay_alu instid0(VALU_DEP_4) | instskip(NEXT) | instid1(VALU_DEP_3)
	v_mad_u32 v2, v4, s52, v2
	v_mul_lo_u32 v5, v1, s57
	s_delay_alu instid0(VALU_DEP_1) | instskip(NEXT) | instid1(VALU_DEP_1)
	v_sub_nc_u32_e32 v4, v6, v5
	v_mad_u32 v3, v4, s55, v3
	s_delay_alu instid0(VALU_DEP_4)
	v_mad_u32 v2, v4, s54, v2
	s_cbranch_scc0 .LBB5_19
	s_branch .LBB5_112
.LBB5_20:
	s_mov_b32 s8, -1
                                        ; implicit-def: $vgpr3
	s_branch .LBB5_27
.LBB5_21:
                                        ; implicit-def: $vgpr3
	s_branch .LBB5_96
.LBB5_22:
                                        ; implicit-def: $vgpr3
	s_branch .LBB5_116
.LBB5_23:
	v_dual_mov_b32 v3, 0 :: v_dual_mov_b32 v2, 0
	s_branch .LBB5_27
.LBB5_24:
	v_mov_b64_e32 v[2:3], 0
	v_mov_b32_e32 v1, v0
	s_mov_b32 s0, 0
	s_and_b32 s6, s1, 3
	s_mov_b32 s1, 0
	s_cmp_eq_u32 s6, 0
	s_cbranch_scc1 .LBB5_27
.LBB5_25:
	s_lshl_b32 s4, s0, 3
	s_mov_b32 s5, s1
	s_mul_u64 s[10:11], s[0:1], 12
	s_add_nc_u64 s[4:5], s[2:3], s[4:5]
	s_delay_alu instid0(SALU_CYCLE_1)
	s_add_nc_u64 s[0:1], s[4:5], 0xc4
	s_add_nc_u64 s[4:5], s[2:3], s[10:11]
.LBB5_26:                               ; =>This Inner Loop Header: Depth=1
	s_load_b96 s[12:14], s[4:5], 0x4
	s_load_b64 s[10:11], s[0:1], 0x0
	s_add_co_i32 s6, s6, -1
	s_wait_xcnt 0x0
	s_add_nc_u64 s[4:5], s[4:5], 12
	s_cmp_lg_u32 s6, 0
	s_add_nc_u64 s[0:1], s[0:1], 8
	s_wait_kmcnt 0x0
	v_mul_hi_u32 v4, s13, v1
	s_delay_alu instid0(VALU_DEP_1) | instskip(NEXT) | instid1(VALU_DEP_1)
	v_add_nc_u32_e32 v4, v1, v4
	v_lshrrev_b32_e32 v4, s14, v4
	s_delay_alu instid0(VALU_DEP_1) | instskip(NEXT) | instid1(VALU_DEP_1)
	v_mul_lo_u32 v5, v4, s12
	v_sub_nc_u32_e32 v1, v1, v5
	s_delay_alu instid0(VALU_DEP_1)
	v_mad_u32 v3, v1, s11, v3
	v_mad_u32 v2, v1, s10, v2
	v_mov_b32_e32 v1, v4
	s_cbranch_scc1 .LBB5_26
.LBB5_27:
	s_and_not1_b32 vcc_lo, exec_lo, s8
	s_cbranch_vccnz .LBB5_30
; %bb.28:
	s_clause 0x1
	s_load_b96 s[4:6], s[2:3], 0x4
	s_load_b64 s[0:1], s[2:3], 0xc4
	s_cmp_lt_u32 s28, 2
	s_wait_kmcnt 0x0
	v_mul_hi_u32 v1, s5, v0
	s_delay_alu instid0(VALU_DEP_1) | instskip(NEXT) | instid1(VALU_DEP_1)
	v_add_nc_u32_e32 v1, v0, v1
	v_lshrrev_b32_e32 v1, s6, v1
	s_delay_alu instid0(VALU_DEP_1) | instskip(NEXT) | instid1(VALU_DEP_1)
	v_mul_lo_u32 v2, v1, s4
	v_sub_nc_u32_e32 v2, v0, v2
	s_delay_alu instid0(VALU_DEP_1)
	v_mul_lo_u32 v3, v2, s1
	v_mul_lo_u32 v2, v2, s0
	s_cbranch_scc1 .LBB5_30
; %bb.29:
	s_clause 0x1
	s_load_b96 s[4:6], s[2:3], 0x10
	s_load_b64 s[0:1], s[2:3], 0xcc
	s_wait_kmcnt 0x0
	v_mul_hi_u32 v4, s5, v1
	s_delay_alu instid0(VALU_DEP_1) | instskip(NEXT) | instid1(VALU_DEP_1)
	v_add_nc_u32_e32 v4, v1, v4
	v_lshrrev_b32_e32 v4, s6, v4
	s_delay_alu instid0(VALU_DEP_1) | instskip(NEXT) | instid1(VALU_DEP_1)
	v_mul_lo_u32 v4, v4, s4
	v_sub_nc_u32_e32 v1, v1, v4
	s_delay_alu instid0(VALU_DEP_1)
	v_mad_u32 v2, v1, s0, v2
	v_mad_u32 v3, v1, s1, v3
.LBB5_30:
	v_cmp_ne_u32_e32 vcc_lo, 1, v6
	v_add_nc_u32_e32 v1, 0x80, v0
	s_cbranch_vccnz .LBB5_36
; %bb.31:
	s_cmp_lg_u32 s28, 0
	s_mov_b32 s8, 0
	s_cbranch_scc0 .LBB5_37
; %bb.32:
	s_min_u32 s1, s29, 15
	s_delay_alu instid0(SALU_CYCLE_1)
	s_add_co_i32 s1, s1, 1
	s_cmp_eq_u32 s29, 2
	s_cbranch_scc1 .LBB5_38
; %bb.33:
	v_dual_mov_b32 v4, 0 :: v_dual_mov_b32 v5, 0
	v_mov_b32_e32 v7, v1
	s_and_b32 s0, s1, 28
	s_add_nc_u64 s[4:5], s[2:3], 0xc4
	s_mov_b32 s9, 0
	s_mov_b64 s[6:7], s[2:3]
.LBB5_34:                               ; =>This Inner Loop Header: Depth=1
	s_clause 0x1
	s_load_b256 s[12:19], s[6:7], 0x4
	s_load_b128 s[36:39], s[6:7], 0x24
	s_load_b256 s[20:27], s[4:5], 0x0
	s_add_co_i32 s9, s9, 4
	s_wait_xcnt 0x0
	s_add_nc_u64 s[6:7], s[6:7], 48
	s_cmp_lg_u32 s0, s9
	s_add_nc_u64 s[4:5], s[4:5], 32
	s_wait_kmcnt 0x0
	v_mul_hi_u32 v9, s13, v7
	s_delay_alu instid0(VALU_DEP_1) | instskip(NEXT) | instid1(VALU_DEP_1)
	v_add_nc_u32_e32 v9, v7, v9
	v_lshrrev_b32_e32 v9, s14, v9
	s_delay_alu instid0(VALU_DEP_1) | instskip(NEXT) | instid1(VALU_DEP_1)
	v_mul_hi_u32 v10, s16, v9
	v_add_nc_u32_e32 v10, v9, v10
	s_delay_alu instid0(VALU_DEP_1) | instskip(NEXT) | instid1(VALU_DEP_1)
	v_lshrrev_b32_e32 v10, s17, v10
	v_mul_hi_u32 v11, s19, v10
	s_delay_alu instid0(VALU_DEP_1) | instskip(SKIP_1) | instid1(VALU_DEP_1)
	v_add_nc_u32_e32 v11, v10, v11
	v_mul_lo_u32 v12, v9, s12
	v_sub_nc_u32_e32 v7, v7, v12
	v_mul_lo_u32 v12, v10, s15
	s_delay_alu instid0(VALU_DEP_4) | instskip(NEXT) | instid1(VALU_DEP_3)
	v_lshrrev_b32_e32 v11, s36, v11
	v_mad_u32 v5, v7, s21, v5
	v_mad_u32 v4, v7, s20, v4
	s_delay_alu instid0(VALU_DEP_4) | instskip(NEXT) | instid1(VALU_DEP_4)
	v_sub_nc_u32_e32 v7, v9, v12
	v_mul_hi_u32 v13, s38, v11
	v_mul_lo_u32 v9, v11, s18
	s_delay_alu instid0(VALU_DEP_3) | instskip(SKIP_1) | instid1(VALU_DEP_4)
	v_mad_u32 v5, v7, s23, v5
	v_mad_u32 v4, v7, s22, v4
	v_add_nc_u32_e32 v12, v11, v13
	s_delay_alu instid0(VALU_DEP_1) | instskip(NEXT) | instid1(VALU_DEP_1)
	v_dual_sub_nc_u32 v9, v10, v9 :: v_dual_lshrrev_b32 v7, s39, v12
	v_mad_u32 v5, v9, s25, v5
	s_delay_alu instid0(VALU_DEP_4) | instskip(NEXT) | instid1(VALU_DEP_3)
	v_mad_u32 v4, v9, s24, v4
	v_mul_lo_u32 v10, v7, s37
	s_delay_alu instid0(VALU_DEP_1) | instskip(NEXT) | instid1(VALU_DEP_1)
	v_sub_nc_u32_e32 v9, v11, v10
	v_mad_u32 v5, v9, s27, v5
	s_delay_alu instid0(VALU_DEP_4)
	v_mad_u32 v4, v9, s26, v4
	s_cbranch_scc1 .LBB5_34
; %bb.35:
	s_and_b32 s6, s1, 3
	s_mov_b32 s1, 0
	s_cmp_eq_u32 s6, 0
	s_cbranch_scc0 .LBB5_39
	s_branch .LBB5_41
.LBB5_36:
	s_mov_b32 s8, -1
                                        ; implicit-def: $vgpr5
	s_branch .LBB5_41
.LBB5_37:
	v_dual_mov_b32 v5, 0 :: v_dual_mov_b32 v4, 0
	s_branch .LBB5_41
.LBB5_38:
	v_mov_b64_e32 v[4:5], 0
	v_mov_b32_e32 v7, v1
	s_mov_b32 s0, 0
	s_and_b32 s6, s1, 3
	s_mov_b32 s1, 0
	s_cmp_eq_u32 s6, 0
	s_cbranch_scc1 .LBB5_41
.LBB5_39:
	s_lshl_b32 s4, s0, 3
	s_mov_b32 s5, s1
	s_mul_u64 s[10:11], s[0:1], 12
	s_add_nc_u64 s[4:5], s[2:3], s[4:5]
	s_delay_alu instid0(SALU_CYCLE_1)
	s_add_nc_u64 s[0:1], s[4:5], 0xc4
	s_add_nc_u64 s[4:5], s[2:3], s[10:11]
.LBB5_40:                               ; =>This Inner Loop Header: Depth=1
	s_load_b96 s[12:14], s[4:5], 0x4
	s_load_b64 s[10:11], s[0:1], 0x0
	s_add_co_i32 s6, s6, -1
	s_wait_xcnt 0x0
	s_add_nc_u64 s[4:5], s[4:5], 12
	s_cmp_lg_u32 s6, 0
	s_add_nc_u64 s[0:1], s[0:1], 8
	s_wait_kmcnt 0x0
	v_mul_hi_u32 v9, s13, v7
	s_delay_alu instid0(VALU_DEP_1) | instskip(NEXT) | instid1(VALU_DEP_1)
	v_add_nc_u32_e32 v9, v7, v9
	v_lshrrev_b32_e32 v9, s14, v9
	s_delay_alu instid0(VALU_DEP_1) | instskip(NEXT) | instid1(VALU_DEP_1)
	v_mul_lo_u32 v10, v9, s12
	v_sub_nc_u32_e32 v7, v7, v10
	s_delay_alu instid0(VALU_DEP_1)
	v_mad_u32 v5, v7, s11, v5
	v_mad_u32 v4, v7, s10, v4
	v_mov_b32_e32 v7, v9
	s_cbranch_scc1 .LBB5_40
.LBB5_41:
	s_and_not1_b32 vcc_lo, exec_lo, s8
	s_cbranch_vccnz .LBB5_44
; %bb.42:
	s_clause 0x1
	s_load_b96 s[4:6], s[2:3], 0x4
	s_load_b64 s[0:1], s[2:3], 0xc4
	s_cmp_lt_u32 s28, 2
	s_wait_kmcnt 0x0
	v_mul_hi_u32 v4, s5, v1
	s_delay_alu instid0(VALU_DEP_1) | instskip(NEXT) | instid1(VALU_DEP_1)
	v_add_nc_u32_e32 v4, v1, v4
	v_lshrrev_b32_e32 v7, s6, v4
	s_delay_alu instid0(VALU_DEP_1) | instskip(NEXT) | instid1(VALU_DEP_1)
	v_mul_lo_u32 v4, v7, s4
	v_sub_nc_u32_e32 v1, v1, v4
	s_delay_alu instid0(VALU_DEP_1)
	v_mul_lo_u32 v5, v1, s1
	v_mul_lo_u32 v4, v1, s0
	s_cbranch_scc1 .LBB5_44
; %bb.43:
	s_clause 0x1
	s_load_b96 s[4:6], s[2:3], 0x10
	s_load_b64 s[0:1], s[2:3], 0xcc
	s_wait_kmcnt 0x0
	v_mul_hi_u32 v1, s5, v7
	s_delay_alu instid0(VALU_DEP_1) | instskip(NEXT) | instid1(VALU_DEP_1)
	v_add_nc_u32_e32 v1, v7, v1
	v_lshrrev_b32_e32 v1, s6, v1
	s_delay_alu instid0(VALU_DEP_1) | instskip(NEXT) | instid1(VALU_DEP_1)
	v_mul_lo_u32 v1, v1, s4
	v_sub_nc_u32_e32 v1, v7, v1
	s_delay_alu instid0(VALU_DEP_1)
	v_mad_u32 v4, v1, s0, v4
	v_mad_u32 v5, v1, s1, v5
.LBB5_44:
	v_cmp_ne_u32_e32 vcc_lo, 1, v6
	v_add_nc_u32_e32 v7, 0x100, v0
	s_cbranch_vccnz .LBB5_50
; %bb.45:
	s_cmp_lg_u32 s28, 0
	s_mov_b32 s8, 0
	s_cbranch_scc0 .LBB5_51
; %bb.46:
	s_min_u32 s1, s29, 15
	s_delay_alu instid0(SALU_CYCLE_1)
	s_add_co_i32 s1, s1, 1
	s_cmp_eq_u32 s29, 2
	s_cbranch_scc1 .LBB5_52
; %bb.47:
	v_dual_mov_b32 v0, 0 :: v_dual_mov_b32 v1, 0
	v_mov_b32_e32 v9, v7
	s_and_b32 s0, s1, 28
	s_add_nc_u64 s[4:5], s[2:3], 0xc4
	s_mov_b32 s9, 0
	s_mov_b64 s[6:7], s[2:3]
.LBB5_48:                               ; =>This Inner Loop Header: Depth=1
	s_clause 0x1
	s_load_b256 s[12:19], s[6:7], 0x4
	s_load_b128 s[36:39], s[6:7], 0x24
	s_load_b256 s[20:27], s[4:5], 0x0
	s_add_co_i32 s9, s9, 4
	s_wait_xcnt 0x0
	s_add_nc_u64 s[6:7], s[6:7], 48
	s_cmp_lg_u32 s0, s9
	s_add_nc_u64 s[4:5], s[4:5], 32
	s_wait_kmcnt 0x0
	v_mul_hi_u32 v10, s13, v9
	s_delay_alu instid0(VALU_DEP_1) | instskip(NEXT) | instid1(VALU_DEP_1)
	v_add_nc_u32_e32 v10, v9, v10
	v_lshrrev_b32_e32 v10, s14, v10
	s_delay_alu instid0(VALU_DEP_1) | instskip(NEXT) | instid1(VALU_DEP_1)
	v_mul_hi_u32 v11, s16, v10
	v_add_nc_u32_e32 v11, v10, v11
	s_delay_alu instid0(VALU_DEP_1) | instskip(NEXT) | instid1(VALU_DEP_1)
	v_lshrrev_b32_e32 v11, s17, v11
	v_mul_hi_u32 v12, s19, v11
	s_delay_alu instid0(VALU_DEP_1) | instskip(SKIP_1) | instid1(VALU_DEP_1)
	v_add_nc_u32_e32 v12, v11, v12
	v_mul_lo_u32 v13, v10, s12
	v_sub_nc_u32_e32 v9, v9, v13
	v_mul_lo_u32 v13, v11, s15
	s_delay_alu instid0(VALU_DEP_4) | instskip(NEXT) | instid1(VALU_DEP_3)
	v_lshrrev_b32_e32 v12, s36, v12
	v_mad_u32 v1, v9, s21, v1
	v_mad_u32 v0, v9, s20, v0
	s_delay_alu instid0(VALU_DEP_4) | instskip(NEXT) | instid1(VALU_DEP_4)
	v_sub_nc_u32_e32 v9, v10, v13
	v_mul_hi_u32 v14, s38, v12
	v_mul_lo_u32 v10, v12, s18
	s_delay_alu instid0(VALU_DEP_3) | instskip(SKIP_1) | instid1(VALU_DEP_4)
	v_mad_u32 v1, v9, s23, v1
	v_mad_u32 v0, v9, s22, v0
	v_add_nc_u32_e32 v13, v12, v14
	s_delay_alu instid0(VALU_DEP_1) | instskip(NEXT) | instid1(VALU_DEP_1)
	v_dual_sub_nc_u32 v10, v11, v10 :: v_dual_lshrrev_b32 v9, s39, v13
	v_mad_u32 v1, v10, s25, v1
	s_delay_alu instid0(VALU_DEP_4) | instskip(NEXT) | instid1(VALU_DEP_3)
	v_mad_u32 v0, v10, s24, v0
	v_mul_lo_u32 v11, v9, s37
	s_delay_alu instid0(VALU_DEP_1) | instskip(NEXT) | instid1(VALU_DEP_1)
	v_sub_nc_u32_e32 v10, v12, v11
	v_mad_u32 v1, v10, s27, v1
	s_delay_alu instid0(VALU_DEP_4)
	v_mad_u32 v0, v10, s26, v0
	s_cbranch_scc1 .LBB5_48
; %bb.49:
	s_and_b32 s6, s1, 3
	s_mov_b32 s1, 0
	s_cmp_eq_u32 s6, 0
	s_cbranch_scc0 .LBB5_53
	s_branch .LBB5_55
.LBB5_50:
	s_mov_b32 s8, -1
                                        ; implicit-def: $vgpr1
	s_branch .LBB5_55
.LBB5_51:
	v_dual_mov_b32 v1, 0 :: v_dual_mov_b32 v0, 0
	s_branch .LBB5_55
.LBB5_52:
	v_mov_b64_e32 v[0:1], 0
	v_mov_b32_e32 v9, v7
	s_mov_b32 s0, 0
	s_and_b32 s6, s1, 3
	s_mov_b32 s1, 0
	s_cmp_eq_u32 s6, 0
	s_cbranch_scc1 .LBB5_55
.LBB5_53:
	s_lshl_b32 s4, s0, 3
	s_mov_b32 s5, s1
	s_mul_u64 s[10:11], s[0:1], 12
	s_add_nc_u64 s[4:5], s[2:3], s[4:5]
	s_delay_alu instid0(SALU_CYCLE_1)
	s_add_nc_u64 s[0:1], s[4:5], 0xc4
	s_add_nc_u64 s[4:5], s[2:3], s[10:11]
.LBB5_54:                               ; =>This Inner Loop Header: Depth=1
	s_load_b96 s[12:14], s[4:5], 0x4
	s_load_b64 s[10:11], s[0:1], 0x0
	s_add_co_i32 s6, s6, -1
	s_wait_xcnt 0x0
	s_add_nc_u64 s[4:5], s[4:5], 12
	s_cmp_lg_u32 s6, 0
	s_add_nc_u64 s[0:1], s[0:1], 8
	s_wait_kmcnt 0x0
	v_mul_hi_u32 v10, s13, v9
	s_delay_alu instid0(VALU_DEP_1) | instskip(NEXT) | instid1(VALU_DEP_1)
	v_add_nc_u32_e32 v10, v9, v10
	v_lshrrev_b32_e32 v10, s14, v10
	s_delay_alu instid0(VALU_DEP_1) | instskip(NEXT) | instid1(VALU_DEP_1)
	v_mul_lo_u32 v11, v10, s12
	v_sub_nc_u32_e32 v9, v9, v11
	s_delay_alu instid0(VALU_DEP_1)
	v_mad_u32 v1, v9, s11, v1
	v_mad_u32 v0, v9, s10, v0
	v_mov_b32_e32 v9, v10
	s_cbranch_scc1 .LBB5_54
.LBB5_55:
	s_and_not1_b32 vcc_lo, exec_lo, s8
	s_cbranch_vccnz .LBB5_58
; %bb.56:
	s_clause 0x1
	s_load_b96 s[4:6], s[2:3], 0x4
	s_load_b64 s[0:1], s[2:3], 0xc4
	s_cmp_lt_u32 s28, 2
	s_wait_kmcnt 0x0
	v_mul_hi_u32 v0, s5, v7
	s_delay_alu instid0(VALU_DEP_1) | instskip(NEXT) | instid1(VALU_DEP_1)
	v_add_nc_u32_e32 v0, v7, v0
	v_lshrrev_b32_e32 v9, s6, v0
	s_delay_alu instid0(VALU_DEP_1) | instskip(NEXT) | instid1(VALU_DEP_1)
	v_mul_lo_u32 v0, v9, s4
	v_sub_nc_u32_e32 v0, v7, v0
	s_delay_alu instid0(VALU_DEP_1)
	v_mul_lo_u32 v1, v0, s1
	v_mul_lo_u32 v0, v0, s0
	s_cbranch_scc1 .LBB5_58
; %bb.57:
	s_clause 0x1
	s_load_b96 s[4:6], s[2:3], 0x10
	s_load_b64 s[0:1], s[2:3], 0xcc
	s_wait_kmcnt 0x0
	v_mul_hi_u32 v7, s5, v9
	s_delay_alu instid0(VALU_DEP_1) | instskip(NEXT) | instid1(VALU_DEP_1)
	v_add_nc_u32_e32 v7, v9, v7
	v_lshrrev_b32_e32 v7, s6, v7
	s_delay_alu instid0(VALU_DEP_1) | instskip(NEXT) | instid1(VALU_DEP_1)
	v_mul_lo_u32 v7, v7, s4
	v_sub_nc_u32_e32 v7, v9, v7
	s_delay_alu instid0(VALU_DEP_1)
	v_mad_u32 v0, v7, s0, v0
	v_mad_u32 v1, v7, s1, v1
.LBB5_58:
	v_cmp_ne_u32_e32 vcc_lo, 1, v6
	s_cbranch_vccnz .LBB5_64
; %bb.59:
	s_cmp_lg_u32 s28, 0
	s_mov_b32 s8, 0
	s_cbranch_scc0 .LBB5_65
; %bb.60:
	s_min_u32 s1, s29, 15
	s_delay_alu instid0(SALU_CYCLE_1)
	s_add_co_i32 s1, s1, 1
	s_cmp_eq_u32 s29, 2
	s_cbranch_scc1 .LBB5_66
; %bb.61:
	v_dual_mov_b32 v6, 0 :: v_dual_mov_b32 v7, 0
	v_mov_b32_e32 v9, v8
	s_and_b32 s0, s1, 28
	s_add_nc_u64 s[4:5], s[2:3], 0xc4
	s_mov_b32 s9, 0
	s_mov_b64 s[6:7], s[2:3]
.LBB5_62:                               ; =>This Inner Loop Header: Depth=1
	s_clause 0x1
	s_load_b256 s[12:19], s[6:7], 0x4
	s_load_b128 s[36:39], s[6:7], 0x24
	s_load_b256 s[20:27], s[4:5], 0x0
	s_add_co_i32 s9, s9, 4
	s_wait_xcnt 0x0
	s_add_nc_u64 s[6:7], s[6:7], 48
	s_cmp_lg_u32 s0, s9
	s_add_nc_u64 s[4:5], s[4:5], 32
	s_wait_kmcnt 0x0
	v_mul_hi_u32 v10, s13, v9
	s_delay_alu instid0(VALU_DEP_1) | instskip(NEXT) | instid1(VALU_DEP_1)
	v_add_nc_u32_e32 v10, v9, v10
	v_lshrrev_b32_e32 v10, s14, v10
	s_delay_alu instid0(VALU_DEP_1) | instskip(NEXT) | instid1(VALU_DEP_1)
	v_mul_hi_u32 v11, s16, v10
	v_add_nc_u32_e32 v11, v10, v11
	s_delay_alu instid0(VALU_DEP_1) | instskip(NEXT) | instid1(VALU_DEP_1)
	v_lshrrev_b32_e32 v11, s17, v11
	v_mul_hi_u32 v12, s19, v11
	s_delay_alu instid0(VALU_DEP_1) | instskip(SKIP_1) | instid1(VALU_DEP_1)
	v_add_nc_u32_e32 v12, v11, v12
	v_mul_lo_u32 v13, v10, s12
	v_sub_nc_u32_e32 v9, v9, v13
	v_mul_lo_u32 v13, v11, s15
	s_delay_alu instid0(VALU_DEP_4) | instskip(NEXT) | instid1(VALU_DEP_3)
	v_lshrrev_b32_e32 v12, s36, v12
	v_mad_u32 v7, v9, s21, v7
	v_mad_u32 v6, v9, s20, v6
	s_delay_alu instid0(VALU_DEP_4) | instskip(NEXT) | instid1(VALU_DEP_4)
	v_sub_nc_u32_e32 v9, v10, v13
	v_mul_hi_u32 v14, s38, v12
	v_mul_lo_u32 v10, v12, s18
	s_delay_alu instid0(VALU_DEP_3) | instskip(SKIP_1) | instid1(VALU_DEP_4)
	v_mad_u32 v7, v9, s23, v7
	v_mad_u32 v6, v9, s22, v6
	v_add_nc_u32_e32 v13, v12, v14
	s_delay_alu instid0(VALU_DEP_1) | instskip(NEXT) | instid1(VALU_DEP_1)
	v_dual_sub_nc_u32 v10, v11, v10 :: v_dual_lshrrev_b32 v9, s39, v13
	v_mad_u32 v7, v10, s25, v7
	s_delay_alu instid0(VALU_DEP_4) | instskip(NEXT) | instid1(VALU_DEP_3)
	v_mad_u32 v6, v10, s24, v6
	v_mul_lo_u32 v11, v9, s37
	s_delay_alu instid0(VALU_DEP_1) | instskip(NEXT) | instid1(VALU_DEP_1)
	v_sub_nc_u32_e32 v10, v12, v11
	v_mad_u32 v7, v10, s27, v7
	s_delay_alu instid0(VALU_DEP_4)
	v_mad_u32 v6, v10, s26, v6
	s_cbranch_scc1 .LBB5_62
; %bb.63:
	s_and_b32 s6, s1, 3
	s_mov_b32 s1, 0
	s_cmp_eq_u32 s6, 0
	s_cbranch_scc0 .LBB5_67
	s_branch .LBB5_69
.LBB5_64:
	s_mov_b32 s8, -1
                                        ; implicit-def: $vgpr7
	s_branch .LBB5_69
.LBB5_65:
	v_dual_mov_b32 v7, 0 :: v_dual_mov_b32 v6, 0
	s_branch .LBB5_69
.LBB5_66:
	v_mov_b64_e32 v[6:7], 0
	v_mov_b32_e32 v9, v8
	s_mov_b32 s0, 0
	s_and_b32 s6, s1, 3
	s_mov_b32 s1, 0
	s_cmp_eq_u32 s6, 0
	s_cbranch_scc1 .LBB5_69
.LBB5_67:
	s_lshl_b32 s4, s0, 3
	s_mov_b32 s5, s1
	s_mul_u64 s[10:11], s[0:1], 12
	s_add_nc_u64 s[4:5], s[2:3], s[4:5]
	s_delay_alu instid0(SALU_CYCLE_1)
	s_add_nc_u64 s[0:1], s[4:5], 0xc4
	s_add_nc_u64 s[4:5], s[2:3], s[10:11]
.LBB5_68:                               ; =>This Inner Loop Header: Depth=1
	s_load_b96 s[12:14], s[4:5], 0x4
	s_load_b64 s[10:11], s[0:1], 0x0
	s_add_co_i32 s6, s6, -1
	s_wait_xcnt 0x0
	s_add_nc_u64 s[4:5], s[4:5], 12
	s_cmp_lg_u32 s6, 0
	s_add_nc_u64 s[0:1], s[0:1], 8
	s_wait_kmcnt 0x0
	v_mul_hi_u32 v10, s13, v9
	s_delay_alu instid0(VALU_DEP_1) | instskip(NEXT) | instid1(VALU_DEP_1)
	v_add_nc_u32_e32 v10, v9, v10
	v_lshrrev_b32_e32 v10, s14, v10
	s_delay_alu instid0(VALU_DEP_1) | instskip(NEXT) | instid1(VALU_DEP_1)
	v_mul_lo_u32 v11, v10, s12
	v_sub_nc_u32_e32 v9, v9, v11
	s_delay_alu instid0(VALU_DEP_1)
	v_mad_u32 v7, v9, s11, v7
	v_mad_u32 v6, v9, s10, v6
	v_mov_b32_e32 v9, v10
	s_cbranch_scc1 .LBB5_68
.LBB5_69:
	s_and_not1_b32 vcc_lo, exec_lo, s8
	s_cbranch_vccnz .LBB5_72
; %bb.70:
	s_clause 0x1
	s_load_b96 s[4:6], s[2:3], 0x4
	s_load_b64 s[0:1], s[2:3], 0xc4
	s_cmp_lt_u32 s28, 2
	s_wait_kmcnt 0x0
	v_mul_hi_u32 v6, s5, v8
	s_delay_alu instid0(VALU_DEP_1) | instskip(NEXT) | instid1(VALU_DEP_1)
	v_add_nc_u32_e32 v6, v8, v6
	v_lshrrev_b32_e32 v9, s6, v6
	s_delay_alu instid0(VALU_DEP_1) | instskip(NEXT) | instid1(VALU_DEP_1)
	v_mul_lo_u32 v6, v9, s4
	v_sub_nc_u32_e32 v6, v8, v6
	s_delay_alu instid0(VALU_DEP_1)
	v_mul_lo_u32 v7, v6, s1
	v_mul_lo_u32 v6, v6, s0
	s_cbranch_scc1 .LBB5_72
; %bb.71:
	s_clause 0x1
	s_load_b96 s[4:6], s[2:3], 0x10
	s_load_b64 s[0:1], s[2:3], 0xcc
	s_wait_kmcnt 0x0
	v_mul_hi_u32 v8, s5, v9
	s_delay_alu instid0(VALU_DEP_1) | instskip(NEXT) | instid1(VALU_DEP_1)
	v_add_nc_u32_e32 v8, v9, v8
	v_lshrrev_b32_e32 v8, s6, v8
	s_delay_alu instid0(VALU_DEP_1) | instskip(NEXT) | instid1(VALU_DEP_1)
	v_mul_lo_u32 v8, v8, s4
	v_sub_nc_u32_e32 v8, v9, v8
	s_delay_alu instid0(VALU_DEP_1)
	v_mad_u32 v6, v8, s0, v6
	v_mad_u32 v7, v8, s1, v7
.LBB5_72:
	s_load_b128 s[8:11], s[2:3], 0x148
                                        ; implicit-def: $vgpr10_vgpr11
                                        ; implicit-def: $vgpr14_vgpr15
	s_wait_kmcnt 0x0
	global_load_b64 v[8:9], v3, s[10:11]
                                        ; implicit-def: $vgpr3
	s_wait_loadcnt 0x0
	v_cmp_ngt_f64_e64 s0, 0x41d00000, |v[8:9]|
	s_wait_xcnt 0x0
	s_and_saveexec_b32 s1, s0
	s_delay_alu instid0(SALU_CYCLE_1)
	s_xor_b32 s0, exec_lo, s1
	s_cbranch_execz .LBB5_74
; %bb.73:
	v_ldexp_f64 v[10:11], |v[8:9]|, 0xffffff80
	v_cmp_le_f64_e64 vcc_lo, 0x7b000000, |v[8:9]|
	v_trig_preop_f64 v[12:13], |v[8:9]|, 0
	v_and_b32_e32 v3, 0x7fffffff, v9
	v_trig_preop_f64 v[14:15], |v[8:9]|, 1
	v_trig_preop_f64 v[24:25], |v[8:9]|, 2
	s_mov_b64 s[2:3], 0x3ff921fb54442d18
	s_delay_alu instid0(VALU_DEP_3) | instskip(SKIP_1) | instid1(VALU_DEP_1)
	v_dual_mov_b32 v32, 0 :: v_dual_cndmask_b32 v11, v3, v11
	v_cndmask_b32_e32 v10, v8, v10, vcc_lo
	v_mul_f64_e32 v[16:17], v[12:13], v[10:11]
	v_mul_f64_e32 v[18:19], v[14:15], v[10:11]
	;; [unrolled: 1-line block ×3, first 2 shown]
	s_delay_alu instid0(VALU_DEP_3) | instskip(NEXT) | instid1(VALU_DEP_3)
	v_fma_f64 v[12:13], v[12:13], v[10:11], -v[16:17]
	v_fma_f64 v[14:15], v[14:15], v[10:11], -v[18:19]
	s_delay_alu instid0(VALU_DEP_3) | instskip(NEXT) | instid1(VALU_DEP_3)
	v_fma_f64 v[10:11], v[24:25], v[10:11], -v[30:31]
	v_add_f64_e32 v[20:21], v[18:19], v[12:13]
	s_delay_alu instid0(VALU_DEP_1) | instskip(SKIP_1) | instid1(VALU_DEP_2)
	v_add_f64_e64 v[22:23], v[20:21], -v[18:19]
	v_add_f64_e32 v[28:29], v[16:17], v[20:21]
	v_add_f64_e64 v[26:27], v[20:21], -v[22:23]
	v_add_f64_e64 v[12:13], v[12:13], -v[22:23]
	s_delay_alu instid0(VALU_DEP_3) | instskip(NEXT) | instid1(VALU_DEP_3)
	v_ldexp_f64 v[22:23], v[28:29], -2
	v_add_f64_e64 v[18:19], v[18:19], -v[26:27]
	v_add_f64_e32 v[26:27], v[30:31], v[14:15]
	s_delay_alu instid0(VALU_DEP_3) | instskip(NEXT) | instid1(VALU_DEP_3)
	v_cmp_neq_f64_e64 vcc_lo, 0x7ff00000, |v[22:23]|
	v_add_f64_e32 v[12:13], v[12:13], v[18:19]
	v_fract_f64_e32 v[18:19], v[22:23]
	s_delay_alu instid0(VALU_DEP_1) | instskip(NEXT) | instid1(VALU_DEP_1)
	v_ldexp_f64 v[18:19], v[18:19], 2
	v_dual_add_f64 v[16:17], v[28:29], -v[16:17] :: v_dual_cndmask_b32 v18, 0, v18, vcc_lo
	s_delay_alu instid0(VALU_DEP_1) | instskip(SKIP_1) | instid1(VALU_DEP_1)
	v_dual_add_f64 v[16:17], v[20:21], -v[16:17] :: v_dual_cndmask_b32 v19, 0, v19, vcc_lo
	v_add_f64_e32 v[20:21], v[26:27], v[12:13]
	v_add_f64_e32 v[22:23], v[16:17], v[20:21]
	v_add_f64_e64 v[34:35], v[20:21], -v[26:27]
	s_delay_alu instid0(VALU_DEP_2) | instskip(NEXT) | instid1(VALU_DEP_2)
	v_add_f64_e32 v[28:29], v[22:23], v[18:19]
	v_add_f64_e64 v[40:41], v[20:21], -v[34:35]
	v_add_f64_e64 v[12:13], v[12:13], -v[34:35]
	;; [unrolled: 1-line block ×3, first 2 shown]
	s_delay_alu instid0(VALU_DEP_4) | instskip(SKIP_1) | instid1(VALU_DEP_3)
	v_cmp_gt_f64_e32 vcc_lo, 0, v[28:29]
	v_add_f64_e64 v[28:29], v[26:27], -v[30:31]
	v_add_f64_e64 v[16:17], v[20:21], -v[16:17]
	v_cndmask_b32_e64 v33, 0, 0x40100000, vcc_lo
	s_delay_alu instid0(VALU_DEP_3) | instskip(SKIP_2) | instid1(VALU_DEP_4)
	v_add_f64_e64 v[38:39], v[26:27], -v[28:29]
	v_add_f64_e64 v[14:15], v[14:15], -v[28:29]
	;; [unrolled: 1-line block ×3, first 2 shown]
	v_add_f64_e32 v[18:19], v[18:19], v[32:33]
	s_delay_alu instid0(VALU_DEP_4) | instskip(NEXT) | instid1(VALU_DEP_3)
	v_add_f64_e64 v[28:29], v[30:31], -v[38:39]
	v_add_f64_e32 v[12:13], v[12:13], v[26:27]
	s_delay_alu instid0(VALU_DEP_3) | instskip(NEXT) | instid1(VALU_DEP_3)
	v_add_f64_e32 v[36:37], v[22:23], v[18:19]
	v_add_f64_e32 v[14:15], v[14:15], v[28:29]
	s_delay_alu instid0(VALU_DEP_2) | instskip(NEXT) | instid1(VALU_DEP_2)
	v_cvt_i32_f64_e32 v3, v[36:37]
	v_add_f64_e32 v[12:13], v[14:15], v[12:13]
	s_delay_alu instid0(VALU_DEP_2) | instskip(NEXT) | instid1(VALU_DEP_2)
	v_cvt_f64_i32_e32 v[34:35], v3
	v_add_f64_e32 v[10:11], v[10:11], v[12:13]
	s_delay_alu instid0(VALU_DEP_2) | instskip(NEXT) | instid1(VALU_DEP_2)
	v_add_f64_e64 v[18:19], v[18:19], -v[34:35]
	v_add_f64_e32 v[10:11], v[16:17], v[10:11]
	s_delay_alu instid0(VALU_DEP_2) | instskip(NEXT) | instid1(VALU_DEP_1)
	v_add_f64_e32 v[14:15], v[22:23], v[18:19]
	v_add_f64_e64 v[12:13], v[14:15], -v[18:19]
	v_cmp_le_f64_e32 vcc_lo, 0.5, v[14:15]
	s_delay_alu instid0(VALU_DEP_2) | instskip(SKIP_2) | instid1(VALU_DEP_3)
	v_add_f64_e64 v[12:13], v[22:23], -v[12:13]
	v_cndmask_b32_e64 v33, 0, 0x3ff00000, vcc_lo
	v_add_co_ci_u32_e64 v3, null, 0, v3, vcc_lo
	v_add_f64_e32 v[10:11], v[10:11], v[12:13]
	s_delay_alu instid0(VALU_DEP_3) | instskip(NEXT) | instid1(VALU_DEP_1)
	v_add_f64_e64 v[12:13], v[14:15], -v[32:33]
	v_add_f64_e32 v[14:15], v[12:13], v[10:11]
	s_delay_alu instid0(VALU_DEP_1) | instskip(SKIP_1) | instid1(VALU_DEP_2)
	v_mul_f64_e32 v[16:17], 0x3ff921fb54442d18, v[14:15]
	v_add_f64_e64 v[12:13], v[14:15], -v[12:13]
	v_fma_f64 v[18:19], v[14:15], s[2:3], -v[16:17]
	s_delay_alu instid0(VALU_DEP_2) | instskip(NEXT) | instid1(VALU_DEP_2)
	v_add_f64_e64 v[10:11], v[10:11], -v[12:13]
	v_fmamk_f64 v[12:13], v[14:15], 0x3c91a62633145c07, v[18:19]
	s_delay_alu instid0(VALU_DEP_1) | instskip(NEXT) | instid1(VALU_DEP_1)
	v_fmac_f64_e32 v[12:13], 0x3ff921fb54442d18, v[10:11]
	v_add_f64_e32 v[10:11], v[16:17], v[12:13]
	s_delay_alu instid0(VALU_DEP_1) | instskip(NEXT) | instid1(VALU_DEP_1)
	v_add_f64_e64 v[14:15], v[10:11], -v[16:17]
	v_add_f64_e64 v[14:15], v[12:13], -v[14:15]
.LBB5_74:
	s_and_not1_saveexec_b32 s0, s0
	s_cbranch_execz .LBB5_76
; %bb.75:
	s_mov_b64 s[2:3], 0x3fe45f306dc9c883
	s_delay_alu instid0(SALU_CYCLE_1) | instskip(SKIP_1) | instid1(VALU_DEP_1)
	v_mul_f64_e64 v[10:11], |v[8:9]|, s[2:3]
	s_mov_b64 s[2:3], 0xbff921fb54442d18
	v_rndne_f64_e32 v[12:13], v[10:11]
	s_delay_alu instid0(VALU_DEP_1) | instskip(SKIP_2) | instid1(VALU_DEP_3)
	v_fma_f64 v[10:11], v[12:13], s[2:3], |v[8:9]|
	v_mul_f64_e32 v[14:15], 0xbc91a62633145c00, v[12:13]
	v_cvt_i32_f64_e32 v3, v[12:13]
	v_fmamk_f64 v[20:21], v[12:13], 0xbc91a62633145c00, v[10:11]
	s_delay_alu instid0(VALU_DEP_3) | instskip(NEXT) | instid1(VALU_DEP_1)
	v_add_f64_e32 v[16:17], v[10:11], v[14:15]
	v_add_f64_e64 v[18:19], v[10:11], -v[16:17]
	s_delay_alu instid0(VALU_DEP_3) | instskip(NEXT) | instid1(VALU_DEP_2)
	v_add_f64_e64 v[10:11], v[16:17], -v[20:21]
	v_add_f64_e32 v[16:17], v[18:19], v[14:15]
	v_fmamk_f64 v[14:15], v[12:13], 0x3c91a62633145c00, v[14:15]
	s_delay_alu instid0(VALU_DEP_2) | instskip(NEXT) | instid1(VALU_DEP_1)
	v_add_f64_e32 v[10:11], v[10:11], v[16:17]
	v_add_f64_e64 v[10:11], v[10:11], -v[14:15]
	s_delay_alu instid0(VALU_DEP_1) | instskip(NEXT) | instid1(VALU_DEP_1)
	v_fmamk_f64 v[14:15], v[12:13], 0xb97b839a252049c0, v[10:11]
	v_add_f64_e32 v[10:11], v[20:21], v[14:15]
	s_delay_alu instid0(VALU_DEP_1) | instskip(NEXT) | instid1(VALU_DEP_1)
	v_add_f64_e64 v[16:17], v[10:11], -v[20:21]
	v_add_f64_e64 v[14:15], v[14:15], -v[16:17]
.LBB5_76:
	s_or_b32 exec_lo, exec_lo, s0
	global_load_b64 v[12:13], v5, s[10:11]
                                        ; implicit-def: $vgpr5
                                        ; implicit-def: $vgpr16_vgpr17
                                        ; implicit-def: $vgpr20_vgpr21
	s_wait_loadcnt 0x0
	v_cmp_ngt_f64_e64 s0, 0x41d00000, |v[12:13]|
	s_wait_xcnt 0x0
	s_and_saveexec_b32 s1, s0
	s_delay_alu instid0(SALU_CYCLE_1)
	s_xor_b32 s0, exec_lo, s1
	s_cbranch_execz .LBB5_78
; %bb.77:
	v_ldexp_f64 v[16:17], |v[12:13]|, 0xffffff80
	v_cmp_le_f64_e64 vcc_lo, 0x7b000000, |v[12:13]|
	v_trig_preop_f64 v[18:19], |v[12:13]|, 0
	v_and_b32_e32 v5, 0x7fffffff, v13
	v_trig_preop_f64 v[20:21], |v[12:13]|, 1
	v_trig_preop_f64 v[30:31], |v[12:13]|, 2
	s_mov_b64 s[2:3], 0x3ff921fb54442d18
	s_delay_alu instid0(VALU_DEP_3) | instskip(SKIP_1) | instid1(VALU_DEP_1)
	v_dual_mov_b32 v38, 0 :: v_dual_cndmask_b32 v17, v5, v17
	v_cndmask_b32_e32 v16, v12, v16, vcc_lo
	v_mul_f64_e32 v[22:23], v[18:19], v[16:17]
	v_mul_f64_e32 v[24:25], v[20:21], v[16:17]
	;; [unrolled: 1-line block ×3, first 2 shown]
	s_delay_alu instid0(VALU_DEP_3) | instskip(NEXT) | instid1(VALU_DEP_3)
	v_fma_f64 v[18:19], v[18:19], v[16:17], -v[22:23]
	v_fma_f64 v[20:21], v[20:21], v[16:17], -v[24:25]
	s_delay_alu instid0(VALU_DEP_3) | instskip(NEXT) | instid1(VALU_DEP_3)
	v_fma_f64 v[16:17], v[30:31], v[16:17], -v[36:37]
	v_add_f64_e32 v[26:27], v[24:25], v[18:19]
	s_delay_alu instid0(VALU_DEP_1) | instskip(SKIP_1) | instid1(VALU_DEP_2)
	v_add_f64_e64 v[28:29], v[26:27], -v[24:25]
	v_add_f64_e32 v[34:35], v[22:23], v[26:27]
	v_add_f64_e64 v[32:33], v[26:27], -v[28:29]
	v_add_f64_e64 v[18:19], v[18:19], -v[28:29]
	s_delay_alu instid0(VALU_DEP_3) | instskip(NEXT) | instid1(VALU_DEP_3)
	v_ldexp_f64 v[28:29], v[34:35], -2
	v_add_f64_e64 v[24:25], v[24:25], -v[32:33]
	v_add_f64_e32 v[32:33], v[36:37], v[20:21]
	s_delay_alu instid0(VALU_DEP_3) | instskip(NEXT) | instid1(VALU_DEP_3)
	v_cmp_neq_f64_e64 vcc_lo, 0x7ff00000, |v[28:29]|
	v_add_f64_e32 v[18:19], v[18:19], v[24:25]
	v_fract_f64_e32 v[24:25], v[28:29]
	s_delay_alu instid0(VALU_DEP_1) | instskip(NEXT) | instid1(VALU_DEP_1)
	v_ldexp_f64 v[24:25], v[24:25], 2
	v_dual_add_f64 v[22:23], v[34:35], -v[22:23] :: v_dual_cndmask_b32 v24, 0, v24, vcc_lo
	s_delay_alu instid0(VALU_DEP_1) | instskip(SKIP_1) | instid1(VALU_DEP_1)
	v_dual_add_f64 v[22:23], v[26:27], -v[22:23] :: v_dual_cndmask_b32 v25, 0, v25, vcc_lo
	v_add_f64_e32 v[26:27], v[32:33], v[18:19]
	v_add_f64_e32 v[28:29], v[22:23], v[26:27]
	v_add_f64_e64 v[40:41], v[26:27], -v[32:33]
	s_delay_alu instid0(VALU_DEP_2) | instskip(NEXT) | instid1(VALU_DEP_2)
	v_add_f64_e32 v[34:35], v[28:29], v[24:25]
	v_add_f64_e64 v[46:47], v[26:27], -v[40:41]
	v_add_f64_e64 v[18:19], v[18:19], -v[40:41]
	;; [unrolled: 1-line block ×3, first 2 shown]
	s_delay_alu instid0(VALU_DEP_4) | instskip(SKIP_1) | instid1(VALU_DEP_3)
	v_cmp_gt_f64_e32 vcc_lo, 0, v[34:35]
	v_add_f64_e64 v[34:35], v[32:33], -v[36:37]
	v_add_f64_e64 v[22:23], v[26:27], -v[22:23]
	v_cndmask_b32_e64 v39, 0, 0x40100000, vcc_lo
	s_delay_alu instid0(VALU_DEP_3) | instskip(SKIP_2) | instid1(VALU_DEP_4)
	v_add_f64_e64 v[44:45], v[32:33], -v[34:35]
	v_add_f64_e64 v[20:21], v[20:21], -v[34:35]
	;; [unrolled: 1-line block ×3, first 2 shown]
	v_add_f64_e32 v[24:25], v[24:25], v[38:39]
	s_delay_alu instid0(VALU_DEP_4) | instskip(NEXT) | instid1(VALU_DEP_3)
	v_add_f64_e64 v[34:35], v[36:37], -v[44:45]
	v_add_f64_e32 v[18:19], v[18:19], v[32:33]
	s_delay_alu instid0(VALU_DEP_3) | instskip(NEXT) | instid1(VALU_DEP_3)
	v_add_f64_e32 v[42:43], v[28:29], v[24:25]
	v_add_f64_e32 v[20:21], v[20:21], v[34:35]
	s_delay_alu instid0(VALU_DEP_2) | instskip(NEXT) | instid1(VALU_DEP_2)
	v_cvt_i32_f64_e32 v5, v[42:43]
	v_add_f64_e32 v[18:19], v[20:21], v[18:19]
	s_delay_alu instid0(VALU_DEP_2) | instskip(NEXT) | instid1(VALU_DEP_2)
	v_cvt_f64_i32_e32 v[40:41], v5
	v_add_f64_e32 v[16:17], v[16:17], v[18:19]
	s_delay_alu instid0(VALU_DEP_2) | instskip(NEXT) | instid1(VALU_DEP_2)
	v_add_f64_e64 v[24:25], v[24:25], -v[40:41]
	v_add_f64_e32 v[16:17], v[22:23], v[16:17]
	s_delay_alu instid0(VALU_DEP_2) | instskip(NEXT) | instid1(VALU_DEP_1)
	v_add_f64_e32 v[20:21], v[28:29], v[24:25]
	v_add_f64_e64 v[18:19], v[20:21], -v[24:25]
	v_cmp_le_f64_e32 vcc_lo, 0.5, v[20:21]
	s_delay_alu instid0(VALU_DEP_2) | instskip(SKIP_2) | instid1(VALU_DEP_3)
	v_add_f64_e64 v[18:19], v[28:29], -v[18:19]
	v_cndmask_b32_e64 v39, 0, 0x3ff00000, vcc_lo
	v_add_co_ci_u32_e64 v5, null, 0, v5, vcc_lo
	v_add_f64_e32 v[16:17], v[16:17], v[18:19]
	s_delay_alu instid0(VALU_DEP_3) | instskip(NEXT) | instid1(VALU_DEP_1)
	v_add_f64_e64 v[18:19], v[20:21], -v[38:39]
	v_add_f64_e32 v[20:21], v[18:19], v[16:17]
	s_delay_alu instid0(VALU_DEP_1) | instskip(SKIP_1) | instid1(VALU_DEP_2)
	v_mul_f64_e32 v[22:23], 0x3ff921fb54442d18, v[20:21]
	v_add_f64_e64 v[18:19], v[20:21], -v[18:19]
	v_fma_f64 v[24:25], v[20:21], s[2:3], -v[22:23]
	s_delay_alu instid0(VALU_DEP_2) | instskip(NEXT) | instid1(VALU_DEP_2)
	v_add_f64_e64 v[16:17], v[16:17], -v[18:19]
	v_fmamk_f64 v[18:19], v[20:21], 0x3c91a62633145c07, v[24:25]
	s_delay_alu instid0(VALU_DEP_1) | instskip(NEXT) | instid1(VALU_DEP_1)
	v_fmac_f64_e32 v[18:19], 0x3ff921fb54442d18, v[16:17]
	v_add_f64_e32 v[16:17], v[22:23], v[18:19]
	s_delay_alu instid0(VALU_DEP_1) | instskip(NEXT) | instid1(VALU_DEP_1)
	v_add_f64_e64 v[20:21], v[16:17], -v[22:23]
	v_add_f64_e64 v[20:21], v[18:19], -v[20:21]
.LBB5_78:
	s_and_not1_saveexec_b32 s0, s0
	s_cbranch_execz .LBB5_80
; %bb.79:
	s_mov_b64 s[2:3], 0x3fe45f306dc9c883
	s_delay_alu instid0(SALU_CYCLE_1) | instskip(SKIP_1) | instid1(VALU_DEP_1)
	v_mul_f64_e64 v[16:17], |v[12:13]|, s[2:3]
	s_mov_b64 s[2:3], 0xbff921fb54442d18
	v_rndne_f64_e32 v[18:19], v[16:17]
	s_delay_alu instid0(VALU_DEP_1) | instskip(SKIP_2) | instid1(VALU_DEP_3)
	v_fma_f64 v[16:17], v[18:19], s[2:3], |v[12:13]|
	v_mul_f64_e32 v[20:21], 0xbc91a62633145c00, v[18:19]
	v_cvt_i32_f64_e32 v5, v[18:19]
	v_fmamk_f64 v[26:27], v[18:19], 0xbc91a62633145c00, v[16:17]
	s_delay_alu instid0(VALU_DEP_3) | instskip(NEXT) | instid1(VALU_DEP_1)
	v_add_f64_e32 v[22:23], v[16:17], v[20:21]
	v_add_f64_e64 v[24:25], v[16:17], -v[22:23]
	s_delay_alu instid0(VALU_DEP_3) | instskip(NEXT) | instid1(VALU_DEP_2)
	v_add_f64_e64 v[16:17], v[22:23], -v[26:27]
	v_add_f64_e32 v[22:23], v[24:25], v[20:21]
	v_fmamk_f64 v[20:21], v[18:19], 0x3c91a62633145c00, v[20:21]
	s_delay_alu instid0(VALU_DEP_2) | instskip(NEXT) | instid1(VALU_DEP_1)
	v_add_f64_e32 v[16:17], v[16:17], v[22:23]
	v_add_f64_e64 v[16:17], v[16:17], -v[20:21]
	s_delay_alu instid0(VALU_DEP_1) | instskip(NEXT) | instid1(VALU_DEP_1)
	v_fmamk_f64 v[20:21], v[18:19], 0xb97b839a252049c0, v[16:17]
	v_add_f64_e32 v[16:17], v[26:27], v[20:21]
	s_delay_alu instid0(VALU_DEP_1) | instskip(NEXT) | instid1(VALU_DEP_1)
	v_add_f64_e64 v[22:23], v[16:17], -v[26:27]
	v_add_f64_e64 v[20:21], v[20:21], -v[22:23]
.LBB5_80:
	s_or_b32 exec_lo, exec_lo, s0
	global_load_b64 v[18:19], v1, s[10:11]
                                        ; implicit-def: $vgpr1
                                        ; implicit-def: $vgpr24_vgpr25
                                        ; implicit-def: $vgpr26_vgpr27
	s_wait_loadcnt 0x0
	v_cmp_ngt_f64_e64 s0, 0x41d00000, |v[18:19]|
	s_wait_xcnt 0x0
	s_and_saveexec_b32 s1, s0
	s_delay_alu instid0(SALU_CYCLE_1)
	s_xor_b32 s0, exec_lo, s1
	s_cbranch_execz .LBB5_82
; %bb.81:
	v_ldexp_f64 v[22:23], |v[18:19]|, 0xffffff80
	v_cmp_le_f64_e64 vcc_lo, 0x7b000000, |v[18:19]|
	v_trig_preop_f64 v[24:25], |v[18:19]|, 0
	v_and_b32_e32 v1, 0x7fffffff, v19
	v_trig_preop_f64 v[26:27], |v[18:19]|, 1
	v_trig_preop_f64 v[36:37], |v[18:19]|, 2
	s_mov_b64 s[2:3], 0x3ff921fb54442d18
	s_delay_alu instid0(VALU_DEP_3) | instskip(SKIP_1) | instid1(VALU_DEP_1)
	v_dual_mov_b32 v44, 0 :: v_dual_cndmask_b32 v23, v1, v23
	v_cndmask_b32_e32 v22, v18, v22, vcc_lo
	v_mul_f64_e32 v[28:29], v[24:25], v[22:23]
	v_mul_f64_e32 v[30:31], v[26:27], v[22:23]
	;; [unrolled: 1-line block ×3, first 2 shown]
	s_delay_alu instid0(VALU_DEP_3) | instskip(NEXT) | instid1(VALU_DEP_3)
	v_fma_f64 v[24:25], v[24:25], v[22:23], -v[28:29]
	v_fma_f64 v[26:27], v[26:27], v[22:23], -v[30:31]
	s_delay_alu instid0(VALU_DEP_3) | instskip(NEXT) | instid1(VALU_DEP_3)
	v_fma_f64 v[22:23], v[36:37], v[22:23], -v[42:43]
	v_add_f64_e32 v[32:33], v[30:31], v[24:25]
	s_delay_alu instid0(VALU_DEP_1) | instskip(SKIP_1) | instid1(VALU_DEP_2)
	v_add_f64_e64 v[34:35], v[32:33], -v[30:31]
	v_add_f64_e32 v[40:41], v[28:29], v[32:33]
	v_add_f64_e64 v[38:39], v[32:33], -v[34:35]
	v_add_f64_e64 v[24:25], v[24:25], -v[34:35]
	s_delay_alu instid0(VALU_DEP_3) | instskip(NEXT) | instid1(VALU_DEP_3)
	v_ldexp_f64 v[34:35], v[40:41], -2
	v_add_f64_e64 v[30:31], v[30:31], -v[38:39]
	v_add_f64_e32 v[38:39], v[42:43], v[26:27]
	s_delay_alu instid0(VALU_DEP_3) | instskip(NEXT) | instid1(VALU_DEP_3)
	v_cmp_neq_f64_e64 vcc_lo, 0x7ff00000, |v[34:35]|
	v_add_f64_e32 v[24:25], v[24:25], v[30:31]
	v_fract_f64_e32 v[30:31], v[34:35]
	s_delay_alu instid0(VALU_DEP_1) | instskip(NEXT) | instid1(VALU_DEP_1)
	v_ldexp_f64 v[30:31], v[30:31], 2
	v_dual_add_f64 v[28:29], v[40:41], -v[28:29] :: v_dual_cndmask_b32 v30, 0, v30, vcc_lo
	s_delay_alu instid0(VALU_DEP_1) | instskip(SKIP_1) | instid1(VALU_DEP_1)
	v_dual_add_f64 v[28:29], v[32:33], -v[28:29] :: v_dual_cndmask_b32 v31, 0, v31, vcc_lo
	v_add_f64_e32 v[32:33], v[38:39], v[24:25]
	v_add_f64_e32 v[34:35], v[28:29], v[32:33]
	v_add_f64_e64 v[46:47], v[32:33], -v[38:39]
	s_delay_alu instid0(VALU_DEP_2) | instskip(NEXT) | instid1(VALU_DEP_2)
	v_add_f64_e32 v[40:41], v[34:35], v[30:31]
	v_add_f64_e64 v[52:53], v[32:33], -v[46:47]
	v_add_f64_e64 v[24:25], v[24:25], -v[46:47]
	;; [unrolled: 1-line block ×3, first 2 shown]
	s_delay_alu instid0(VALU_DEP_4) | instskip(SKIP_1) | instid1(VALU_DEP_3)
	v_cmp_gt_f64_e32 vcc_lo, 0, v[40:41]
	v_add_f64_e64 v[40:41], v[38:39], -v[42:43]
	v_add_f64_e64 v[28:29], v[32:33], -v[28:29]
	v_cndmask_b32_e64 v45, 0, 0x40100000, vcc_lo
	s_delay_alu instid0(VALU_DEP_3) | instskip(SKIP_2) | instid1(VALU_DEP_4)
	v_add_f64_e64 v[50:51], v[38:39], -v[40:41]
	v_add_f64_e64 v[26:27], v[26:27], -v[40:41]
	;; [unrolled: 1-line block ×3, first 2 shown]
	v_add_f64_e32 v[30:31], v[30:31], v[44:45]
	s_delay_alu instid0(VALU_DEP_4) | instskip(NEXT) | instid1(VALU_DEP_3)
	v_add_f64_e64 v[40:41], v[42:43], -v[50:51]
	v_add_f64_e32 v[24:25], v[24:25], v[38:39]
	s_delay_alu instid0(VALU_DEP_3) | instskip(NEXT) | instid1(VALU_DEP_3)
	v_add_f64_e32 v[48:49], v[34:35], v[30:31]
	v_add_f64_e32 v[26:27], v[26:27], v[40:41]
	s_delay_alu instid0(VALU_DEP_2) | instskip(NEXT) | instid1(VALU_DEP_2)
	v_cvt_i32_f64_e32 v1, v[48:49]
	v_add_f64_e32 v[24:25], v[26:27], v[24:25]
	s_delay_alu instid0(VALU_DEP_2) | instskip(NEXT) | instid1(VALU_DEP_2)
	v_cvt_f64_i32_e32 v[46:47], v1
	v_add_f64_e32 v[22:23], v[22:23], v[24:25]
	s_delay_alu instid0(VALU_DEP_2) | instskip(NEXT) | instid1(VALU_DEP_2)
	v_add_f64_e64 v[30:31], v[30:31], -v[46:47]
	v_add_f64_e32 v[22:23], v[28:29], v[22:23]
	s_delay_alu instid0(VALU_DEP_2) | instskip(NEXT) | instid1(VALU_DEP_1)
	v_add_f64_e32 v[26:27], v[34:35], v[30:31]
	v_add_f64_e64 v[24:25], v[26:27], -v[30:31]
	v_cmp_le_f64_e32 vcc_lo, 0.5, v[26:27]
	s_delay_alu instid0(VALU_DEP_2) | instskip(SKIP_2) | instid1(VALU_DEP_3)
	v_add_f64_e64 v[24:25], v[34:35], -v[24:25]
	v_cndmask_b32_e64 v45, 0, 0x3ff00000, vcc_lo
	v_add_co_ci_u32_e64 v1, null, 0, v1, vcc_lo
	v_add_f64_e32 v[22:23], v[22:23], v[24:25]
	s_delay_alu instid0(VALU_DEP_3) | instskip(NEXT) | instid1(VALU_DEP_1)
	v_add_f64_e64 v[24:25], v[26:27], -v[44:45]
	v_add_f64_e32 v[26:27], v[24:25], v[22:23]
	s_delay_alu instid0(VALU_DEP_1) | instskip(SKIP_1) | instid1(VALU_DEP_2)
	v_mul_f64_e32 v[28:29], 0x3ff921fb54442d18, v[26:27]
	v_add_f64_e64 v[24:25], v[26:27], -v[24:25]
	v_fma_f64 v[30:31], v[26:27], s[2:3], -v[28:29]
	s_delay_alu instid0(VALU_DEP_2) | instskip(NEXT) | instid1(VALU_DEP_2)
	v_add_f64_e64 v[22:23], v[22:23], -v[24:25]
	v_fmamk_f64 v[26:27], v[26:27], 0x3c91a62633145c07, v[30:31]
	s_delay_alu instid0(VALU_DEP_1) | instskip(NEXT) | instid1(VALU_DEP_1)
	v_fmac_f64_e32 v[26:27], 0x3ff921fb54442d18, v[22:23]
	v_add_f64_e32 v[24:25], v[28:29], v[26:27]
	s_delay_alu instid0(VALU_DEP_1) | instskip(NEXT) | instid1(VALU_DEP_1)
	v_add_f64_e64 v[22:23], v[24:25], -v[28:29]
	v_add_f64_e64 v[26:27], v[26:27], -v[22:23]
.LBB5_82:
	s_and_not1_saveexec_b32 s0, s0
	s_cbranch_execz .LBB5_84
; %bb.83:
	s_mov_b64 s[2:3], 0x3fe45f306dc9c883
	s_delay_alu instid0(SALU_CYCLE_1) | instskip(SKIP_1) | instid1(VALU_DEP_1)
	v_mul_f64_e64 v[22:23], |v[18:19]|, s[2:3]
	s_mov_b64 s[2:3], 0xbff921fb54442d18
	v_rndne_f64_e32 v[22:23], v[22:23]
	s_delay_alu instid0(VALU_DEP_1) | instskip(SKIP_2) | instid1(VALU_DEP_3)
	v_fma_f64 v[24:25], v[22:23], s[2:3], |v[18:19]|
	v_mul_f64_e32 v[26:27], 0xbc91a62633145c00, v[22:23]
	v_cvt_i32_f64_e32 v1, v[22:23]
	v_fmamk_f64 v[32:33], v[22:23], 0xbc91a62633145c00, v[24:25]
	s_delay_alu instid0(VALU_DEP_3) | instskip(NEXT) | instid1(VALU_DEP_1)
	v_add_f64_e32 v[28:29], v[24:25], v[26:27]
	v_add_f64_e64 v[30:31], v[24:25], -v[28:29]
	s_delay_alu instid0(VALU_DEP_3) | instskip(NEXT) | instid1(VALU_DEP_2)
	v_add_f64_e64 v[24:25], v[28:29], -v[32:33]
	v_add_f64_e32 v[28:29], v[30:31], v[26:27]
	v_fmamk_f64 v[26:27], v[22:23], 0x3c91a62633145c00, v[26:27]
	s_delay_alu instid0(VALU_DEP_2) | instskip(NEXT) | instid1(VALU_DEP_1)
	v_add_f64_e32 v[24:25], v[24:25], v[28:29]
	v_add_f64_e64 v[24:25], v[24:25], -v[26:27]
	s_delay_alu instid0(VALU_DEP_1) | instskip(NEXT) | instid1(VALU_DEP_1)
	v_fmamk_f64 v[26:27], v[22:23], 0xb97b839a252049c0, v[24:25]
	v_add_f64_e32 v[24:25], v[32:33], v[26:27]
	s_delay_alu instid0(VALU_DEP_1) | instskip(NEXT) | instid1(VALU_DEP_1)
	v_add_f64_e64 v[28:29], v[24:25], -v[32:33]
	v_add_f64_e64 v[26:27], v[26:27], -v[28:29]
.LBB5_84:
	s_or_b32 exec_lo, exec_lo, s0
	global_load_b64 v[22:23], v7, s[10:11]
                                        ; implicit-def: $vgpr7
                                        ; implicit-def: $vgpr28_vgpr29
                                        ; implicit-def: $vgpr30_vgpr31
	s_wait_loadcnt 0x0
	v_cmp_ngt_f64_e64 s0, 0x41d00000, |v[22:23]|
	s_wait_xcnt 0x0
	s_and_saveexec_b32 s1, s0
	s_delay_alu instid0(SALU_CYCLE_1)
	s_xor_b32 s0, exec_lo, s1
	s_cbranch_execz .LBB5_86
; %bb.85:
	v_ldexp_f64 v[28:29], |v[22:23]|, 0xffffff80
	v_cmp_le_f64_e64 vcc_lo, 0x7b000000, |v[22:23]|
	v_trig_preop_f64 v[30:31], |v[22:23]|, 0
	v_and_b32_e32 v7, 0x7fffffff, v23
	v_trig_preop_f64 v[32:33], |v[22:23]|, 1
	v_trig_preop_f64 v[42:43], |v[22:23]|, 2
	s_mov_b64 s[2:3], 0x3ff921fb54442d18
	s_delay_alu instid0(VALU_DEP_3) | instskip(SKIP_1) | instid1(VALU_DEP_1)
	v_dual_mov_b32 v50, 0 :: v_dual_cndmask_b32 v29, v7, v29
	v_cndmask_b32_e32 v28, v22, v28, vcc_lo
	v_mul_f64_e32 v[34:35], v[30:31], v[28:29]
	v_mul_f64_e32 v[36:37], v[32:33], v[28:29]
	;; [unrolled: 1-line block ×3, first 2 shown]
	s_delay_alu instid0(VALU_DEP_3) | instskip(NEXT) | instid1(VALU_DEP_3)
	v_fma_f64 v[30:31], v[30:31], v[28:29], -v[34:35]
	v_fma_f64 v[32:33], v[32:33], v[28:29], -v[36:37]
	s_delay_alu instid0(VALU_DEP_3) | instskip(NEXT) | instid1(VALU_DEP_3)
	v_fma_f64 v[28:29], v[42:43], v[28:29], -v[48:49]
	v_add_f64_e32 v[38:39], v[36:37], v[30:31]
	s_delay_alu instid0(VALU_DEP_1) | instskip(SKIP_1) | instid1(VALU_DEP_2)
	v_add_f64_e64 v[40:41], v[38:39], -v[36:37]
	v_add_f64_e32 v[46:47], v[34:35], v[38:39]
	v_add_f64_e64 v[44:45], v[38:39], -v[40:41]
	v_add_f64_e64 v[30:31], v[30:31], -v[40:41]
	s_delay_alu instid0(VALU_DEP_3) | instskip(NEXT) | instid1(VALU_DEP_3)
	v_ldexp_f64 v[40:41], v[46:47], -2
	v_add_f64_e64 v[36:37], v[36:37], -v[44:45]
	v_add_f64_e32 v[44:45], v[48:49], v[32:33]
	s_delay_alu instid0(VALU_DEP_3) | instskip(NEXT) | instid1(VALU_DEP_3)
	v_cmp_neq_f64_e64 vcc_lo, 0x7ff00000, |v[40:41]|
	v_add_f64_e32 v[30:31], v[30:31], v[36:37]
	v_fract_f64_e32 v[36:37], v[40:41]
	s_delay_alu instid0(VALU_DEP_1) | instskip(NEXT) | instid1(VALU_DEP_1)
	v_ldexp_f64 v[36:37], v[36:37], 2
	v_dual_add_f64 v[34:35], v[46:47], -v[34:35] :: v_dual_cndmask_b32 v36, 0, v36, vcc_lo
	s_delay_alu instid0(VALU_DEP_1) | instskip(SKIP_1) | instid1(VALU_DEP_1)
	v_dual_add_f64 v[34:35], v[38:39], -v[34:35] :: v_dual_cndmask_b32 v37, 0, v37, vcc_lo
	v_add_f64_e32 v[38:39], v[44:45], v[30:31]
	v_add_f64_e32 v[40:41], v[34:35], v[38:39]
	v_add_f64_e64 v[52:53], v[38:39], -v[44:45]
	s_delay_alu instid0(VALU_DEP_2) | instskip(NEXT) | instid1(VALU_DEP_2)
	v_add_f64_e32 v[46:47], v[40:41], v[36:37]
	v_add_f64_e64 v[58:59], v[38:39], -v[52:53]
	v_add_f64_e64 v[30:31], v[30:31], -v[52:53]
	;; [unrolled: 1-line block ×3, first 2 shown]
	s_delay_alu instid0(VALU_DEP_4) | instskip(SKIP_1) | instid1(VALU_DEP_3)
	v_cmp_gt_f64_e32 vcc_lo, 0, v[46:47]
	v_add_f64_e64 v[46:47], v[44:45], -v[48:49]
	v_add_f64_e64 v[34:35], v[38:39], -v[34:35]
	v_cndmask_b32_e64 v51, 0, 0x40100000, vcc_lo
	s_delay_alu instid0(VALU_DEP_3) | instskip(SKIP_2) | instid1(VALU_DEP_4)
	v_add_f64_e64 v[56:57], v[44:45], -v[46:47]
	v_add_f64_e64 v[32:33], v[32:33], -v[46:47]
	;; [unrolled: 1-line block ×3, first 2 shown]
	v_add_f64_e32 v[36:37], v[36:37], v[50:51]
	s_delay_alu instid0(VALU_DEP_4) | instskip(NEXT) | instid1(VALU_DEP_3)
	v_add_f64_e64 v[46:47], v[48:49], -v[56:57]
	v_add_f64_e32 v[30:31], v[30:31], v[44:45]
	s_delay_alu instid0(VALU_DEP_3) | instskip(NEXT) | instid1(VALU_DEP_3)
	v_add_f64_e32 v[54:55], v[40:41], v[36:37]
	v_add_f64_e32 v[32:33], v[32:33], v[46:47]
	s_delay_alu instid0(VALU_DEP_2) | instskip(NEXT) | instid1(VALU_DEP_2)
	v_cvt_i32_f64_e32 v7, v[54:55]
	v_add_f64_e32 v[30:31], v[32:33], v[30:31]
	s_delay_alu instid0(VALU_DEP_2) | instskip(NEXT) | instid1(VALU_DEP_2)
	v_cvt_f64_i32_e32 v[52:53], v7
	v_add_f64_e32 v[28:29], v[28:29], v[30:31]
	s_delay_alu instid0(VALU_DEP_2) | instskip(NEXT) | instid1(VALU_DEP_2)
	v_add_f64_e64 v[36:37], v[36:37], -v[52:53]
	v_add_f64_e32 v[28:29], v[34:35], v[28:29]
	s_delay_alu instid0(VALU_DEP_2) | instskip(NEXT) | instid1(VALU_DEP_1)
	v_add_f64_e32 v[32:33], v[40:41], v[36:37]
	v_add_f64_e64 v[30:31], v[32:33], -v[36:37]
	v_cmp_le_f64_e32 vcc_lo, 0.5, v[32:33]
	s_delay_alu instid0(VALU_DEP_2) | instskip(SKIP_2) | instid1(VALU_DEP_3)
	v_add_f64_e64 v[30:31], v[40:41], -v[30:31]
	v_cndmask_b32_e64 v51, 0, 0x3ff00000, vcc_lo
	v_add_co_ci_u32_e64 v7, null, 0, v7, vcc_lo
	v_add_f64_e32 v[28:29], v[28:29], v[30:31]
	s_delay_alu instid0(VALU_DEP_3) | instskip(NEXT) | instid1(VALU_DEP_1)
	v_add_f64_e64 v[30:31], v[32:33], -v[50:51]
	v_add_f64_e32 v[32:33], v[30:31], v[28:29]
	s_delay_alu instid0(VALU_DEP_1) | instskip(SKIP_1) | instid1(VALU_DEP_2)
	v_mul_f64_e32 v[34:35], 0x3ff921fb54442d18, v[32:33]
	v_add_f64_e64 v[30:31], v[32:33], -v[30:31]
	v_fma_f64 v[36:37], v[32:33], s[2:3], -v[34:35]
	s_delay_alu instid0(VALU_DEP_2) | instskip(NEXT) | instid1(VALU_DEP_2)
	v_add_f64_e64 v[28:29], v[28:29], -v[30:31]
	v_fmamk_f64 v[30:31], v[32:33], 0x3c91a62633145c07, v[36:37]
	s_delay_alu instid0(VALU_DEP_1) | instskip(NEXT) | instid1(VALU_DEP_1)
	v_fmac_f64_e32 v[30:31], 0x3ff921fb54442d18, v[28:29]
	v_add_f64_e32 v[28:29], v[34:35], v[30:31]
	s_delay_alu instid0(VALU_DEP_1) | instskip(NEXT) | instid1(VALU_DEP_1)
	v_add_f64_e64 v[32:33], v[28:29], -v[34:35]
	v_add_f64_e64 v[30:31], v[30:31], -v[32:33]
.LBB5_86:
	s_and_not1_saveexec_b32 s0, s0
	s_cbranch_execz .LBB5_88
; %bb.87:
	s_mov_b64 s[2:3], 0x3fe45f306dc9c883
	s_delay_alu instid0(SALU_CYCLE_1) | instskip(SKIP_1) | instid1(VALU_DEP_1)
	v_mul_f64_e64 v[28:29], |v[22:23]|, s[2:3]
	s_mov_b64 s[2:3], 0xbff921fb54442d18
	v_rndne_f64_e32 v[32:33], v[28:29]
	s_delay_alu instid0(VALU_DEP_1) | instskip(SKIP_2) | instid1(VALU_DEP_3)
	v_fma_f64 v[28:29], v[32:33], s[2:3], |v[22:23]|
	v_mul_f64_e32 v[30:31], 0xbc91a62633145c00, v[32:33]
	v_cvt_i32_f64_e32 v7, v[32:33]
	v_fmamk_f64 v[38:39], v[32:33], 0xbc91a62633145c00, v[28:29]
	s_delay_alu instid0(VALU_DEP_3) | instskip(NEXT) | instid1(VALU_DEP_1)
	v_add_f64_e32 v[34:35], v[28:29], v[30:31]
	v_add_f64_e64 v[36:37], v[28:29], -v[34:35]
	s_delay_alu instid0(VALU_DEP_3) | instskip(NEXT) | instid1(VALU_DEP_2)
	v_add_f64_e64 v[28:29], v[34:35], -v[38:39]
	v_add_f64_e32 v[34:35], v[36:37], v[30:31]
	v_fmamk_f64 v[30:31], v[32:33], 0x3c91a62633145c00, v[30:31]
	s_delay_alu instid0(VALU_DEP_2) | instskip(NEXT) | instid1(VALU_DEP_1)
	v_add_f64_e32 v[28:29], v[28:29], v[34:35]
	v_add_f64_e64 v[28:29], v[28:29], -v[30:31]
	s_delay_alu instid0(VALU_DEP_1) | instskip(NEXT) | instid1(VALU_DEP_1)
	v_fmamk_f64 v[30:31], v[32:33], 0xb97b839a252049c0, v[28:29]
	v_add_f64_e32 v[28:29], v[38:39], v[30:31]
	s_delay_alu instid0(VALU_DEP_1) | instskip(NEXT) | instid1(VALU_DEP_1)
	v_add_f64_e64 v[34:35], v[28:29], -v[38:39]
	v_add_f64_e64 v[30:31], v[30:31], -v[34:35]
.LBB5_88:
	s_or_b32 exec_lo, exec_lo, s0
	v_mul_f64_e32 v[32:33], v[24:25], v[24:25]
	v_mul_f64_e32 v[34:35], v[16:17], v[16:17]
	v_mov_b64_e32 v[38:39], 0xbe5ae600b42fdfa7
	v_mul_f64_e32 v[40:41], 0.5, v[26:27]
	v_mul_f64_e32 v[42:43], 0.5, v[20:21]
	v_cmp_class_f64_e64 s0, v[18:19], 0x1f8
	v_cmp_class_f64_e64 s6, v[22:23], 0x1f8
	;; [unrolled: 1-line block ×4, first 2 shown]
	v_mul_f64_e32 v[36:37], 0.5, v[32:33]
	v_mul_f64_e64 v[44:45], v[24:25], -v[32:33]
	v_mul_f64_e64 v[46:47], v[16:17], -v[34:35]
	v_mul_f64_e32 v[50:51], 0.5, v[34:35]
	v_fmamk_f64 v[52:53], v[32:33], 0x3de5e0b2f9a43bb8, v[38:39]
	v_fmamk_f64 v[54:55], v[34:35], 0x3de5e0b2f9a43bb8, v[38:39]
	s_delay_alu instid0(VALU_DEP_2) | instskip(NEXT) | instid1(VALU_DEP_2)
	v_fmaak_f64 v[52:53], v[32:33], v[52:53], 0x3ec71de3796cde01
	v_fmaak_f64 v[54:55], v[34:35], v[54:55], 0x3ec71de3796cde01
	s_delay_alu instid0(VALU_DEP_2) | instskip(NEXT) | instid1(VALU_DEP_2)
	v_fmaak_f64 v[52:53], v[32:33], v[52:53], 0xbf2a01a019e83e5c
	v_fmaak_f64 v[54:55], v[34:35], v[54:55], 0xbf2a01a019e83e5c
	;; [unrolled: 3-line block ×3, first 2 shown]
	v_add_f64_e64 v[48:49], -v[36:37], 1.0
	s_delay_alu instid0(VALU_DEP_3) | instskip(NEXT) | instid1(VALU_DEP_3)
	v_fmac_f64_e32 v[40:41], v[44:45], v[52:53]
	v_fmac_f64_e32 v[42:43], v[46:47], v[54:55]
	v_add_f64_e64 v[54:55], -v[50:51], 1.0
	s_delay_alu instid0(VALU_DEP_4) | instskip(NEXT) | instid1(VALU_DEP_4)
	v_add_f64_e64 v[52:53], -v[48:49], 1.0
	v_fma_f64 v[40:41], v[32:33], v[40:41], -v[26:27]
	s_delay_alu instid0(VALU_DEP_4) | instskip(NEXT) | instid1(VALU_DEP_3)
	v_fma_f64 v[42:43], v[34:35], v[42:43], -v[20:21]
	v_add_f64_e64 v[36:37], v[52:53], -v[36:37]
	v_add_f64_e64 v[52:53], -v[54:55], 1.0
	s_delay_alu instid0(VALU_DEP_2) | instskip(NEXT) | instid1(VALU_DEP_2)
	v_fma_f64 v[26:27], v[24:25], -v[26:27], v[36:37]
	v_add_f64_e64 v[50:51], v[52:53], -v[50:51]
	v_mov_b64_e32 v[52:53], 0x3e21eeb69037ab78
	s_delay_alu instid0(VALU_DEP_1) | instskip(NEXT) | instid1(VALU_DEP_1)
	v_fmamk_f64 v[36:37], v[32:33], 0xbda907db46cc5e42, v[52:53]
	v_fmaak_f64 v[36:37], v[32:33], v[36:37], 0xbe927e4fa17f65f6
	s_delay_alu instid0(VALU_DEP_1) | instskip(NEXT) | instid1(VALU_DEP_1)
	v_fmaak_f64 v[36:37], v[32:33], v[36:37], 0x3efa01a019f4ec90
	v_fmaak_f64 v[36:37], v[32:33], v[36:37], 0xbf56c16c16c16967
	v_fma_f64 v[20:21], v[16:17], -v[20:21], v[50:51]
	v_mul_f64_e32 v[50:51], v[10:11], v[10:11]
	s_delay_alu instid0(VALU_DEP_3) | instskip(SKIP_1) | instid1(VALU_DEP_1)
	v_fmaak_f64 v[36:37], v[32:33], v[36:37], 0x3fa5555555555555
	v_mul_f64_e32 v[32:33], v[32:33], v[32:33]
	v_fmac_f64_e32 v[26:27], v[32:33], v[36:37]
	v_fmamk_f64 v[32:33], v[34:35], 0xbda907db46cc5e42, v[52:53]
	v_mul_f64_e32 v[36:37], v[34:35], v[34:35]
	s_delay_alu instid0(VALU_DEP_2) | instskip(NEXT) | instid1(VALU_DEP_1)
	v_fmaak_f64 v[32:33], v[34:35], v[32:33], 0xbe927e4fa17f65f6
	v_fmaak_f64 v[32:33], v[34:35], v[32:33], 0x3efa01a019f4ec90
	s_delay_alu instid0(VALU_DEP_1) | instskip(NEXT) | instid1(VALU_DEP_1)
	v_fmaak_f64 v[32:33], v[34:35], v[32:33], 0xbf56c16c16c16967
	v_fmaak_f64 v[32:33], v[34:35], v[32:33], 0x3fa5555555555555
	v_add_f64_e32 v[26:27], v[48:49], v[26:27]
	v_mul_f64_e32 v[34:35], 0.5, v[14:15]
	s_delay_alu instid0(VALU_DEP_3) | instskip(SKIP_1) | instid1(VALU_DEP_1)
	v_fmac_f64_e32 v[20:21], v[36:37], v[32:33]
	v_fmamk_f64 v[36:37], v[50:51], 0x3de5e0b2f9a43bb8, v[38:39]
	v_fmaak_f64 v[36:37], v[50:51], v[36:37], 0x3ec71de3796cde01
	s_delay_alu instid0(VALU_DEP_1) | instskip(NEXT) | instid1(VALU_DEP_1)
	v_fmaak_f64 v[36:37], v[50:51], v[36:37], 0xbf2a01a019e83e5c
	v_fmaak_f64 v[36:37], v[50:51], v[36:37], 0x3f81111111110bb3
	v_add_f64_e32 v[20:21], v[54:55], v[20:21]
	v_mul_f64_e64 v[32:33], v[10:11], -v[50:51]
	s_delay_alu instid0(VALU_DEP_1) | instskip(SKIP_1) | instid1(VALU_DEP_2)
	v_fmac_f64_e32 v[34:35], v[32:33], v[36:37]
	v_mul_f64_e32 v[36:37], 0.5, v[50:51]
	v_fma_f64 v[34:35], v[50:51], v[34:35], -v[14:15]
	s_delay_alu instid0(VALU_DEP_2) | instskip(NEXT) | instid1(VALU_DEP_2)
	v_add_f64_e64 v[56:57], -v[36:37], 1.0
	v_fmac_f64_e32 v[34:35], 0xbfc5555555555555, v[32:33]
	s_delay_alu instid0(VALU_DEP_2) | instskip(NEXT) | instid1(VALU_DEP_1)
	v_add_f64_e64 v[58:59], -v[56:57], 1.0
	v_add_f64_e64 v[36:37], v[58:59], -v[36:37]
	s_delay_alu instid0(VALU_DEP_1) | instskip(SKIP_4) | instid1(VALU_DEP_4)
	v_fma_f64 v[14:15], v[10:11], -v[14:15], v[36:37]
	v_fmamk_f64 v[36:37], v[50:51], 0xbda907db46cc5e42, v[52:53]
	v_add_f64_e64 v[10:11], v[10:11], -v[34:35]
	v_dual_lshlrev_b32 v3, 30, v3 :: v_dual_bitop2_b32 v34, 1, v3 bitop3:0x40
	v_dual_lshlrev_b32 v7, 30, v7 :: v_dual_bitop2_b32 v35, 1, v7 bitop3:0x40
	v_fmaak_f64 v[36:37], v[50:51], v[36:37], 0xbe927e4fa17f65f6
	s_delay_alu instid0(VALU_DEP_3) | instskip(NEXT) | instid1(VALU_DEP_3)
	v_cmp_eq_u32_e64 s3, 0, v34
	v_cmp_eq_u32_e64 s5, 0, v35
	v_xor_b32_e32 v3, v3, v9
	v_xor_b32_e32 v7, v7, v23
	v_fmaak_f64 v[36:37], v[50:51], v[36:37], 0x3efa01a019f4ec90
	s_delay_alu instid0(VALU_DEP_1) | instskip(NEXT) | instid1(VALU_DEP_1)
	v_fmaak_f64 v[36:37], v[50:51], v[36:37], 0xbf56c16c16c16967
	v_fmaak_f64 v[36:37], v[50:51], v[36:37], 0x3fa5555555555555
	v_mul_f64_e32 v[50:51], v[50:51], v[50:51]
	s_delay_alu instid0(VALU_DEP_1) | instskip(SKIP_2) | instid1(VALU_DEP_3)
	v_fmac_f64_e32 v[14:15], v[50:51], v[36:37]
	v_mul_f64_e32 v[36:37], v[28:29], v[28:29]
	v_mov_b64_e32 v[50:51], 0xbe927e4fa17f65f6
	v_add_f64_e32 v[14:15], v[56:57], v[14:15]
	s_delay_alu instid0(VALU_DEP_3) | instskip(SKIP_1) | instid1(VALU_DEP_3)
	v_fmac_f64_e32 v[52:53], 0xbda907db46cc5e42, v[36:37]
	v_fmac_f64_e32 v[38:39], 0x3de5e0b2f9a43bb8, v[36:37]
	v_dual_mul_f64 v[62:63], v[28:29], -v[36:37] :: v_dual_cndmask_b32 v12, v14, v10, s3
	s_delay_alu instid0(VALU_DEP_3) | instskip(SKIP_4) | instid1(VALU_DEP_4)
	v_fmac_f64_e32 v[50:51], v[36:37], v[52:53]
	v_mov_b64_e32 v[52:53], 0x3ec71de3796cde01
	v_cndmask_b32_e64 v11, v15, v11, s3
	v_fmac_f64_e32 v[40:41], 0xbfc5555555555555, v[44:45]
	v_cndmask_b32_e64 v12, 0, v12, s4
	v_fmac_f64_e32 v[52:53], v[36:37], v[38:39]
	v_mov_b64_e32 v[38:39], 0x3efa01a019f4ec90
	s_delay_alu instid0(VALU_DEP_1) | instskip(SKIP_2) | instid1(VALU_DEP_2)
	v_fmac_f64_e32 v[38:39], v[36:37], v[50:51]
	v_mov_b64_e32 v[50:51], 0xbf2a01a019e83e5c
	v_add_f64_e64 v[24:25], v[24:25], -v[40:41]
	v_fmac_f64_e32 v[50:51], v[36:37], v[52:53]
	v_mul_f64_e32 v[52:53], 0.5, v[36:37]
	s_delay_alu instid0(VALU_DEP_1) | instskip(NEXT) | instid1(VALU_DEP_1)
	v_add_f64_e64 v[58:59], -v[52:53], 1.0
	v_add_f64_e64 v[60:61], -v[58:59], 1.0
	s_delay_alu instid0(VALU_DEP_1) | instskip(SKIP_1) | instid1(VALU_DEP_1)
	v_add_f64_e64 v[52:53], v[60:61], -v[52:53]
	v_mov_b64_e32 v[60:61], 0xbf56c16c16c16967
	v_fmac_f64_e32 v[60:61], v[36:37], v[38:39]
	v_mov_b64_e32 v[38:39], 0x3f81111111110bb3
	s_delay_alu instid0(VALU_DEP_1) | instskip(SKIP_2) | instid1(VALU_DEP_2)
	v_fmac_f64_e32 v[38:39], v[36:37], v[50:51]
	v_mul_f64_e32 v[50:51], 0.5, v[30:31]
	v_fma_f64 v[44:45], v[28:29], -v[30:31], v[52:53]
	v_fmac_f64_e32 v[50:51], v[62:63], v[38:39]
	v_mov_b64_e32 v[38:39], 0x3fa5555555555555
	s_delay_alu instid0(VALU_DEP_1) | instskip(NEXT) | instid1(VALU_DEP_3)
	v_fmac_f64_e32 v[38:39], v[36:37], v[60:61]
	v_fma_f64 v[30:31], v[36:37], v[50:51], -v[30:31]
	v_mul_f64_e32 v[36:37], v[36:37], v[36:37]
	s_delay_alu instid0(VALU_DEP_2) | instskip(NEXT) | instid1(VALU_DEP_2)
	v_fmac_f64_e32 v[30:31], 0xbfc5555555555555, v[62:63]
	v_fmac_f64_e32 v[44:45], v[36:37], v[38:39]
	s_delay_alu instid0(VALU_DEP_2) | instskip(NEXT) | instid1(VALU_DEP_2)
	v_add_f64_e64 v[28:29], v[28:29], -v[30:31]
	v_add_f64_e32 v[32:33], v[58:59], v[44:45]
	v_and_b32_e32 v31, 1, v5
	v_dual_lshlrev_b32 v1, 30, v1 :: v_dual_bitop2_b32 v30, 1, v1 bitop3:0x40
	v_lshlrev_b32_e32 v5, 30, v5
	s_delay_alu instid0(VALU_DEP_3) | instskip(NEXT) | instid1(VALU_DEP_3)
	v_cmp_eq_u32_e64 s1, 0, v31
	v_cmp_eq_u32_e32 vcc_lo, 0, v30
	s_delay_alu instid0(VALU_DEP_4) | instskip(NEXT) | instid1(VALU_DEP_4)
	v_xor_b32_e32 v1, v1, v19
	v_xor_b32_e32 v5, v5, v13
	v_dual_cndmask_b32 v8, v27, v25, vcc_lo :: v_dual_cndmask_b32 v24, v26, v24, vcc_lo
	s_delay_alu instid0(VALU_DEP_1) | instskip(NEXT) | instid1(VALU_DEP_2)
	v_bitop3_b32 v1, v8, v1, 0x80000000 bitop3:0x78
	v_cndmask_b32_e64 v8, 0, v24, s0
	s_delay_alu instid0(VALU_DEP_2) | instskip(SKIP_3) | instid1(VALU_DEP_2)
	v_cndmask_b32_e64 v9, 0x7ff80000, v1, s0
	v_bitop3_b32 v1, v11, v3, 0x80000000 bitop3:0x78
	v_cndmask_b32_e64 v14, v32, v28, s5
	v_fmac_f64_e32 v[42:43], 0xbfc5555555555555, v[46:47]
	v_dual_cndmask_b32 v13, v33, v29, s5 :: v_dual_cndmask_b32 v14, 0, v14, s6
	s_delay_alu instid0(VALU_DEP_2) | instskip(NEXT) | instid1(VALU_DEP_1)
	v_add_f64_e64 v[16:17], v[16:17], -v[42:43]
	v_dual_cndmask_b32 v10, v21, v17, s1 :: v_dual_cndmask_b32 v16, v20, v16, s1
	s_delay_alu instid0(VALU_DEP_1) | instskip(NEXT) | instid1(VALU_DEP_4)
	v_bitop3_b32 v3, v10, v5, 0x80000000 bitop3:0x78
	v_bitop3_b32 v5, v13, v7, 0x80000000 bitop3:0x78
	v_cndmask_b32_e64 v13, 0x7ff80000, v1, s4
	s_delay_alu instid0(VALU_DEP_4) | instskip(NEXT) | instid1(VALU_DEP_4)
	v_cndmask_b32_e64 v10, 0, v16, s2
	v_cndmask_b32_e64 v11, 0x7ff80000, v3, s2
	s_delay_alu instid0(VALU_DEP_4)
	v_cndmask_b32_e64 v15, 0x7ff80000, v5, s6
	s_clause 0x3
	global_store_b64 v2, v[12:13], s[8:9]
	global_store_b64 v4, v[10:11], s[8:9]
	;; [unrolled: 1-line block ×4, first 2 shown]
	s_endpgm
.LBB5_89:
	v_dual_mov_b32 v3, 0 :: v_dual_mov_b32 v2, 0
	s_branch .LBB5_95
.LBB5_90:
	v_dual_mov_b32 v3, 0 :: v_dual_mov_b32 v2, 0
	s_branch .LBB5_115
.LBB5_91:
	v_mov_b64_e32 v[2:3], 0
	v_mov_b32_e32 v1, v0
	s_mov_b32 s22, 0
.LBB5_92:
	s_and_b32 s0, s0, 3
	s_mov_b32 s23, 0
	s_cmp_eq_u32 s0, 0
	s_cbranch_scc1 .LBB5_95
; %bb.93:
	s_lshl_b32 s24, s22, 3
	s_mov_b32 s25, s23
	s_mul_u64 s[26:27], s[22:23], 12
	s_add_nc_u64 s[24:25], s[2:3], s[24:25]
	s_delay_alu instid0(SALU_CYCLE_1)
	s_add_nc_u64 s[22:23], s[24:25], 0xc4
	s_add_nc_u64 s[24:25], s[2:3], s[26:27]
.LBB5_94:                               ; =>This Inner Loop Header: Depth=1
	s_load_b96 s[40:42], s[24:25], 0x4
	s_load_b64 s[26:27], s[22:23], 0x0
	s_add_co_i32 s0, s0, -1
	s_wait_xcnt 0x0
	s_add_nc_u64 s[24:25], s[24:25], 12
	s_cmp_lg_u32 s0, 0
	s_add_nc_u64 s[22:23], s[22:23], 8
	s_wait_kmcnt 0x0
	v_mul_hi_u32 v4, s41, v1
	s_delay_alu instid0(VALU_DEP_1) | instskip(NEXT) | instid1(VALU_DEP_1)
	v_add_nc_u32_e32 v4, v1, v4
	v_lshrrev_b32_e32 v4, s42, v4
	s_delay_alu instid0(VALU_DEP_1) | instskip(NEXT) | instid1(VALU_DEP_1)
	v_mul_lo_u32 v5, v4, s40
	v_sub_nc_u32_e32 v1, v1, v5
	s_delay_alu instid0(VALU_DEP_1)
	v_mad_u32 v3, v1, s27, v3
	v_mad_u32 v2, v1, s26, v2
	v_mov_b32_e32 v1, v4
	s_cbranch_scc1 .LBB5_94
.LBB5_95:
	s_cbranch_execnz .LBB5_98
.LBB5_96:
	v_mov_b32_e32 v1, 0
	s_and_not1_b32 vcc_lo, exec_lo, s33
	s_delay_alu instid0(VALU_DEP_1) | instskip(NEXT) | instid1(VALU_DEP_1)
	v_mul_u64_e32 v[2:3], s[16:17], v[0:1]
	v_add_nc_u32_e32 v2, v0, v3
	s_delay_alu instid0(VALU_DEP_1) | instskip(NEXT) | instid1(VALU_DEP_1)
	v_lshrrev_b32_e32 v4, s10, v2
	v_mul_lo_u32 v2, v4, s8
	s_delay_alu instid0(VALU_DEP_1) | instskip(NEXT) | instid1(VALU_DEP_1)
	v_sub_nc_u32_e32 v2, v0, v2
	v_mul_lo_u32 v3, v2, s13
	v_mul_lo_u32 v2, v2, s12
	s_cbranch_vccnz .LBB5_98
; %bb.97:
	v_mov_b32_e32 v5, v1
	s_delay_alu instid0(VALU_DEP_1) | instskip(NEXT) | instid1(VALU_DEP_1)
	v_mul_u64_e32 v[6:7], s[18:19], v[4:5]
	v_add_nc_u32_e32 v1, v4, v7
	s_delay_alu instid0(VALU_DEP_1) | instskip(NEXT) | instid1(VALU_DEP_1)
	v_lshrrev_b32_e32 v1, s1, v1
	v_mul_lo_u32 v1, v1, s11
	s_delay_alu instid0(VALU_DEP_1) | instskip(NEXT) | instid1(VALU_DEP_1)
	v_sub_nc_u32_e32 v1, v4, v1
	v_mad_u32 v2, v1, s14, v2
	v_mad_u32 v3, v1, s15, v3
.LBB5_98:
	global_load_b64 v[4:5], v3, s[6:7]
                                        ; implicit-def: $vgpr1
                                        ; implicit-def: $vgpr6_vgpr7
                                        ; implicit-def: $vgpr8_vgpr9
	s_wait_loadcnt 0x0
	v_cmp_ngt_f64_e64 s0, 0x41d00000, |v[4:5]|
	s_and_saveexec_b32 s22, s0
	s_delay_alu instid0(SALU_CYCLE_1)
	s_xor_b32 s0, exec_lo, s22
	s_cbranch_execz .LBB5_100
; %bb.99:
	v_ldexp_f64 v[6:7], |v[4:5]|, 0xffffff80
	v_cmp_le_f64_e64 vcc_lo, 0x7b000000, |v[4:5]|
	v_trig_preop_f64 v[8:9], |v[4:5]|, 0
	v_and_b32_e32 v1, 0x7fffffff, v5
	v_trig_preop_f64 v[10:11], |v[4:5]|, 1
	v_trig_preop_f64 v[20:21], |v[4:5]|, 2
	s_mov_b64 s[22:23], 0x3ff921fb54442d18
	s_delay_alu instid0(VALU_DEP_3) | instskip(SKIP_1) | instid1(VALU_DEP_1)
	v_dual_mov_b32 v28, 0 :: v_dual_cndmask_b32 v7, v1, v7
	v_cndmask_b32_e32 v6, v4, v6, vcc_lo
	v_mul_f64_e32 v[12:13], v[8:9], v[6:7]
	v_mul_f64_e32 v[14:15], v[10:11], v[6:7]
	;; [unrolled: 1-line block ×3, first 2 shown]
	s_delay_alu instid0(VALU_DEP_3) | instskip(NEXT) | instid1(VALU_DEP_3)
	v_fma_f64 v[8:9], v[8:9], v[6:7], -v[12:13]
	v_fma_f64 v[10:11], v[10:11], v[6:7], -v[14:15]
	s_delay_alu instid0(VALU_DEP_3) | instskip(NEXT) | instid1(VALU_DEP_3)
	v_fma_f64 v[6:7], v[20:21], v[6:7], -v[26:27]
	v_add_f64_e32 v[16:17], v[14:15], v[8:9]
	s_delay_alu instid0(VALU_DEP_1) | instskip(SKIP_1) | instid1(VALU_DEP_2)
	v_add_f64_e64 v[18:19], v[16:17], -v[14:15]
	v_add_f64_e32 v[24:25], v[12:13], v[16:17]
	v_add_f64_e64 v[22:23], v[16:17], -v[18:19]
	v_add_f64_e64 v[8:9], v[8:9], -v[18:19]
	s_delay_alu instid0(VALU_DEP_3) | instskip(NEXT) | instid1(VALU_DEP_3)
	v_ldexp_f64 v[18:19], v[24:25], -2
	v_add_f64_e64 v[14:15], v[14:15], -v[22:23]
	v_add_f64_e32 v[22:23], v[26:27], v[10:11]
	s_delay_alu instid0(VALU_DEP_3) | instskip(NEXT) | instid1(VALU_DEP_3)
	v_cmp_neq_f64_e64 vcc_lo, 0x7ff00000, |v[18:19]|
	v_add_f64_e32 v[8:9], v[8:9], v[14:15]
	v_fract_f64_e32 v[14:15], v[18:19]
	s_delay_alu instid0(VALU_DEP_1) | instskip(NEXT) | instid1(VALU_DEP_1)
	v_ldexp_f64 v[14:15], v[14:15], 2
	v_dual_add_f64 v[12:13], v[24:25], -v[12:13] :: v_dual_cndmask_b32 v14, 0, v14, vcc_lo
	s_delay_alu instid0(VALU_DEP_1) | instskip(SKIP_1) | instid1(VALU_DEP_1)
	v_dual_add_f64 v[12:13], v[16:17], -v[12:13] :: v_dual_cndmask_b32 v15, 0, v15, vcc_lo
	v_add_f64_e32 v[16:17], v[22:23], v[8:9]
	v_add_f64_e32 v[18:19], v[12:13], v[16:17]
	v_add_f64_e64 v[30:31], v[16:17], -v[22:23]
	s_delay_alu instid0(VALU_DEP_2) | instskip(NEXT) | instid1(VALU_DEP_2)
	v_add_f64_e32 v[24:25], v[18:19], v[14:15]
	v_add_f64_e64 v[36:37], v[16:17], -v[30:31]
	v_add_f64_e64 v[8:9], v[8:9], -v[30:31]
	;; [unrolled: 1-line block ×3, first 2 shown]
	s_delay_alu instid0(VALU_DEP_4) | instskip(SKIP_1) | instid1(VALU_DEP_3)
	v_cmp_gt_f64_e32 vcc_lo, 0, v[24:25]
	v_add_f64_e64 v[24:25], v[22:23], -v[26:27]
	v_add_f64_e64 v[12:13], v[16:17], -v[12:13]
	v_cndmask_b32_e64 v29, 0, 0x40100000, vcc_lo
	s_delay_alu instid0(VALU_DEP_3) | instskip(SKIP_2) | instid1(VALU_DEP_4)
	v_add_f64_e64 v[34:35], v[22:23], -v[24:25]
	v_add_f64_e64 v[10:11], v[10:11], -v[24:25]
	;; [unrolled: 1-line block ×3, first 2 shown]
	v_add_f64_e32 v[14:15], v[14:15], v[28:29]
	s_delay_alu instid0(VALU_DEP_4) | instskip(NEXT) | instid1(VALU_DEP_3)
	v_add_f64_e64 v[24:25], v[26:27], -v[34:35]
	v_add_f64_e32 v[8:9], v[8:9], v[22:23]
	s_delay_alu instid0(VALU_DEP_3) | instskip(NEXT) | instid1(VALU_DEP_3)
	v_add_f64_e32 v[32:33], v[18:19], v[14:15]
	v_add_f64_e32 v[10:11], v[10:11], v[24:25]
	s_delay_alu instid0(VALU_DEP_2) | instskip(NEXT) | instid1(VALU_DEP_2)
	v_cvt_i32_f64_e32 v1, v[32:33]
	v_add_f64_e32 v[8:9], v[10:11], v[8:9]
	s_delay_alu instid0(VALU_DEP_2) | instskip(NEXT) | instid1(VALU_DEP_2)
	v_cvt_f64_i32_e32 v[30:31], v1
	v_add_f64_e32 v[6:7], v[6:7], v[8:9]
	s_delay_alu instid0(VALU_DEP_2) | instskip(NEXT) | instid1(VALU_DEP_2)
	v_add_f64_e64 v[14:15], v[14:15], -v[30:31]
	v_add_f64_e32 v[6:7], v[12:13], v[6:7]
	s_delay_alu instid0(VALU_DEP_2) | instskip(NEXT) | instid1(VALU_DEP_1)
	v_add_f64_e32 v[10:11], v[18:19], v[14:15]
	v_add_f64_e64 v[8:9], v[10:11], -v[14:15]
	v_cmp_le_f64_e32 vcc_lo, 0.5, v[10:11]
	s_delay_alu instid0(VALU_DEP_2) | instskip(SKIP_2) | instid1(VALU_DEP_3)
	v_add_f64_e64 v[8:9], v[18:19], -v[8:9]
	v_cndmask_b32_e64 v29, 0, 0x3ff00000, vcc_lo
	v_add_co_ci_u32_e64 v1, null, 0, v1, vcc_lo
	v_add_f64_e32 v[6:7], v[6:7], v[8:9]
	s_delay_alu instid0(VALU_DEP_3) | instskip(NEXT) | instid1(VALU_DEP_1)
	v_add_f64_e64 v[8:9], v[10:11], -v[28:29]
	v_add_f64_e32 v[10:11], v[8:9], v[6:7]
	s_delay_alu instid0(VALU_DEP_1) | instskip(SKIP_1) | instid1(VALU_DEP_2)
	v_mul_f64_e32 v[12:13], 0x3ff921fb54442d18, v[10:11]
	v_add_f64_e64 v[8:9], v[10:11], -v[8:9]
	v_fma_f64 v[14:15], v[10:11], s[22:23], -v[12:13]
	s_delay_alu instid0(VALU_DEP_2) | instskip(NEXT) | instid1(VALU_DEP_2)
	v_add_f64_e64 v[6:7], v[6:7], -v[8:9]
	v_fmamk_f64 v[8:9], v[10:11], 0x3c91a62633145c07, v[14:15]
	s_delay_alu instid0(VALU_DEP_1) | instskip(NEXT) | instid1(VALU_DEP_1)
	v_fmac_f64_e32 v[8:9], 0x3ff921fb54442d18, v[6:7]
	v_add_f64_e32 v[6:7], v[12:13], v[8:9]
	s_delay_alu instid0(VALU_DEP_1) | instskip(NEXT) | instid1(VALU_DEP_1)
	v_add_f64_e64 v[10:11], v[6:7], -v[12:13]
	v_add_f64_e64 v[8:9], v[8:9], -v[10:11]
.LBB5_100:
	s_and_not1_saveexec_b32 s0, s0
	s_cbranch_execz .LBB5_102
; %bb.101:
	s_mov_b64 s[22:23], 0x3fe45f306dc9c883
	s_delay_alu instid0(SALU_CYCLE_1) | instskip(SKIP_1) | instid1(VALU_DEP_1)
	v_mul_f64_e64 v[6:7], |v[4:5]|, s[22:23]
	s_mov_b64 s[22:23], 0xbff921fb54442d18
	v_rndne_f64_e32 v[10:11], v[6:7]
	s_delay_alu instid0(VALU_DEP_1) | instskip(SKIP_2) | instid1(VALU_DEP_3)
	v_fma_f64 v[6:7], v[10:11], s[22:23], |v[4:5]|
	v_mul_f64_e32 v[8:9], 0xbc91a62633145c00, v[10:11]
	v_cvt_i32_f64_e32 v1, v[10:11]
	v_fmamk_f64 v[16:17], v[10:11], 0xbc91a62633145c00, v[6:7]
	s_delay_alu instid0(VALU_DEP_3) | instskip(NEXT) | instid1(VALU_DEP_1)
	v_add_f64_e32 v[12:13], v[6:7], v[8:9]
	v_add_f64_e64 v[14:15], v[6:7], -v[12:13]
	s_delay_alu instid0(VALU_DEP_3) | instskip(NEXT) | instid1(VALU_DEP_2)
	v_add_f64_e64 v[6:7], v[12:13], -v[16:17]
	v_add_f64_e32 v[12:13], v[14:15], v[8:9]
	v_fmamk_f64 v[8:9], v[10:11], 0x3c91a62633145c00, v[8:9]
	s_delay_alu instid0(VALU_DEP_2) | instskip(NEXT) | instid1(VALU_DEP_1)
	v_add_f64_e32 v[6:7], v[6:7], v[12:13]
	v_add_f64_e64 v[6:7], v[6:7], -v[8:9]
	s_delay_alu instid0(VALU_DEP_1) | instskip(NEXT) | instid1(VALU_DEP_1)
	v_fmamk_f64 v[8:9], v[10:11], 0xb97b839a252049c0, v[6:7]
	v_add_f64_e32 v[6:7], v[16:17], v[8:9]
	s_delay_alu instid0(VALU_DEP_1) | instskip(NEXT) | instid1(VALU_DEP_1)
	v_add_f64_e64 v[12:13], v[6:7], -v[16:17]
	v_add_f64_e64 v[8:9], v[8:9], -v[12:13]
.LBB5_102:
	s_or_b32 exec_lo, exec_lo, s0
	v_dual_mul_f64 v[10:11], v[6:7], v[6:7] :: v_dual_bitop2_b32 v3, 1, v1 bitop3:0x40
	s_mov_b64 s[22:23], 0x3de5e0b2f9a43bb8
	v_cmp_class_f64_e64 s0, v[4:5], 0x1f8
	v_add_nc_u32_e32 v0, 0x80, v0
	v_lshlrev_b32_e32 v1, 30, v1
	v_cmp_eq_u32_e32 vcc_lo, 0, v3
	v_mul_f64_e32 v[18:19], 0.5, v[8:9]
	s_delay_alu instid0(VALU_DEP_3) | instskip(SKIP_3) | instid1(VALU_DEP_2)
	v_dual_mul_f64 v[20:21], v[6:7], -v[10:11] :: v_dual_bitop2_b32 v1, v1, v5 bitop3:0x14
	v_mul_f64_e32 v[12:13], 0.5, v[10:11]
	v_fmaak_f64 v[22:23], s[22:23], v[10:11], 0xbe5ae600b42fdfa7
	s_mov_b64 s[22:23], 0xbda907db46cc5e42
	v_add_f64_e64 v[14:15], -v[12:13], 1.0
	s_delay_alu instid0(VALU_DEP_1) | instskip(NEXT) | instid1(VALU_DEP_1)
	v_add_f64_e64 v[16:17], -v[14:15], 1.0
	v_add_f64_e64 v[12:13], v[16:17], -v[12:13]
	s_delay_alu instid0(VALU_DEP_4) | instskip(SKIP_1) | instid1(VALU_DEP_2)
	v_fmaak_f64 v[16:17], v[10:11], v[22:23], 0x3ec71de3796cde01
	v_mul_f64_e32 v[22:23], v[10:11], v[10:11]
	v_fmaak_f64 v[16:17], v[10:11], v[16:17], 0xbf2a01a019e83e5c
	s_delay_alu instid0(VALU_DEP_1) | instskip(NEXT) | instid1(VALU_DEP_1)
	v_fmaak_f64 v[16:17], v[10:11], v[16:17], 0x3f81111111110bb3
	v_fmac_f64_e32 v[18:19], v[20:21], v[16:17]
	v_fmaak_f64 v[16:17], s[22:23], v[10:11], 0x3e21eeb69037ab78
	s_delay_alu instid0(VALU_DEP_1) | instskip(SKIP_1) | instid1(VALU_DEP_2)
	v_fmaak_f64 v[16:17], v[10:11], v[16:17], 0xbe927e4fa17f65f6
	v_fma_f64 v[12:13], v[6:7], -v[8:9], v[12:13]
	v_fmaak_f64 v[16:17], v[10:11], v[16:17], 0x3efa01a019f4ec90
	s_delay_alu instid0(VALU_DEP_1) | instskip(SKIP_1) | instid1(VALU_DEP_2)
	v_fmaak_f64 v[16:17], v[10:11], v[16:17], 0xbf56c16c16c16967
	v_fma_f64 v[8:9], v[10:11], v[18:19], -v[8:9]
	v_fmaak_f64 v[10:11], v[10:11], v[16:17], 0x3fa5555555555555
	s_delay_alu instid0(VALU_DEP_1) | instskip(NEXT) | instid1(VALU_DEP_3)
	v_fmac_f64_e32 v[12:13], v[22:23], v[10:11]
	v_fmamk_f64 v[8:9], v[20:21], 0xbfc5555555555555, v[8:9]
	s_delay_alu instid0(VALU_DEP_1) | instskip(NEXT) | instid1(VALU_DEP_3)
	v_add_f64_e64 v[6:7], v[6:7], -v[8:9]
	v_add_f64_e32 v[8:9], v[14:15], v[12:13]
	s_delay_alu instid0(VALU_DEP_1) | instskip(NEXT) | instid1(VALU_DEP_1)
	v_dual_cndmask_b32 v4, v9, v7 :: v_dual_cndmask_b32 v3, v8, v6
	v_bitop3_b32 v1, v4, v1, 0x80000000 bitop3:0x78
	s_delay_alu instid0(VALU_DEP_2) | instskip(NEXT) | instid1(VALU_DEP_2)
	v_cndmask_b32_e64 v4, 0, v3, s0
	v_cndmask_b32_e64 v5, 0x7ff80000, v1, s0
	global_store_b64 v2, v[4:5], s[4:5]
	s_wait_xcnt 0x0
	s_or_b32 exec_lo, exec_lo, s9
	s_delay_alu instid0(SALU_CYCLE_1)
	s_mov_b32 s9, exec_lo
	v_cmpx_gt_i32_e64 s34, v0
	s_cbranch_execnz .LBB5_15
.LBB5_103:
	s_or_b32 exec_lo, exec_lo, s9
	s_delay_alu instid0(SALU_CYCLE_1)
	s_mov_b32 s9, exec_lo
	v_cmpx_gt_i32_e64 s34, v0
	s_cbranch_execz .LBB5_123
.LBB5_104:
	s_and_not1_b32 vcc_lo, exec_lo, s30
	s_cbranch_vccnz .LBB5_109
; %bb.105:
	s_and_not1_b32 vcc_lo, exec_lo, s36
	s_cbranch_vccnz .LBB5_110
; %bb.106:
	s_add_co_i32 s0, s35, 1
	s_cmp_eq_u32 s29, 2
	s_cbranch_scc1 .LBB5_126
; %bb.107:
	v_dual_mov_b32 v2, 0 :: v_dual_mov_b32 v3, 0
	v_mov_b32_e32 v1, v0
	s_and_b32 s22, s0, 28
	s_mov_b32 s23, 0
	s_mov_b64 s[24:25], s[2:3]
	s_mov_b64 s[26:27], s[20:21]
.LBB5_108:                              ; =>This Inner Loop Header: Depth=1
	s_clause 0x1
	s_load_b256 s[40:47], s[24:25], 0x4
	s_load_b128 s[56:59], s[24:25], 0x24
	s_load_b256 s[48:55], s[26:27], 0x0
	s_add_co_i32 s23, s23, 4
	s_wait_xcnt 0x0
	s_add_nc_u64 s[24:25], s[24:25], 48
	s_cmp_eq_u32 s22, s23
	s_add_nc_u64 s[26:27], s[26:27], 32
	s_wait_kmcnt 0x0
	v_mul_hi_u32 v4, s41, v1
	s_delay_alu instid0(VALU_DEP_1) | instskip(NEXT) | instid1(VALU_DEP_1)
	v_add_nc_u32_e32 v4, v1, v4
	v_lshrrev_b32_e32 v4, s42, v4
	s_delay_alu instid0(VALU_DEP_1) | instskip(NEXT) | instid1(VALU_DEP_1)
	v_mul_hi_u32 v5, s44, v4
	v_add_nc_u32_e32 v5, v4, v5
	s_delay_alu instid0(VALU_DEP_1) | instskip(NEXT) | instid1(VALU_DEP_1)
	v_lshrrev_b32_e32 v5, s45, v5
	v_mul_hi_u32 v6, s47, v5
	s_delay_alu instid0(VALU_DEP_1) | instskip(SKIP_1) | instid1(VALU_DEP_1)
	v_add_nc_u32_e32 v6, v5, v6
	v_mul_lo_u32 v7, v4, s40
	v_sub_nc_u32_e32 v1, v1, v7
	v_mul_lo_u32 v7, v5, s43
	s_delay_alu instid0(VALU_DEP_4) | instskip(NEXT) | instid1(VALU_DEP_3)
	v_lshrrev_b32_e32 v6, s56, v6
	v_mad_u32 v3, v1, s49, v3
	v_mad_u32 v1, v1, s48, v2
	s_delay_alu instid0(VALU_DEP_4) | instskip(NEXT) | instid1(VALU_DEP_4)
	v_sub_nc_u32_e32 v2, v4, v7
	v_mul_hi_u32 v8, s58, v6
	v_mul_lo_u32 v4, v6, s46
	s_delay_alu instid0(VALU_DEP_3) | instskip(SKIP_1) | instid1(VALU_DEP_4)
	v_mad_u32 v3, v2, s51, v3
	v_mad_u32 v2, v2, s50, v1
	v_add_nc_u32_e32 v7, v6, v8
	s_delay_alu instid0(VALU_DEP_1) | instskip(NEXT) | instid1(VALU_DEP_1)
	v_dual_sub_nc_u32 v4, v5, v4 :: v_dual_lshrrev_b32 v1, s59, v7
	v_mad_u32 v3, v4, s53, v3
	s_delay_alu instid0(VALU_DEP_4) | instskip(NEXT) | instid1(VALU_DEP_3)
	v_mad_u32 v2, v4, s52, v2
	v_mul_lo_u32 v5, v1, s57
	s_delay_alu instid0(VALU_DEP_1) | instskip(NEXT) | instid1(VALU_DEP_1)
	v_sub_nc_u32_e32 v4, v6, v5
	v_mad_u32 v3, v4, s55, v3
	s_delay_alu instid0(VALU_DEP_4)
	v_mad_u32 v2, v4, s54, v2
	s_cbranch_scc0 .LBB5_108
	s_branch .LBB5_127
.LBB5_109:
                                        ; implicit-def: $vgpr3
	s_branch .LBB5_131
.LBB5_110:
	v_dual_mov_b32 v3, 0 :: v_dual_mov_b32 v2, 0
	s_branch .LBB5_130
.LBB5_111:
	v_mov_b64_e32 v[2:3], 0
	v_mov_b32_e32 v1, v0
	s_mov_b32 s22, 0
.LBB5_112:
	s_and_b32 s0, s0, 3
	s_mov_b32 s23, 0
	s_cmp_eq_u32 s0, 0
	s_cbranch_scc1 .LBB5_115
; %bb.113:
	s_lshl_b32 s24, s22, 3
	s_mov_b32 s25, s23
	s_mul_u64 s[26:27], s[22:23], 12
	s_add_nc_u64 s[24:25], s[2:3], s[24:25]
	s_delay_alu instid0(SALU_CYCLE_1)
	s_add_nc_u64 s[22:23], s[24:25], 0xc4
	s_add_nc_u64 s[24:25], s[2:3], s[26:27]
.LBB5_114:                              ; =>This Inner Loop Header: Depth=1
	s_load_b96 s[40:42], s[24:25], 0x4
	s_load_b64 s[26:27], s[22:23], 0x0
	s_add_co_i32 s0, s0, -1
	s_wait_xcnt 0x0
	s_add_nc_u64 s[24:25], s[24:25], 12
	s_cmp_lg_u32 s0, 0
	s_add_nc_u64 s[22:23], s[22:23], 8
	s_wait_kmcnt 0x0
	v_mul_hi_u32 v4, s41, v1
	s_delay_alu instid0(VALU_DEP_1) | instskip(NEXT) | instid1(VALU_DEP_1)
	v_add_nc_u32_e32 v4, v1, v4
	v_lshrrev_b32_e32 v4, s42, v4
	s_delay_alu instid0(VALU_DEP_1) | instskip(NEXT) | instid1(VALU_DEP_1)
	v_mul_lo_u32 v5, v4, s40
	v_sub_nc_u32_e32 v1, v1, v5
	s_delay_alu instid0(VALU_DEP_1)
	v_mad_u32 v3, v1, s27, v3
	v_mad_u32 v2, v1, s26, v2
	v_mov_b32_e32 v1, v4
	s_cbranch_scc1 .LBB5_114
.LBB5_115:
	s_cbranch_execnz .LBB5_118
.LBB5_116:
	v_mov_b32_e32 v1, 0
	s_and_not1_b32 vcc_lo, exec_lo, s33
	s_delay_alu instid0(VALU_DEP_1) | instskip(NEXT) | instid1(VALU_DEP_1)
	v_mul_u64_e32 v[2:3], s[16:17], v[0:1]
	v_add_nc_u32_e32 v2, v0, v3
	s_delay_alu instid0(VALU_DEP_1) | instskip(NEXT) | instid1(VALU_DEP_1)
	v_lshrrev_b32_e32 v4, s10, v2
	v_mul_lo_u32 v2, v4, s8
	s_delay_alu instid0(VALU_DEP_1) | instskip(NEXT) | instid1(VALU_DEP_1)
	v_sub_nc_u32_e32 v2, v0, v2
	v_mul_lo_u32 v3, v2, s13
	v_mul_lo_u32 v2, v2, s12
	s_cbranch_vccnz .LBB5_118
; %bb.117:
	v_mov_b32_e32 v5, v1
	s_delay_alu instid0(VALU_DEP_1) | instskip(NEXT) | instid1(VALU_DEP_1)
	v_mul_u64_e32 v[6:7], s[18:19], v[4:5]
	v_add_nc_u32_e32 v1, v4, v7
	s_delay_alu instid0(VALU_DEP_1) | instskip(NEXT) | instid1(VALU_DEP_1)
	v_lshrrev_b32_e32 v1, s1, v1
	v_mul_lo_u32 v1, v1, s11
	s_delay_alu instid0(VALU_DEP_1) | instskip(NEXT) | instid1(VALU_DEP_1)
	v_sub_nc_u32_e32 v1, v4, v1
	v_mad_u32 v2, v1, s14, v2
	v_mad_u32 v3, v1, s15, v3
.LBB5_118:
	global_load_b64 v[4:5], v3, s[6:7]
                                        ; implicit-def: $vgpr1
                                        ; implicit-def: $vgpr6_vgpr7
                                        ; implicit-def: $vgpr8_vgpr9
	s_wait_loadcnt 0x0
	v_cmp_ngt_f64_e64 s0, 0x41d00000, |v[4:5]|
	s_wait_xcnt 0x0
	s_and_saveexec_b32 s22, s0
	s_delay_alu instid0(SALU_CYCLE_1)
	s_xor_b32 s0, exec_lo, s22
	s_cbranch_execz .LBB5_120
; %bb.119:
	v_ldexp_f64 v[6:7], |v[4:5]|, 0xffffff80
	v_cmp_le_f64_e64 vcc_lo, 0x7b000000, |v[4:5]|
	v_trig_preop_f64 v[8:9], |v[4:5]|, 0
	v_and_b32_e32 v1, 0x7fffffff, v5
	v_trig_preop_f64 v[10:11], |v[4:5]|, 1
	v_trig_preop_f64 v[20:21], |v[4:5]|, 2
	s_mov_b64 s[22:23], 0x3ff921fb54442d18
	s_delay_alu instid0(VALU_DEP_3) | instskip(SKIP_1) | instid1(VALU_DEP_1)
	v_dual_mov_b32 v28, 0 :: v_dual_cndmask_b32 v7, v1, v7
	v_cndmask_b32_e32 v6, v4, v6, vcc_lo
	v_mul_f64_e32 v[12:13], v[8:9], v[6:7]
	v_mul_f64_e32 v[14:15], v[10:11], v[6:7]
	;; [unrolled: 1-line block ×3, first 2 shown]
	s_delay_alu instid0(VALU_DEP_3) | instskip(NEXT) | instid1(VALU_DEP_3)
	v_fma_f64 v[8:9], v[8:9], v[6:7], -v[12:13]
	v_fma_f64 v[10:11], v[10:11], v[6:7], -v[14:15]
	s_delay_alu instid0(VALU_DEP_3) | instskip(NEXT) | instid1(VALU_DEP_3)
	v_fma_f64 v[6:7], v[20:21], v[6:7], -v[26:27]
	v_add_f64_e32 v[16:17], v[14:15], v[8:9]
	s_delay_alu instid0(VALU_DEP_1) | instskip(SKIP_1) | instid1(VALU_DEP_2)
	v_add_f64_e64 v[18:19], v[16:17], -v[14:15]
	v_add_f64_e32 v[24:25], v[12:13], v[16:17]
	v_add_f64_e64 v[22:23], v[16:17], -v[18:19]
	v_add_f64_e64 v[8:9], v[8:9], -v[18:19]
	s_delay_alu instid0(VALU_DEP_3) | instskip(NEXT) | instid1(VALU_DEP_3)
	v_ldexp_f64 v[18:19], v[24:25], -2
	v_add_f64_e64 v[14:15], v[14:15], -v[22:23]
	v_add_f64_e32 v[22:23], v[26:27], v[10:11]
	s_delay_alu instid0(VALU_DEP_3) | instskip(NEXT) | instid1(VALU_DEP_3)
	v_cmp_neq_f64_e64 vcc_lo, 0x7ff00000, |v[18:19]|
	v_add_f64_e32 v[8:9], v[8:9], v[14:15]
	v_fract_f64_e32 v[14:15], v[18:19]
	s_delay_alu instid0(VALU_DEP_1) | instskip(NEXT) | instid1(VALU_DEP_1)
	v_ldexp_f64 v[14:15], v[14:15], 2
	v_dual_add_f64 v[12:13], v[24:25], -v[12:13] :: v_dual_cndmask_b32 v14, 0, v14, vcc_lo
	s_delay_alu instid0(VALU_DEP_1) | instskip(SKIP_1) | instid1(VALU_DEP_1)
	v_dual_add_f64 v[12:13], v[16:17], -v[12:13] :: v_dual_cndmask_b32 v15, 0, v15, vcc_lo
	v_add_f64_e32 v[16:17], v[22:23], v[8:9]
	v_add_f64_e32 v[18:19], v[12:13], v[16:17]
	v_add_f64_e64 v[30:31], v[16:17], -v[22:23]
	s_delay_alu instid0(VALU_DEP_2) | instskip(NEXT) | instid1(VALU_DEP_2)
	v_add_f64_e32 v[24:25], v[18:19], v[14:15]
	v_add_f64_e64 v[36:37], v[16:17], -v[30:31]
	v_add_f64_e64 v[8:9], v[8:9], -v[30:31]
	;; [unrolled: 1-line block ×3, first 2 shown]
	s_delay_alu instid0(VALU_DEP_4) | instskip(SKIP_1) | instid1(VALU_DEP_3)
	v_cmp_gt_f64_e32 vcc_lo, 0, v[24:25]
	v_add_f64_e64 v[24:25], v[22:23], -v[26:27]
	v_add_f64_e64 v[12:13], v[16:17], -v[12:13]
	v_cndmask_b32_e64 v29, 0, 0x40100000, vcc_lo
	s_delay_alu instid0(VALU_DEP_3) | instskip(SKIP_2) | instid1(VALU_DEP_4)
	v_add_f64_e64 v[34:35], v[22:23], -v[24:25]
	v_add_f64_e64 v[10:11], v[10:11], -v[24:25]
	;; [unrolled: 1-line block ×3, first 2 shown]
	v_add_f64_e32 v[14:15], v[14:15], v[28:29]
	s_delay_alu instid0(VALU_DEP_4) | instskip(NEXT) | instid1(VALU_DEP_3)
	v_add_f64_e64 v[24:25], v[26:27], -v[34:35]
	v_add_f64_e32 v[8:9], v[8:9], v[22:23]
	s_delay_alu instid0(VALU_DEP_3) | instskip(NEXT) | instid1(VALU_DEP_3)
	v_add_f64_e32 v[32:33], v[18:19], v[14:15]
	v_add_f64_e32 v[10:11], v[10:11], v[24:25]
	s_delay_alu instid0(VALU_DEP_2) | instskip(NEXT) | instid1(VALU_DEP_2)
	v_cvt_i32_f64_e32 v1, v[32:33]
	v_add_f64_e32 v[8:9], v[10:11], v[8:9]
	s_delay_alu instid0(VALU_DEP_2) | instskip(NEXT) | instid1(VALU_DEP_2)
	v_cvt_f64_i32_e32 v[30:31], v1
	v_add_f64_e32 v[6:7], v[6:7], v[8:9]
	s_delay_alu instid0(VALU_DEP_2) | instskip(NEXT) | instid1(VALU_DEP_2)
	v_add_f64_e64 v[14:15], v[14:15], -v[30:31]
	v_add_f64_e32 v[6:7], v[12:13], v[6:7]
	s_delay_alu instid0(VALU_DEP_2) | instskip(NEXT) | instid1(VALU_DEP_1)
	v_add_f64_e32 v[10:11], v[18:19], v[14:15]
	v_add_f64_e64 v[8:9], v[10:11], -v[14:15]
	v_cmp_le_f64_e32 vcc_lo, 0.5, v[10:11]
	s_delay_alu instid0(VALU_DEP_2) | instskip(SKIP_2) | instid1(VALU_DEP_3)
	v_add_f64_e64 v[8:9], v[18:19], -v[8:9]
	v_cndmask_b32_e64 v29, 0, 0x3ff00000, vcc_lo
	v_add_co_ci_u32_e64 v1, null, 0, v1, vcc_lo
	v_add_f64_e32 v[6:7], v[6:7], v[8:9]
	s_delay_alu instid0(VALU_DEP_3) | instskip(NEXT) | instid1(VALU_DEP_1)
	v_add_f64_e64 v[8:9], v[10:11], -v[28:29]
	v_add_f64_e32 v[10:11], v[8:9], v[6:7]
	s_delay_alu instid0(VALU_DEP_1) | instskip(SKIP_1) | instid1(VALU_DEP_2)
	v_mul_f64_e32 v[12:13], 0x3ff921fb54442d18, v[10:11]
	v_add_f64_e64 v[8:9], v[10:11], -v[8:9]
	v_fma_f64 v[14:15], v[10:11], s[22:23], -v[12:13]
	s_delay_alu instid0(VALU_DEP_2) | instskip(NEXT) | instid1(VALU_DEP_2)
	v_add_f64_e64 v[6:7], v[6:7], -v[8:9]
	v_fmamk_f64 v[8:9], v[10:11], 0x3c91a62633145c07, v[14:15]
	s_delay_alu instid0(VALU_DEP_1) | instskip(NEXT) | instid1(VALU_DEP_1)
	v_fmac_f64_e32 v[8:9], 0x3ff921fb54442d18, v[6:7]
	v_add_f64_e32 v[6:7], v[12:13], v[8:9]
	s_delay_alu instid0(VALU_DEP_1) | instskip(NEXT) | instid1(VALU_DEP_1)
	v_add_f64_e64 v[10:11], v[6:7], -v[12:13]
	v_add_f64_e64 v[8:9], v[8:9], -v[10:11]
.LBB5_120:
	s_and_not1_saveexec_b32 s0, s0
	s_cbranch_execz .LBB5_122
; %bb.121:
	s_mov_b64 s[22:23], 0x3fe45f306dc9c883
	s_delay_alu instid0(SALU_CYCLE_1) | instskip(SKIP_1) | instid1(VALU_DEP_1)
	v_mul_f64_e64 v[6:7], |v[4:5]|, s[22:23]
	s_mov_b64 s[22:23], 0xbff921fb54442d18
	v_rndne_f64_e32 v[10:11], v[6:7]
	s_delay_alu instid0(VALU_DEP_1) | instskip(SKIP_2) | instid1(VALU_DEP_3)
	v_fma_f64 v[6:7], v[10:11], s[22:23], |v[4:5]|
	v_mul_f64_e32 v[8:9], 0xbc91a62633145c00, v[10:11]
	v_cvt_i32_f64_e32 v1, v[10:11]
	v_fmamk_f64 v[16:17], v[10:11], 0xbc91a62633145c00, v[6:7]
	s_delay_alu instid0(VALU_DEP_3) | instskip(NEXT) | instid1(VALU_DEP_1)
	v_add_f64_e32 v[12:13], v[6:7], v[8:9]
	v_add_f64_e64 v[14:15], v[6:7], -v[12:13]
	s_delay_alu instid0(VALU_DEP_3) | instskip(NEXT) | instid1(VALU_DEP_2)
	v_add_f64_e64 v[6:7], v[12:13], -v[16:17]
	v_add_f64_e32 v[12:13], v[14:15], v[8:9]
	v_fmamk_f64 v[8:9], v[10:11], 0x3c91a62633145c00, v[8:9]
	s_delay_alu instid0(VALU_DEP_2) | instskip(NEXT) | instid1(VALU_DEP_1)
	v_add_f64_e32 v[6:7], v[6:7], v[12:13]
	v_add_f64_e64 v[6:7], v[6:7], -v[8:9]
	s_delay_alu instid0(VALU_DEP_1) | instskip(NEXT) | instid1(VALU_DEP_1)
	v_fmamk_f64 v[8:9], v[10:11], 0xb97b839a252049c0, v[6:7]
	v_add_f64_e32 v[6:7], v[16:17], v[8:9]
	s_delay_alu instid0(VALU_DEP_1) | instskip(NEXT) | instid1(VALU_DEP_1)
	v_add_f64_e64 v[12:13], v[6:7], -v[16:17]
	v_add_f64_e64 v[8:9], v[8:9], -v[12:13]
.LBB5_122:
	s_or_b32 exec_lo, exec_lo, s0
	v_dual_mul_f64 v[10:11], v[6:7], v[6:7] :: v_dual_bitop2_b32 v3, 1, v1 bitop3:0x40
	s_mov_b64 s[22:23], 0x3de5e0b2f9a43bb8
	v_cmp_class_f64_e64 s0, v[4:5], 0x1f8
	v_add_nc_u32_e32 v0, 0x80, v0
	v_lshlrev_b32_e32 v1, 30, v1
	v_cmp_eq_u32_e32 vcc_lo, 0, v3
	v_mul_f64_e32 v[18:19], 0.5, v[8:9]
	s_delay_alu instid0(VALU_DEP_3) | instskip(SKIP_3) | instid1(VALU_DEP_2)
	v_dual_mul_f64 v[20:21], v[6:7], -v[10:11] :: v_dual_bitop2_b32 v1, v1, v5 bitop3:0x14
	v_mul_f64_e32 v[12:13], 0.5, v[10:11]
	v_fmaak_f64 v[22:23], s[22:23], v[10:11], 0xbe5ae600b42fdfa7
	s_mov_b64 s[22:23], 0xbda907db46cc5e42
	v_add_f64_e64 v[14:15], -v[12:13], 1.0
	s_delay_alu instid0(VALU_DEP_1) | instskip(NEXT) | instid1(VALU_DEP_1)
	v_add_f64_e64 v[16:17], -v[14:15], 1.0
	v_add_f64_e64 v[12:13], v[16:17], -v[12:13]
	s_delay_alu instid0(VALU_DEP_4) | instskip(SKIP_1) | instid1(VALU_DEP_2)
	v_fmaak_f64 v[16:17], v[10:11], v[22:23], 0x3ec71de3796cde01
	v_mul_f64_e32 v[22:23], v[10:11], v[10:11]
	v_fmaak_f64 v[16:17], v[10:11], v[16:17], 0xbf2a01a019e83e5c
	s_delay_alu instid0(VALU_DEP_1) | instskip(NEXT) | instid1(VALU_DEP_1)
	v_fmaak_f64 v[16:17], v[10:11], v[16:17], 0x3f81111111110bb3
	v_fmac_f64_e32 v[18:19], v[20:21], v[16:17]
	v_fmaak_f64 v[16:17], s[22:23], v[10:11], 0x3e21eeb69037ab78
	s_delay_alu instid0(VALU_DEP_1) | instskip(SKIP_1) | instid1(VALU_DEP_2)
	v_fmaak_f64 v[16:17], v[10:11], v[16:17], 0xbe927e4fa17f65f6
	v_fma_f64 v[12:13], v[6:7], -v[8:9], v[12:13]
	v_fmaak_f64 v[16:17], v[10:11], v[16:17], 0x3efa01a019f4ec90
	s_delay_alu instid0(VALU_DEP_1) | instskip(SKIP_1) | instid1(VALU_DEP_2)
	v_fmaak_f64 v[16:17], v[10:11], v[16:17], 0xbf56c16c16c16967
	v_fma_f64 v[8:9], v[10:11], v[18:19], -v[8:9]
	v_fmaak_f64 v[10:11], v[10:11], v[16:17], 0x3fa5555555555555
	s_delay_alu instid0(VALU_DEP_1) | instskip(NEXT) | instid1(VALU_DEP_3)
	v_fmac_f64_e32 v[12:13], v[22:23], v[10:11]
	v_fmamk_f64 v[8:9], v[20:21], 0xbfc5555555555555, v[8:9]
	s_delay_alu instid0(VALU_DEP_1) | instskip(NEXT) | instid1(VALU_DEP_3)
	v_add_f64_e64 v[6:7], v[6:7], -v[8:9]
	v_add_f64_e32 v[8:9], v[14:15], v[12:13]
	s_delay_alu instid0(VALU_DEP_1) | instskip(NEXT) | instid1(VALU_DEP_1)
	v_dual_cndmask_b32 v4, v9, v7 :: v_dual_cndmask_b32 v3, v8, v6
	v_bitop3_b32 v1, v4, v1, 0x80000000 bitop3:0x78
	s_delay_alu instid0(VALU_DEP_2) | instskip(NEXT) | instid1(VALU_DEP_2)
	v_cndmask_b32_e64 v4, 0, v3, s0
	v_cndmask_b32_e64 v5, 0x7ff80000, v1, s0
	global_store_b64 v2, v[4:5], s[4:5]
	s_wait_xcnt 0x0
	s_or_b32 exec_lo, exec_lo, s9
	s_delay_alu instid0(SALU_CYCLE_1)
	s_mov_b32 s9, exec_lo
	v_cmpx_gt_i32_e64 s34, v0
	s_cbranch_execnz .LBB5_104
.LBB5_123:
	s_or_b32 exec_lo, exec_lo, s9
	s_delay_alu instid0(SALU_CYCLE_1)
	s_mov_b32 s9, exec_lo
	v_cmpx_gt_i32_e64 s34, v0
	s_cbranch_execnz .LBB5_138
.LBB5_124:
	s_or_b32 exec_lo, exec_lo, s9
                                        ; implicit-def: $vgpr8
                                        ; implicit-def: $vgpr0
	s_and_not1_saveexec_b32 s0, s31
	s_cbranch_execnz .LBB5_8
.LBB5_125:
	s_endpgm
.LBB5_126:
	v_mov_b64_e32 v[2:3], 0
	v_mov_b32_e32 v1, v0
	s_mov_b32 s22, 0
.LBB5_127:
	s_and_b32 s0, s0, 3
	s_mov_b32 s23, 0
	s_cmp_eq_u32 s0, 0
	s_cbranch_scc1 .LBB5_130
; %bb.128:
	s_lshl_b32 s24, s22, 3
	s_mov_b32 s25, s23
	s_mul_u64 s[26:27], s[22:23], 12
	s_add_nc_u64 s[24:25], s[2:3], s[24:25]
	s_delay_alu instid0(SALU_CYCLE_1)
	s_add_nc_u64 s[22:23], s[24:25], 0xc4
	s_add_nc_u64 s[24:25], s[2:3], s[26:27]
.LBB5_129:                              ; =>This Inner Loop Header: Depth=1
	s_load_b96 s[40:42], s[24:25], 0x4
	s_load_b64 s[26:27], s[22:23], 0x0
	s_add_co_i32 s0, s0, -1
	s_wait_xcnt 0x0
	s_add_nc_u64 s[24:25], s[24:25], 12
	s_cmp_lg_u32 s0, 0
	s_add_nc_u64 s[22:23], s[22:23], 8
	s_wait_kmcnt 0x0
	v_mul_hi_u32 v4, s41, v1
	s_delay_alu instid0(VALU_DEP_1) | instskip(NEXT) | instid1(VALU_DEP_1)
	v_add_nc_u32_e32 v4, v1, v4
	v_lshrrev_b32_e32 v4, s42, v4
	s_delay_alu instid0(VALU_DEP_1) | instskip(NEXT) | instid1(VALU_DEP_1)
	v_mul_lo_u32 v5, v4, s40
	v_sub_nc_u32_e32 v1, v1, v5
	s_delay_alu instid0(VALU_DEP_1)
	v_mad_u32 v3, v1, s27, v3
	v_mad_u32 v2, v1, s26, v2
	v_mov_b32_e32 v1, v4
	s_cbranch_scc1 .LBB5_129
.LBB5_130:
	s_cbranch_execnz .LBB5_133
.LBB5_131:
	v_mov_b32_e32 v1, 0
	s_and_not1_b32 vcc_lo, exec_lo, s33
	s_delay_alu instid0(VALU_DEP_1) | instskip(NEXT) | instid1(VALU_DEP_1)
	v_mul_u64_e32 v[2:3], s[16:17], v[0:1]
	v_add_nc_u32_e32 v2, v0, v3
	s_delay_alu instid0(VALU_DEP_1) | instskip(NEXT) | instid1(VALU_DEP_1)
	v_lshrrev_b32_e32 v4, s10, v2
	v_mul_lo_u32 v2, v4, s8
	s_delay_alu instid0(VALU_DEP_1) | instskip(NEXT) | instid1(VALU_DEP_1)
	v_sub_nc_u32_e32 v2, v0, v2
	v_mul_lo_u32 v3, v2, s13
	v_mul_lo_u32 v2, v2, s12
	s_cbranch_vccnz .LBB5_133
; %bb.132:
	v_mov_b32_e32 v5, v1
	s_delay_alu instid0(VALU_DEP_1) | instskip(NEXT) | instid1(VALU_DEP_1)
	v_mul_u64_e32 v[6:7], s[18:19], v[4:5]
	v_add_nc_u32_e32 v1, v4, v7
	s_delay_alu instid0(VALU_DEP_1) | instskip(NEXT) | instid1(VALU_DEP_1)
	v_lshrrev_b32_e32 v1, s1, v1
	v_mul_lo_u32 v1, v1, s11
	s_delay_alu instid0(VALU_DEP_1) | instskip(NEXT) | instid1(VALU_DEP_1)
	v_sub_nc_u32_e32 v1, v4, v1
	v_mad_u32 v2, v1, s14, v2
	v_mad_u32 v3, v1, s15, v3
.LBB5_133:
	global_load_b64 v[4:5], v3, s[6:7]
                                        ; implicit-def: $vgpr1
                                        ; implicit-def: $vgpr6_vgpr7
                                        ; implicit-def: $vgpr8_vgpr9
	s_wait_loadcnt 0x0
	v_cmp_ngt_f64_e64 s0, 0x41d00000, |v[4:5]|
	s_wait_xcnt 0x0
	s_and_saveexec_b32 s22, s0
	s_delay_alu instid0(SALU_CYCLE_1)
	s_xor_b32 s0, exec_lo, s22
	s_cbranch_execz .LBB5_135
; %bb.134:
	v_ldexp_f64 v[6:7], |v[4:5]|, 0xffffff80
	v_cmp_le_f64_e64 vcc_lo, 0x7b000000, |v[4:5]|
	v_trig_preop_f64 v[8:9], |v[4:5]|, 0
	v_and_b32_e32 v1, 0x7fffffff, v5
	v_trig_preop_f64 v[10:11], |v[4:5]|, 1
	v_trig_preop_f64 v[20:21], |v[4:5]|, 2
	s_mov_b64 s[22:23], 0x3ff921fb54442d18
	s_delay_alu instid0(VALU_DEP_3) | instskip(SKIP_1) | instid1(VALU_DEP_1)
	v_dual_mov_b32 v28, 0 :: v_dual_cndmask_b32 v7, v1, v7
	v_cndmask_b32_e32 v6, v4, v6, vcc_lo
	v_mul_f64_e32 v[12:13], v[8:9], v[6:7]
	v_mul_f64_e32 v[14:15], v[10:11], v[6:7]
	;; [unrolled: 1-line block ×3, first 2 shown]
	s_delay_alu instid0(VALU_DEP_3) | instskip(NEXT) | instid1(VALU_DEP_3)
	v_fma_f64 v[8:9], v[8:9], v[6:7], -v[12:13]
	v_fma_f64 v[10:11], v[10:11], v[6:7], -v[14:15]
	s_delay_alu instid0(VALU_DEP_3) | instskip(NEXT) | instid1(VALU_DEP_3)
	v_fma_f64 v[6:7], v[20:21], v[6:7], -v[26:27]
	v_add_f64_e32 v[16:17], v[14:15], v[8:9]
	s_delay_alu instid0(VALU_DEP_1) | instskip(SKIP_1) | instid1(VALU_DEP_2)
	v_add_f64_e64 v[18:19], v[16:17], -v[14:15]
	v_add_f64_e32 v[24:25], v[12:13], v[16:17]
	v_add_f64_e64 v[22:23], v[16:17], -v[18:19]
	v_add_f64_e64 v[8:9], v[8:9], -v[18:19]
	s_delay_alu instid0(VALU_DEP_3) | instskip(NEXT) | instid1(VALU_DEP_3)
	v_ldexp_f64 v[18:19], v[24:25], -2
	v_add_f64_e64 v[14:15], v[14:15], -v[22:23]
	v_add_f64_e32 v[22:23], v[26:27], v[10:11]
	s_delay_alu instid0(VALU_DEP_3) | instskip(NEXT) | instid1(VALU_DEP_3)
	v_cmp_neq_f64_e64 vcc_lo, 0x7ff00000, |v[18:19]|
	v_add_f64_e32 v[8:9], v[8:9], v[14:15]
	v_fract_f64_e32 v[14:15], v[18:19]
	s_delay_alu instid0(VALU_DEP_1) | instskip(NEXT) | instid1(VALU_DEP_1)
	v_ldexp_f64 v[14:15], v[14:15], 2
	v_dual_add_f64 v[12:13], v[24:25], -v[12:13] :: v_dual_cndmask_b32 v14, 0, v14, vcc_lo
	s_delay_alu instid0(VALU_DEP_1) | instskip(SKIP_1) | instid1(VALU_DEP_1)
	v_dual_add_f64 v[12:13], v[16:17], -v[12:13] :: v_dual_cndmask_b32 v15, 0, v15, vcc_lo
	v_add_f64_e32 v[16:17], v[22:23], v[8:9]
	v_add_f64_e32 v[18:19], v[12:13], v[16:17]
	v_add_f64_e64 v[30:31], v[16:17], -v[22:23]
	s_delay_alu instid0(VALU_DEP_2) | instskip(NEXT) | instid1(VALU_DEP_2)
	v_add_f64_e32 v[24:25], v[18:19], v[14:15]
	v_add_f64_e64 v[36:37], v[16:17], -v[30:31]
	v_add_f64_e64 v[8:9], v[8:9], -v[30:31]
	v_add_f64_e64 v[12:13], v[18:19], -v[12:13]
	s_delay_alu instid0(VALU_DEP_4) | instskip(SKIP_1) | instid1(VALU_DEP_3)
	v_cmp_gt_f64_e32 vcc_lo, 0, v[24:25]
	v_add_f64_e64 v[24:25], v[22:23], -v[26:27]
	v_add_f64_e64 v[12:13], v[16:17], -v[12:13]
	v_cndmask_b32_e64 v29, 0, 0x40100000, vcc_lo
	s_delay_alu instid0(VALU_DEP_3) | instskip(SKIP_2) | instid1(VALU_DEP_4)
	v_add_f64_e64 v[34:35], v[22:23], -v[24:25]
	v_add_f64_e64 v[10:11], v[10:11], -v[24:25]
	;; [unrolled: 1-line block ×3, first 2 shown]
	v_add_f64_e32 v[14:15], v[14:15], v[28:29]
	s_delay_alu instid0(VALU_DEP_4) | instskip(NEXT) | instid1(VALU_DEP_3)
	v_add_f64_e64 v[24:25], v[26:27], -v[34:35]
	v_add_f64_e32 v[8:9], v[8:9], v[22:23]
	s_delay_alu instid0(VALU_DEP_3) | instskip(NEXT) | instid1(VALU_DEP_3)
	v_add_f64_e32 v[32:33], v[18:19], v[14:15]
	v_add_f64_e32 v[10:11], v[10:11], v[24:25]
	s_delay_alu instid0(VALU_DEP_2) | instskip(NEXT) | instid1(VALU_DEP_2)
	v_cvt_i32_f64_e32 v1, v[32:33]
	v_add_f64_e32 v[8:9], v[10:11], v[8:9]
	s_delay_alu instid0(VALU_DEP_2) | instskip(NEXT) | instid1(VALU_DEP_2)
	v_cvt_f64_i32_e32 v[30:31], v1
	v_add_f64_e32 v[6:7], v[6:7], v[8:9]
	s_delay_alu instid0(VALU_DEP_2) | instskip(NEXT) | instid1(VALU_DEP_2)
	v_add_f64_e64 v[14:15], v[14:15], -v[30:31]
	v_add_f64_e32 v[6:7], v[12:13], v[6:7]
	s_delay_alu instid0(VALU_DEP_2) | instskip(NEXT) | instid1(VALU_DEP_1)
	v_add_f64_e32 v[10:11], v[18:19], v[14:15]
	v_add_f64_e64 v[8:9], v[10:11], -v[14:15]
	v_cmp_le_f64_e32 vcc_lo, 0.5, v[10:11]
	s_delay_alu instid0(VALU_DEP_2) | instskip(SKIP_2) | instid1(VALU_DEP_3)
	v_add_f64_e64 v[8:9], v[18:19], -v[8:9]
	v_cndmask_b32_e64 v29, 0, 0x3ff00000, vcc_lo
	v_add_co_ci_u32_e64 v1, null, 0, v1, vcc_lo
	v_add_f64_e32 v[6:7], v[6:7], v[8:9]
	s_delay_alu instid0(VALU_DEP_3) | instskip(NEXT) | instid1(VALU_DEP_1)
	v_add_f64_e64 v[8:9], v[10:11], -v[28:29]
	v_add_f64_e32 v[10:11], v[8:9], v[6:7]
	s_delay_alu instid0(VALU_DEP_1) | instskip(SKIP_1) | instid1(VALU_DEP_2)
	v_mul_f64_e32 v[12:13], 0x3ff921fb54442d18, v[10:11]
	v_add_f64_e64 v[8:9], v[10:11], -v[8:9]
	v_fma_f64 v[14:15], v[10:11], s[22:23], -v[12:13]
	s_delay_alu instid0(VALU_DEP_2) | instskip(NEXT) | instid1(VALU_DEP_2)
	v_add_f64_e64 v[6:7], v[6:7], -v[8:9]
	v_fmamk_f64 v[8:9], v[10:11], 0x3c91a62633145c07, v[14:15]
	s_delay_alu instid0(VALU_DEP_1) | instskip(NEXT) | instid1(VALU_DEP_1)
	v_fmac_f64_e32 v[8:9], 0x3ff921fb54442d18, v[6:7]
	v_add_f64_e32 v[6:7], v[12:13], v[8:9]
	s_delay_alu instid0(VALU_DEP_1) | instskip(NEXT) | instid1(VALU_DEP_1)
	v_add_f64_e64 v[10:11], v[6:7], -v[12:13]
	v_add_f64_e64 v[8:9], v[8:9], -v[10:11]
.LBB5_135:
	s_and_not1_saveexec_b32 s0, s0
	s_cbranch_execz .LBB5_137
; %bb.136:
	s_mov_b64 s[22:23], 0x3fe45f306dc9c883
	s_delay_alu instid0(SALU_CYCLE_1) | instskip(SKIP_1) | instid1(VALU_DEP_1)
	v_mul_f64_e64 v[6:7], |v[4:5]|, s[22:23]
	s_mov_b64 s[22:23], 0xbff921fb54442d18
	v_rndne_f64_e32 v[10:11], v[6:7]
	s_delay_alu instid0(VALU_DEP_1) | instskip(SKIP_2) | instid1(VALU_DEP_3)
	v_fma_f64 v[6:7], v[10:11], s[22:23], |v[4:5]|
	v_mul_f64_e32 v[8:9], 0xbc91a62633145c00, v[10:11]
	v_cvt_i32_f64_e32 v1, v[10:11]
	v_fmamk_f64 v[16:17], v[10:11], 0xbc91a62633145c00, v[6:7]
	s_delay_alu instid0(VALU_DEP_3) | instskip(NEXT) | instid1(VALU_DEP_1)
	v_add_f64_e32 v[12:13], v[6:7], v[8:9]
	v_add_f64_e64 v[14:15], v[6:7], -v[12:13]
	s_delay_alu instid0(VALU_DEP_3) | instskip(NEXT) | instid1(VALU_DEP_2)
	v_add_f64_e64 v[6:7], v[12:13], -v[16:17]
	v_add_f64_e32 v[12:13], v[14:15], v[8:9]
	v_fmamk_f64 v[8:9], v[10:11], 0x3c91a62633145c00, v[8:9]
	s_delay_alu instid0(VALU_DEP_2) | instskip(NEXT) | instid1(VALU_DEP_1)
	v_add_f64_e32 v[6:7], v[6:7], v[12:13]
	v_add_f64_e64 v[6:7], v[6:7], -v[8:9]
	s_delay_alu instid0(VALU_DEP_1) | instskip(NEXT) | instid1(VALU_DEP_1)
	v_fmamk_f64 v[8:9], v[10:11], 0xb97b839a252049c0, v[6:7]
	v_add_f64_e32 v[6:7], v[16:17], v[8:9]
	s_delay_alu instid0(VALU_DEP_1) | instskip(NEXT) | instid1(VALU_DEP_1)
	v_add_f64_e64 v[12:13], v[6:7], -v[16:17]
	v_add_f64_e64 v[8:9], v[8:9], -v[12:13]
.LBB5_137:
	s_or_b32 exec_lo, exec_lo, s0
	v_dual_mul_f64 v[10:11], v[6:7], v[6:7] :: v_dual_bitop2_b32 v3, 1, v1 bitop3:0x40
	s_mov_b64 s[22:23], 0x3de5e0b2f9a43bb8
	v_cmp_class_f64_e64 s0, v[4:5], 0x1f8
	v_add_nc_u32_e32 v0, 0x80, v0
	v_lshlrev_b32_e32 v1, 30, v1
	v_cmp_eq_u32_e32 vcc_lo, 0, v3
	v_mul_f64_e32 v[18:19], 0.5, v[8:9]
	s_delay_alu instid0(VALU_DEP_3) | instskip(SKIP_3) | instid1(VALU_DEP_2)
	v_dual_mul_f64 v[20:21], v[6:7], -v[10:11] :: v_dual_bitop2_b32 v1, v1, v5 bitop3:0x14
	v_mul_f64_e32 v[12:13], 0.5, v[10:11]
	v_fmaak_f64 v[22:23], s[22:23], v[10:11], 0xbe5ae600b42fdfa7
	s_mov_b64 s[22:23], 0xbda907db46cc5e42
	v_add_f64_e64 v[14:15], -v[12:13], 1.0
	s_delay_alu instid0(VALU_DEP_1) | instskip(NEXT) | instid1(VALU_DEP_1)
	v_add_f64_e64 v[16:17], -v[14:15], 1.0
	v_add_f64_e64 v[12:13], v[16:17], -v[12:13]
	s_delay_alu instid0(VALU_DEP_4) | instskip(SKIP_1) | instid1(VALU_DEP_2)
	v_fmaak_f64 v[16:17], v[10:11], v[22:23], 0x3ec71de3796cde01
	v_mul_f64_e32 v[22:23], v[10:11], v[10:11]
	v_fmaak_f64 v[16:17], v[10:11], v[16:17], 0xbf2a01a019e83e5c
	s_delay_alu instid0(VALU_DEP_1) | instskip(NEXT) | instid1(VALU_DEP_1)
	v_fmaak_f64 v[16:17], v[10:11], v[16:17], 0x3f81111111110bb3
	v_fmac_f64_e32 v[18:19], v[20:21], v[16:17]
	v_fmaak_f64 v[16:17], s[22:23], v[10:11], 0x3e21eeb69037ab78
	s_delay_alu instid0(VALU_DEP_1) | instskip(SKIP_1) | instid1(VALU_DEP_2)
	v_fmaak_f64 v[16:17], v[10:11], v[16:17], 0xbe927e4fa17f65f6
	v_fma_f64 v[12:13], v[6:7], -v[8:9], v[12:13]
	v_fmaak_f64 v[16:17], v[10:11], v[16:17], 0x3efa01a019f4ec90
	s_delay_alu instid0(VALU_DEP_1) | instskip(SKIP_1) | instid1(VALU_DEP_2)
	v_fmaak_f64 v[16:17], v[10:11], v[16:17], 0xbf56c16c16c16967
	v_fma_f64 v[8:9], v[10:11], v[18:19], -v[8:9]
	v_fmaak_f64 v[10:11], v[10:11], v[16:17], 0x3fa5555555555555
	s_delay_alu instid0(VALU_DEP_1) | instskip(NEXT) | instid1(VALU_DEP_3)
	v_fmac_f64_e32 v[12:13], v[22:23], v[10:11]
	v_fmamk_f64 v[8:9], v[20:21], 0xbfc5555555555555, v[8:9]
	s_delay_alu instid0(VALU_DEP_1) | instskip(NEXT) | instid1(VALU_DEP_3)
	v_add_f64_e64 v[6:7], v[6:7], -v[8:9]
	v_add_f64_e32 v[8:9], v[14:15], v[12:13]
	s_delay_alu instid0(VALU_DEP_1) | instskip(NEXT) | instid1(VALU_DEP_1)
	v_dual_cndmask_b32 v4, v9, v7 :: v_dual_cndmask_b32 v3, v8, v6
	v_bitop3_b32 v1, v4, v1, 0x80000000 bitop3:0x78
	s_delay_alu instid0(VALU_DEP_2) | instskip(NEXT) | instid1(VALU_DEP_2)
	v_cndmask_b32_e64 v4, 0, v3, s0
	v_cndmask_b32_e64 v5, 0x7ff80000, v1, s0
	global_store_b64 v2, v[4:5], s[4:5]
	s_wait_xcnt 0x0
	s_or_b32 exec_lo, exec_lo, s9
	s_delay_alu instid0(SALU_CYCLE_1)
	s_mov_b32 s9, exec_lo
	v_cmpx_gt_i32_e64 s34, v0
	s_cbranch_execz .LBB5_124
.LBB5_138:
	s_and_not1_b32 vcc_lo, exec_lo, s30
	s_cbranch_vccnz .LBB5_143
; %bb.139:
	s_and_not1_b32 vcc_lo, exec_lo, s36
	s_cbranch_vccnz .LBB5_144
; %bb.140:
	s_add_co_i32 s35, s35, 1
	s_cmp_eq_u32 s29, 2
	s_cbranch_scc1 .LBB5_145
; %bb.141:
	v_dual_mov_b32 v2, 0 :: v_dual_mov_b32 v3, 0
	v_mov_b32_e32 v1, v0
	s_and_b32 s22, s35, 28
	s_mov_b32 s0, 0
	s_mov_b64 s[24:25], s[2:3]
.LBB5_142:                              ; =>This Inner Loop Header: Depth=1
	s_clause 0x1
	s_load_b256 s[36:43], s[24:25], 0x4
	s_load_b128 s[52:55], s[24:25], 0x24
	s_load_b256 s[44:51], s[20:21], 0x0
	s_add_co_i32 s0, s0, 4
	s_wait_xcnt 0x0
	s_add_nc_u64 s[24:25], s[24:25], 48
	s_cmp_eq_u32 s22, s0
	s_add_nc_u64 s[20:21], s[20:21], 32
	s_wait_kmcnt 0x0
	v_mul_hi_u32 v4, s37, v1
	s_delay_alu instid0(VALU_DEP_1) | instskip(NEXT) | instid1(VALU_DEP_1)
	v_add_nc_u32_e32 v4, v1, v4
	v_lshrrev_b32_e32 v4, s38, v4
	s_delay_alu instid0(VALU_DEP_1) | instskip(NEXT) | instid1(VALU_DEP_1)
	v_mul_hi_u32 v5, s40, v4
	v_add_nc_u32_e32 v5, v4, v5
	s_delay_alu instid0(VALU_DEP_1) | instskip(NEXT) | instid1(VALU_DEP_1)
	v_lshrrev_b32_e32 v5, s41, v5
	v_mul_hi_u32 v6, s43, v5
	s_delay_alu instid0(VALU_DEP_1) | instskip(SKIP_1) | instid1(VALU_DEP_1)
	v_add_nc_u32_e32 v6, v5, v6
	v_mul_lo_u32 v7, v4, s36
	v_sub_nc_u32_e32 v1, v1, v7
	v_mul_lo_u32 v7, v5, s39
	s_delay_alu instid0(VALU_DEP_4) | instskip(NEXT) | instid1(VALU_DEP_3)
	v_lshrrev_b32_e32 v6, s52, v6
	v_mad_u32 v3, v1, s45, v3
	v_mad_u32 v1, v1, s44, v2
	s_delay_alu instid0(VALU_DEP_4) | instskip(NEXT) | instid1(VALU_DEP_4)
	v_sub_nc_u32_e32 v2, v4, v7
	v_mul_hi_u32 v8, s54, v6
	v_mul_lo_u32 v4, v6, s42
	s_delay_alu instid0(VALU_DEP_3) | instskip(SKIP_1) | instid1(VALU_DEP_4)
	v_mad_u32 v3, v2, s47, v3
	v_mad_u32 v2, v2, s46, v1
	v_add_nc_u32_e32 v7, v6, v8
	s_delay_alu instid0(VALU_DEP_1) | instskip(NEXT) | instid1(VALU_DEP_1)
	v_dual_sub_nc_u32 v4, v5, v4 :: v_dual_lshrrev_b32 v1, s55, v7
	v_mad_u32 v3, v4, s49, v3
	s_delay_alu instid0(VALU_DEP_4) | instskip(NEXT) | instid1(VALU_DEP_3)
	v_mad_u32 v2, v4, s48, v2
	v_mul_lo_u32 v5, v1, s53
	s_delay_alu instid0(VALU_DEP_1) | instskip(NEXT) | instid1(VALU_DEP_1)
	v_sub_nc_u32_e32 v4, v6, v5
	v_mad_u32 v3, v4, s51, v3
	s_delay_alu instid0(VALU_DEP_4)
	v_mad_u32 v2, v4, s50, v2
	s_cbranch_scc0 .LBB5_142
	s_branch .LBB5_146
.LBB5_143:
                                        ; implicit-def: $vgpr3
	s_branch .LBB5_150
.LBB5_144:
	v_dual_mov_b32 v3, 0 :: v_dual_mov_b32 v2, 0
	s_branch .LBB5_149
.LBB5_145:
	v_mov_b64_e32 v[2:3], 0
	v_mov_b32_e32 v1, v0
	s_mov_b32 s22, 0
.LBB5_146:
	s_and_b32 s0, s35, 3
	s_mov_b32 s23, 0
	s_cmp_eq_u32 s0, 0
	s_cbranch_scc1 .LBB5_149
; %bb.147:
	s_lshl_b32 s20, s22, 3
	s_mov_b32 s21, s23
	s_mul_u64 s[22:23], s[22:23], 12
	s_add_nc_u64 s[20:21], s[2:3], s[20:21]
	s_add_nc_u64 s[22:23], s[2:3], s[22:23]
	;; [unrolled: 1-line block ×3, first 2 shown]
.LBB5_148:                              ; =>This Inner Loop Header: Depth=1
	s_load_b96 s[24:26], s[22:23], 0x4
	s_add_co_i32 s0, s0, -1
	s_wait_xcnt 0x0
	s_add_nc_u64 s[22:23], s[22:23], 12
	s_cmp_lg_u32 s0, 0
	s_wait_kmcnt 0x0
	v_mul_hi_u32 v4, s25, v1
	s_delay_alu instid0(VALU_DEP_1) | instskip(NEXT) | instid1(VALU_DEP_1)
	v_add_nc_u32_e32 v4, v1, v4
	v_lshrrev_b32_e32 v4, s26, v4
	s_load_b64 s[26:27], s[20:21], 0x0
	s_wait_xcnt 0x0
	s_add_nc_u64 s[20:21], s[20:21], 8
	s_delay_alu instid0(VALU_DEP_1) | instskip(NEXT) | instid1(VALU_DEP_1)
	v_mul_lo_u32 v5, v4, s24
	v_sub_nc_u32_e32 v1, v1, v5
	s_wait_kmcnt 0x0
	s_delay_alu instid0(VALU_DEP_1)
	v_mad_u32 v3, v1, s27, v3
	v_mad_u32 v2, v1, s26, v2
	v_mov_b32_e32 v1, v4
	s_cbranch_scc1 .LBB5_148
.LBB5_149:
	s_cbranch_execnz .LBB5_152
.LBB5_150:
	v_mov_b32_e32 v1, 0
	s_and_not1_b32 vcc_lo, exec_lo, s33
	s_delay_alu instid0(VALU_DEP_1) | instskip(NEXT) | instid1(VALU_DEP_1)
	v_mul_u64_e32 v[2:3], s[16:17], v[0:1]
	v_add_nc_u32_e32 v2, v0, v3
	s_delay_alu instid0(VALU_DEP_1) | instskip(NEXT) | instid1(VALU_DEP_1)
	v_lshrrev_b32_e32 v4, s10, v2
	v_mul_lo_u32 v2, v4, s8
	s_delay_alu instid0(VALU_DEP_1) | instskip(NEXT) | instid1(VALU_DEP_1)
	v_sub_nc_u32_e32 v0, v0, v2
	v_mul_lo_u32 v3, v0, s13
	v_mul_lo_u32 v2, v0, s12
	s_cbranch_vccnz .LBB5_152
; %bb.151:
	v_mov_b32_e32 v5, v1
	s_delay_alu instid0(VALU_DEP_1) | instskip(NEXT) | instid1(VALU_DEP_1)
	v_mul_u64_e32 v[0:1], s[18:19], v[4:5]
	v_add_nc_u32_e32 v0, v4, v1
	s_delay_alu instid0(VALU_DEP_1) | instskip(NEXT) | instid1(VALU_DEP_1)
	v_lshrrev_b32_e32 v0, s1, v0
	v_mul_lo_u32 v0, v0, s11
	s_delay_alu instid0(VALU_DEP_1) | instskip(NEXT) | instid1(VALU_DEP_1)
	v_sub_nc_u32_e32 v0, v4, v0
	v_mad_u32 v2, v0, s14, v2
	v_mad_u32 v3, v0, s15, v3
.LBB5_152:
	global_load_b64 v[0:1], v3, s[6:7]
                                        ; implicit-def: $vgpr3
                                        ; implicit-def: $vgpr4_vgpr5
                                        ; implicit-def: $vgpr6_vgpr7
	s_wait_loadcnt 0x0
	v_cmp_ngt_f64_e64 s0, 0x41d00000, |v[0:1]|
	s_wait_xcnt 0x0
	s_and_saveexec_b32 s1, s0
	s_delay_alu instid0(SALU_CYCLE_1)
	s_xor_b32 s0, exec_lo, s1
	s_cbranch_execz .LBB5_154
; %bb.153:
	v_ldexp_f64 v[4:5], |v[0:1]|, 0xffffff80
	v_cmp_le_f64_e64 vcc_lo, 0x7b000000, |v[0:1]|
	v_trig_preop_f64 v[6:7], |v[0:1]|, 0
	v_and_b32_e32 v3, 0x7fffffff, v1
	v_trig_preop_f64 v[8:9], |v[0:1]|, 1
	v_trig_preop_f64 v[18:19], |v[0:1]|, 2
	s_mov_b64 s[6:7], 0x3ff921fb54442d18
	s_delay_alu instid0(VALU_DEP_3) | instskip(SKIP_1) | instid1(VALU_DEP_1)
	v_dual_mov_b32 v26, 0 :: v_dual_cndmask_b32 v5, v3, v5
	v_cndmask_b32_e32 v4, v0, v4, vcc_lo
	v_mul_f64_e32 v[10:11], v[6:7], v[4:5]
	v_mul_f64_e32 v[12:13], v[8:9], v[4:5]
	;; [unrolled: 1-line block ×3, first 2 shown]
	s_delay_alu instid0(VALU_DEP_3) | instskip(NEXT) | instid1(VALU_DEP_3)
	v_fma_f64 v[6:7], v[6:7], v[4:5], -v[10:11]
	v_fma_f64 v[8:9], v[8:9], v[4:5], -v[12:13]
	s_delay_alu instid0(VALU_DEP_3) | instskip(NEXT) | instid1(VALU_DEP_3)
	v_fma_f64 v[4:5], v[18:19], v[4:5], -v[24:25]
	v_add_f64_e32 v[14:15], v[12:13], v[6:7]
	s_delay_alu instid0(VALU_DEP_1) | instskip(SKIP_1) | instid1(VALU_DEP_2)
	v_add_f64_e64 v[16:17], v[14:15], -v[12:13]
	v_add_f64_e32 v[22:23], v[10:11], v[14:15]
	v_add_f64_e64 v[20:21], v[14:15], -v[16:17]
	v_add_f64_e64 v[6:7], v[6:7], -v[16:17]
	s_delay_alu instid0(VALU_DEP_3) | instskip(NEXT) | instid1(VALU_DEP_3)
	v_ldexp_f64 v[16:17], v[22:23], -2
	v_add_f64_e64 v[12:13], v[12:13], -v[20:21]
	v_add_f64_e32 v[20:21], v[24:25], v[8:9]
	s_delay_alu instid0(VALU_DEP_3) | instskip(NEXT) | instid1(VALU_DEP_3)
	v_cmp_neq_f64_e64 vcc_lo, 0x7ff00000, |v[16:17]|
	v_add_f64_e32 v[6:7], v[6:7], v[12:13]
	v_fract_f64_e32 v[12:13], v[16:17]
	s_delay_alu instid0(VALU_DEP_1) | instskip(NEXT) | instid1(VALU_DEP_1)
	v_ldexp_f64 v[12:13], v[12:13], 2
	v_dual_add_f64 v[10:11], v[22:23], -v[10:11] :: v_dual_cndmask_b32 v12, 0, v12, vcc_lo
	s_delay_alu instid0(VALU_DEP_1) | instskip(SKIP_1) | instid1(VALU_DEP_1)
	v_dual_add_f64 v[10:11], v[14:15], -v[10:11] :: v_dual_cndmask_b32 v13, 0, v13, vcc_lo
	v_add_f64_e32 v[14:15], v[20:21], v[6:7]
	v_add_f64_e32 v[16:17], v[10:11], v[14:15]
	v_add_f64_e64 v[28:29], v[14:15], -v[20:21]
	s_delay_alu instid0(VALU_DEP_2) | instskip(NEXT) | instid1(VALU_DEP_2)
	v_add_f64_e32 v[22:23], v[16:17], v[12:13]
	v_add_f64_e64 v[34:35], v[14:15], -v[28:29]
	v_add_f64_e64 v[6:7], v[6:7], -v[28:29]
	;; [unrolled: 1-line block ×3, first 2 shown]
	s_delay_alu instid0(VALU_DEP_4) | instskip(SKIP_1) | instid1(VALU_DEP_3)
	v_cmp_gt_f64_e32 vcc_lo, 0, v[22:23]
	v_add_f64_e64 v[22:23], v[20:21], -v[24:25]
	v_add_f64_e64 v[10:11], v[14:15], -v[10:11]
	v_cndmask_b32_e64 v27, 0, 0x40100000, vcc_lo
	s_delay_alu instid0(VALU_DEP_3) | instskip(SKIP_2) | instid1(VALU_DEP_4)
	v_add_f64_e64 v[32:33], v[20:21], -v[22:23]
	v_add_f64_e64 v[8:9], v[8:9], -v[22:23]
	;; [unrolled: 1-line block ×3, first 2 shown]
	v_add_f64_e32 v[12:13], v[12:13], v[26:27]
	s_delay_alu instid0(VALU_DEP_4) | instskip(NEXT) | instid1(VALU_DEP_3)
	v_add_f64_e64 v[22:23], v[24:25], -v[32:33]
	v_add_f64_e32 v[6:7], v[6:7], v[20:21]
	s_delay_alu instid0(VALU_DEP_3) | instskip(NEXT) | instid1(VALU_DEP_3)
	v_add_f64_e32 v[30:31], v[16:17], v[12:13]
	v_add_f64_e32 v[8:9], v[8:9], v[22:23]
	s_delay_alu instid0(VALU_DEP_2) | instskip(NEXT) | instid1(VALU_DEP_2)
	v_cvt_i32_f64_e32 v3, v[30:31]
	v_add_f64_e32 v[6:7], v[8:9], v[6:7]
	s_delay_alu instid0(VALU_DEP_2) | instskip(NEXT) | instid1(VALU_DEP_2)
	v_cvt_f64_i32_e32 v[28:29], v3
	v_add_f64_e32 v[4:5], v[4:5], v[6:7]
	s_delay_alu instid0(VALU_DEP_2) | instskip(NEXT) | instid1(VALU_DEP_2)
	v_add_f64_e64 v[12:13], v[12:13], -v[28:29]
	v_add_f64_e32 v[4:5], v[10:11], v[4:5]
	s_delay_alu instid0(VALU_DEP_2) | instskip(NEXT) | instid1(VALU_DEP_1)
	v_add_f64_e32 v[8:9], v[16:17], v[12:13]
	v_add_f64_e64 v[6:7], v[8:9], -v[12:13]
	v_cmp_le_f64_e32 vcc_lo, 0.5, v[8:9]
	s_delay_alu instid0(VALU_DEP_2) | instskip(SKIP_2) | instid1(VALU_DEP_3)
	v_add_f64_e64 v[6:7], v[16:17], -v[6:7]
	v_cndmask_b32_e64 v27, 0, 0x3ff00000, vcc_lo
	v_add_co_ci_u32_e64 v3, null, 0, v3, vcc_lo
	v_add_f64_e32 v[4:5], v[4:5], v[6:7]
	s_delay_alu instid0(VALU_DEP_3) | instskip(NEXT) | instid1(VALU_DEP_1)
	v_add_f64_e64 v[6:7], v[8:9], -v[26:27]
	v_add_f64_e32 v[8:9], v[6:7], v[4:5]
	s_delay_alu instid0(VALU_DEP_1) | instskip(SKIP_1) | instid1(VALU_DEP_2)
	v_mul_f64_e32 v[10:11], 0x3ff921fb54442d18, v[8:9]
	v_add_f64_e64 v[6:7], v[8:9], -v[6:7]
	v_fma_f64 v[12:13], v[8:9], s[6:7], -v[10:11]
	s_delay_alu instid0(VALU_DEP_2) | instskip(NEXT) | instid1(VALU_DEP_2)
	v_add_f64_e64 v[4:5], v[4:5], -v[6:7]
	v_fmamk_f64 v[6:7], v[8:9], 0x3c91a62633145c07, v[12:13]
	s_delay_alu instid0(VALU_DEP_1) | instskip(NEXT) | instid1(VALU_DEP_1)
	v_fmac_f64_e32 v[6:7], 0x3ff921fb54442d18, v[4:5]
	v_add_f64_e32 v[4:5], v[10:11], v[6:7]
	s_delay_alu instid0(VALU_DEP_1) | instskip(NEXT) | instid1(VALU_DEP_1)
	v_add_f64_e64 v[8:9], v[4:5], -v[10:11]
	v_add_f64_e64 v[6:7], v[6:7], -v[8:9]
.LBB5_154:
	s_and_not1_saveexec_b32 s0, s0
	s_cbranch_execz .LBB5_156
; %bb.155:
	s_mov_b64 s[6:7], 0x3fe45f306dc9c883
	s_delay_alu instid0(SALU_CYCLE_1) | instskip(SKIP_1) | instid1(VALU_DEP_1)
	v_mul_f64_e64 v[4:5], |v[0:1]|, s[6:7]
	s_mov_b64 s[6:7], 0xbff921fb54442d18
	v_rndne_f64_e32 v[8:9], v[4:5]
	s_delay_alu instid0(VALU_DEP_1) | instskip(SKIP_2) | instid1(VALU_DEP_3)
	v_fma_f64 v[4:5], v[8:9], s[6:7], |v[0:1]|
	v_mul_f64_e32 v[6:7], 0xbc91a62633145c00, v[8:9]
	v_cvt_i32_f64_e32 v3, v[8:9]
	v_fmamk_f64 v[14:15], v[8:9], 0xbc91a62633145c00, v[4:5]
	s_delay_alu instid0(VALU_DEP_3) | instskip(NEXT) | instid1(VALU_DEP_1)
	v_add_f64_e32 v[10:11], v[4:5], v[6:7]
	v_add_f64_e64 v[12:13], v[4:5], -v[10:11]
	s_delay_alu instid0(VALU_DEP_3) | instskip(NEXT) | instid1(VALU_DEP_2)
	v_add_f64_e64 v[4:5], v[10:11], -v[14:15]
	v_add_f64_e32 v[10:11], v[12:13], v[6:7]
	v_fmamk_f64 v[6:7], v[8:9], 0x3c91a62633145c00, v[6:7]
	s_delay_alu instid0(VALU_DEP_2) | instskip(NEXT) | instid1(VALU_DEP_1)
	v_add_f64_e32 v[4:5], v[4:5], v[10:11]
	v_add_f64_e64 v[4:5], v[4:5], -v[6:7]
	s_delay_alu instid0(VALU_DEP_1) | instskip(NEXT) | instid1(VALU_DEP_1)
	v_fmamk_f64 v[6:7], v[8:9], 0xb97b839a252049c0, v[4:5]
	v_add_f64_e32 v[4:5], v[14:15], v[6:7]
	s_delay_alu instid0(VALU_DEP_1) | instskip(NEXT) | instid1(VALU_DEP_1)
	v_add_f64_e64 v[10:11], v[4:5], -v[14:15]
	v_add_f64_e64 v[6:7], v[6:7], -v[10:11]
.LBB5_156:
	s_or_b32 exec_lo, exec_lo, s0
	v_mul_f64_e32 v[8:9], v[4:5], v[4:5]
	s_delay_alu instid0(VALU_DEP_2) | instskip(SKIP_1) | instid1(VALU_DEP_2)
	v_mul_f64_e32 v[16:17], 0.5, v[6:7]
	s_mov_b64 s[0:1], 0x3de5e0b2f9a43bb8
	v_mul_f64_e32 v[10:11], 0.5, v[8:9]
	v_mul_f64_e64 v[18:19], v[4:5], -v[8:9]
	v_fmaak_f64 v[20:21], s[0:1], v[8:9], 0xbe5ae600b42fdfa7
	s_mov_b64 s[0:1], 0xbda907db46cc5e42
	s_delay_alu instid0(VALU_DEP_3) | instskip(NEXT) | instid1(VALU_DEP_1)
	v_add_f64_e64 v[12:13], -v[10:11], 1.0
	v_add_f64_e64 v[14:15], -v[12:13], 1.0
	s_delay_alu instid0(VALU_DEP_1) | instskip(NEXT) | instid1(VALU_DEP_4)
	v_add_f64_e64 v[10:11], v[14:15], -v[10:11]
	v_fmaak_f64 v[14:15], v[8:9], v[20:21], 0x3ec71de3796cde01
	s_delay_alu instid0(VALU_DEP_1) | instskip(NEXT) | instid1(VALU_DEP_1)
	v_fmaak_f64 v[14:15], v[8:9], v[14:15], 0xbf2a01a019e83e5c
	v_fmaak_f64 v[14:15], v[8:9], v[14:15], 0x3f81111111110bb3
	s_delay_alu instid0(VALU_DEP_1) | instskip(SKIP_3) | instid1(VALU_DEP_1)
	v_fmac_f64_e32 v[16:17], v[18:19], v[14:15]
	v_fmaak_f64 v[14:15], s[0:1], v[8:9], 0x3e21eeb69037ab78
	v_cmp_class_f64_e64 s0, v[0:1], 0x1f8
	v_dual_mul_f64 v[20:21], v[8:9], v[8:9] :: v_dual_lshlrev_b32 v0, 30, v3
	v_xor_b32_e32 v0, v0, v1
	s_delay_alu instid0(VALU_DEP_4) | instskip(SKIP_1) | instid1(VALU_DEP_2)
	v_fmaak_f64 v[14:15], v[8:9], v[14:15], 0xbe927e4fa17f65f6
	v_fma_f64 v[10:11], v[4:5], -v[6:7], v[10:11]
	v_fmaak_f64 v[14:15], v[8:9], v[14:15], 0x3efa01a019f4ec90
	s_delay_alu instid0(VALU_DEP_1) | instskip(SKIP_1) | instid1(VALU_DEP_2)
	v_fmaak_f64 v[14:15], v[8:9], v[14:15], 0xbf56c16c16c16967
	v_fma_f64 v[6:7], v[8:9], v[16:17], -v[6:7]
	v_fmaak_f64 v[8:9], v[8:9], v[14:15], 0x3fa5555555555555
	s_delay_alu instid0(VALU_DEP_1) | instskip(SKIP_1) | instid1(VALU_DEP_1)
	v_fmac_f64_e32 v[10:11], v[20:21], v[8:9]
	v_and_b32_e32 v8, 1, v3
	v_cmp_eq_u32_e32 vcc_lo, 0, v8
	v_fmamk_f64 v[6:7], v[18:19], 0xbfc5555555555555, v[6:7]
	s_delay_alu instid0(VALU_DEP_1) | instskip(SKIP_1) | instid1(VALU_DEP_1)
	v_add_f64_e64 v[4:5], v[4:5], -v[6:7]
	v_add_f64_e32 v[6:7], v[12:13], v[10:11]
	v_dual_cndmask_b32 v3, v7, v5 :: v_dual_cndmask_b32 v4, v6, v4
	s_delay_alu instid0(VALU_DEP_1) | instskip(NEXT) | instid1(VALU_DEP_2)
	v_bitop3_b32 v1, v3, v0, 0x80000000 bitop3:0x78
	v_cndmask_b32_e64 v0, 0, v4, s0
	s_delay_alu instid0(VALU_DEP_2)
	v_cndmask_b32_e64 v1, 0x7ff80000, v1, s0
	global_store_b64 v2, v[0:1], s[4:5]
	s_wait_xcnt 0x0
	s_or_b32 exec_lo, exec_lo, s9
                                        ; implicit-def: $vgpr8
                                        ; implicit-def: $vgpr0
	s_and_not1_saveexec_b32 s0, s31
	s_cbranch_execz .LBB5_125
	s_branch .LBB5_8
	.section	.rodata,"a",@progbits
	.p2align	6, 0x0
	.amdhsa_kernel _ZN2at6native32elementwise_kernel_manual_unrollILi128ELi4EZNS0_22gpu_kernel_impl_nocastIZZZNS0_15sin_kernel_cudaERNS_18TensorIteratorBaseEENKUlvE0_clEvENKUlvE_clEvEUldE_EEvS4_RKT_EUlibE_EEviT1_
		.amdhsa_group_segment_fixed_size 0
		.amdhsa_private_segment_fixed_size 0
		.amdhsa_kernarg_size 360
		.amdhsa_user_sgpr_count 2
		.amdhsa_user_sgpr_dispatch_ptr 0
		.amdhsa_user_sgpr_queue_ptr 0
		.amdhsa_user_sgpr_kernarg_segment_ptr 1
		.amdhsa_user_sgpr_dispatch_id 0
		.amdhsa_user_sgpr_kernarg_preload_length 0
		.amdhsa_user_sgpr_kernarg_preload_offset 0
		.amdhsa_user_sgpr_private_segment_size 0
		.amdhsa_wavefront_size32 1
		.amdhsa_uses_dynamic_stack 0
		.amdhsa_enable_private_segment 0
		.amdhsa_system_sgpr_workgroup_id_x 1
		.amdhsa_system_sgpr_workgroup_id_y 0
		.amdhsa_system_sgpr_workgroup_id_z 0
		.amdhsa_system_sgpr_workgroup_info 0
		.amdhsa_system_vgpr_workitem_id 0
		.amdhsa_next_free_vgpr 64
		.amdhsa_next_free_sgpr 60
		.amdhsa_named_barrier_count 0
		.amdhsa_reserve_vcc 1
		.amdhsa_float_round_mode_32 0
		.amdhsa_float_round_mode_16_64 0
		.amdhsa_float_denorm_mode_32 3
		.amdhsa_float_denorm_mode_16_64 3
		.amdhsa_fp16_overflow 0
		.amdhsa_memory_ordered 1
		.amdhsa_forward_progress 1
		.amdhsa_inst_pref_size 122
		.amdhsa_round_robin_scheduling 0
		.amdhsa_exception_fp_ieee_invalid_op 0
		.amdhsa_exception_fp_denorm_src 0
		.amdhsa_exception_fp_ieee_div_zero 0
		.amdhsa_exception_fp_ieee_overflow 0
		.amdhsa_exception_fp_ieee_underflow 0
		.amdhsa_exception_fp_ieee_inexact 0
		.amdhsa_exception_int_div_zero 0
	.end_amdhsa_kernel
	.section	.text._ZN2at6native32elementwise_kernel_manual_unrollILi128ELi4EZNS0_22gpu_kernel_impl_nocastIZZZNS0_15sin_kernel_cudaERNS_18TensorIteratorBaseEENKUlvE0_clEvENKUlvE_clEvEUldE_EEvS4_RKT_EUlibE_EEviT1_,"axG",@progbits,_ZN2at6native32elementwise_kernel_manual_unrollILi128ELi4EZNS0_22gpu_kernel_impl_nocastIZZZNS0_15sin_kernel_cudaERNS_18TensorIteratorBaseEENKUlvE0_clEvENKUlvE_clEvEUldE_EEvS4_RKT_EUlibE_EEviT1_,comdat
.Lfunc_end5:
	.size	_ZN2at6native32elementwise_kernel_manual_unrollILi128ELi4EZNS0_22gpu_kernel_impl_nocastIZZZNS0_15sin_kernel_cudaERNS_18TensorIteratorBaseEENKUlvE0_clEvENKUlvE_clEvEUldE_EEvS4_RKT_EUlibE_EEviT1_, .Lfunc_end5-_ZN2at6native32elementwise_kernel_manual_unrollILi128ELi4EZNS0_22gpu_kernel_impl_nocastIZZZNS0_15sin_kernel_cudaERNS_18TensorIteratorBaseEENKUlvE0_clEvENKUlvE_clEvEUldE_EEvS4_RKT_EUlibE_EEviT1_
                                        ; -- End function
	.set _ZN2at6native32elementwise_kernel_manual_unrollILi128ELi4EZNS0_22gpu_kernel_impl_nocastIZZZNS0_15sin_kernel_cudaERNS_18TensorIteratorBaseEENKUlvE0_clEvENKUlvE_clEvEUldE_EEvS4_RKT_EUlibE_EEviT1_.num_vgpr, 64
	.set _ZN2at6native32elementwise_kernel_manual_unrollILi128ELi4EZNS0_22gpu_kernel_impl_nocastIZZZNS0_15sin_kernel_cudaERNS_18TensorIteratorBaseEENKUlvE0_clEvENKUlvE_clEvEUldE_EEvS4_RKT_EUlibE_EEviT1_.num_agpr, 0
	.set _ZN2at6native32elementwise_kernel_manual_unrollILi128ELi4EZNS0_22gpu_kernel_impl_nocastIZZZNS0_15sin_kernel_cudaERNS_18TensorIteratorBaseEENKUlvE0_clEvENKUlvE_clEvEUldE_EEvS4_RKT_EUlibE_EEviT1_.numbered_sgpr, 60
	.set _ZN2at6native32elementwise_kernel_manual_unrollILi128ELi4EZNS0_22gpu_kernel_impl_nocastIZZZNS0_15sin_kernel_cudaERNS_18TensorIteratorBaseEENKUlvE0_clEvENKUlvE_clEvEUldE_EEvS4_RKT_EUlibE_EEviT1_.num_named_barrier, 0
	.set _ZN2at6native32elementwise_kernel_manual_unrollILi128ELi4EZNS0_22gpu_kernel_impl_nocastIZZZNS0_15sin_kernel_cudaERNS_18TensorIteratorBaseEENKUlvE0_clEvENKUlvE_clEvEUldE_EEvS4_RKT_EUlibE_EEviT1_.private_seg_size, 0
	.set _ZN2at6native32elementwise_kernel_manual_unrollILi128ELi4EZNS0_22gpu_kernel_impl_nocastIZZZNS0_15sin_kernel_cudaERNS_18TensorIteratorBaseEENKUlvE0_clEvENKUlvE_clEvEUldE_EEvS4_RKT_EUlibE_EEviT1_.uses_vcc, 1
	.set _ZN2at6native32elementwise_kernel_manual_unrollILi128ELi4EZNS0_22gpu_kernel_impl_nocastIZZZNS0_15sin_kernel_cudaERNS_18TensorIteratorBaseEENKUlvE0_clEvENKUlvE_clEvEUldE_EEvS4_RKT_EUlibE_EEviT1_.uses_flat_scratch, 0
	.set _ZN2at6native32elementwise_kernel_manual_unrollILi128ELi4EZNS0_22gpu_kernel_impl_nocastIZZZNS0_15sin_kernel_cudaERNS_18TensorIteratorBaseEENKUlvE0_clEvENKUlvE_clEvEUldE_EEvS4_RKT_EUlibE_EEviT1_.has_dyn_sized_stack, 0
	.set _ZN2at6native32elementwise_kernel_manual_unrollILi128ELi4EZNS0_22gpu_kernel_impl_nocastIZZZNS0_15sin_kernel_cudaERNS_18TensorIteratorBaseEENKUlvE0_clEvENKUlvE_clEvEUldE_EEvS4_RKT_EUlibE_EEviT1_.has_recursion, 0
	.set _ZN2at6native32elementwise_kernel_manual_unrollILi128ELi4EZNS0_22gpu_kernel_impl_nocastIZZZNS0_15sin_kernel_cudaERNS_18TensorIteratorBaseEENKUlvE0_clEvENKUlvE_clEvEUldE_EEvS4_RKT_EUlibE_EEviT1_.has_indirect_call, 0
	.section	.AMDGPU.csdata,"",@progbits
; Kernel info:
; codeLenInByte = 15532
; TotalNumSgprs: 62
; NumVgprs: 64
; ScratchSize: 0
; MemoryBound: 0
; FloatMode: 240
; IeeeMode: 1
; LDSByteSize: 0 bytes/workgroup (compile time only)
; SGPRBlocks: 0
; VGPRBlocks: 3
; NumSGPRsForWavesPerEU: 62
; NumVGPRsForWavesPerEU: 64
; NamedBarCnt: 0
; Occupancy: 16
; WaveLimiterHint : 1
; COMPUTE_PGM_RSRC2:SCRATCH_EN: 0
; COMPUTE_PGM_RSRC2:USER_SGPR: 2
; COMPUTE_PGM_RSRC2:TRAP_HANDLER: 0
; COMPUTE_PGM_RSRC2:TGID_X_EN: 1
; COMPUTE_PGM_RSRC2:TGID_Y_EN: 0
; COMPUTE_PGM_RSRC2:TGID_Z_EN: 0
; COMPUTE_PGM_RSRC2:TIDIG_COMP_CNT: 0
	.section	.text._ZN2at6native32elementwise_kernel_manual_unrollILi128ELi4EZNS0_15gpu_kernel_implIZZZNS0_15sin_kernel_cudaERNS_18TensorIteratorBaseEENKUlvE0_clEvENKUlvE_clEvEUldE_EEvS4_RKT_EUlibE_EEviT1_,"axG",@progbits,_ZN2at6native32elementwise_kernel_manual_unrollILi128ELi4EZNS0_15gpu_kernel_implIZZZNS0_15sin_kernel_cudaERNS_18TensorIteratorBaseEENKUlvE0_clEvENKUlvE_clEvEUldE_EEvS4_RKT_EUlibE_EEviT1_,comdat
	.globl	_ZN2at6native32elementwise_kernel_manual_unrollILi128ELi4EZNS0_15gpu_kernel_implIZZZNS0_15sin_kernel_cudaERNS_18TensorIteratorBaseEENKUlvE0_clEvENKUlvE_clEvEUldE_EEvS4_RKT_EUlibE_EEviT1_ ; -- Begin function _ZN2at6native32elementwise_kernel_manual_unrollILi128ELi4EZNS0_15gpu_kernel_implIZZZNS0_15sin_kernel_cudaERNS_18TensorIteratorBaseEENKUlvE0_clEvENKUlvE_clEvEUldE_EEvS4_RKT_EUlibE_EEviT1_
	.p2align	8
	.type	_ZN2at6native32elementwise_kernel_manual_unrollILi128ELi4EZNS0_15gpu_kernel_implIZZZNS0_15sin_kernel_cudaERNS_18TensorIteratorBaseEENKUlvE0_clEvENKUlvE_clEvEUldE_EEvS4_RKT_EUlibE_EEviT1_,@function
_ZN2at6native32elementwise_kernel_manual_unrollILi128ELi4EZNS0_15gpu_kernel_implIZZZNS0_15sin_kernel_cudaERNS_18TensorIteratorBaseEENKUlvE0_clEvENKUlvE_clEvEUldE_EEvS4_RKT_EUlibE_EEviT1_: ; @_ZN2at6native32elementwise_kernel_manual_unrollILi128ELi4EZNS0_15gpu_kernel_implIZZZNS0_15sin_kernel_cudaERNS_18TensorIteratorBaseEENKUlvE0_clEvENKUlvE_clEvEUldE_EEvS4_RKT_EUlibE_EEviT1_
; %bb.0:
	v_mov_b32_e32 v1, 0
	s_bfe_u32 s9, ttmp6, 0x4000c
	s_clause 0x1
	s_load_b32 s12, s[0:1], 0x0
	s_load_b128 s[4:7], s[0:1], 0x8
	s_add_co_i32 s9, s9, 1
	s_and_b32 s10, ttmp6, 15
	global_load_u16 v1, v1, s[0:1] offset:33
	s_load_b64 s[2:3], s[0:1], 0x18
	s_wait_xcnt 0x0
	s_mul_i32 s1, ttmp9, s9
	s_getreg_b32 s11, hwreg(HW_REG_IB_STS2, 6, 4)
	s_add_co_i32 s10, s10, s1
	s_mov_b32 s1, 0
	s_wait_loadcnt 0x0
	v_readfirstlane_b32 s8, v1
	s_and_b32 s0, 0xffff, s8
	s_delay_alu instid0(SALU_CYCLE_1) | instskip(SKIP_3) | instid1(SALU_CYCLE_1)
	s_lshr_b32 s9, s0, 8
	s_cmp_eq_u32 s11, 0
	s_mov_b32 s11, 0
	s_cselect_b32 s0, ttmp9, s10
	v_lshl_or_b32 v24, s0, 9, v0
	s_mov_b32 s0, exec_lo
	s_delay_alu instid0(VALU_DEP_1) | instskip(SKIP_1) | instid1(VALU_DEP_1)
	v_or_b32_e32 v0, 0x180, v24
	s_wait_kmcnt 0x0
	v_cmpx_le_i32_e64 s12, v0
	s_xor_b32 s10, exec_lo, s0
	s_cbranch_execz .LBB6_1044
; %bb.1:
	s_mov_b32 s17, -1
	s_mov_b32 s15, 0
	s_mov_b32 s13, 0
	s_mov_b32 s14, exec_lo
	v_cmpx_gt_i32_e64 s12, v24
	s_cbranch_execz .LBB6_256
; %bb.2:
	v_mul_lo_u32 v0, v24, s3
	s_and_b32 s0, 0xffff, s9
	s_delay_alu instid0(SALU_CYCLE_1) | instskip(NEXT) | instid1(VALU_DEP_1)
	s_cmp_lt_i32 s0, 11
	v_ashrrev_i32_e32 v1, 31, v0
	s_delay_alu instid0(VALU_DEP_1)
	v_add_nc_u64_e32 v[0:1], s[6:7], v[0:1]
	s_cbranch_scc1 .LBB6_9
; %bb.3:
	s_cmp_gt_i32 s0, 25
	s_cbranch_scc0 .LBB6_61
; %bb.4:
	s_cmp_gt_i32 s0, 28
	s_cbranch_scc0 .LBB6_62
	;; [unrolled: 3-line block ×4, first 2 shown]
; %bb.7:
	s_cmp_eq_u32 s0, 46
	s_mov_b32 s16, 0
	s_cbranch_scc0 .LBB6_68
; %bb.8:
	global_load_b32 v2, v[0:1], off
	s_mov_b32 s11, -1
	s_wait_loadcnt 0x0
	v_lshlrev_b32_e32 v2, 16, v2
	s_delay_alu instid0(VALU_DEP_1)
	v_cvt_f64_f32_e32 v[2:3], v2
	s_branch .LBB6_70
.LBB6_9:
                                        ; implicit-def: $vgpr2_vgpr3
	s_cbranch_execnz .LBB6_206
.LBB6_10:
	s_and_not1_b32 vcc_lo, exec_lo, s11
	s_cbranch_vccnz .LBB6_253
.LBB6_11:
	s_wait_loadcnt 0x0
	s_delay_alu instid0(VALU_DEP_1) | instskip(SKIP_1) | instid1(SALU_CYCLE_1)
	v_cmp_ngt_f64_e64 s0, 0x41d00000, |v[2:3]|
                                        ; implicit-def: $vgpr6
                                        ; implicit-def: $vgpr0_vgpr1
                                        ; implicit-def: $vgpr4_vgpr5
	s_and_saveexec_b32 s11, s0
	s_xor_b32 s0, exec_lo, s11
	s_cbranch_execz .LBB6_13
; %bb.12:
	v_ldexp_f64 v[0:1], |v[2:3]|, 0xffffff80
	v_cmp_le_f64_e64 vcc_lo, 0x7b000000, |v[2:3]|
	v_trig_preop_f64 v[4:5], |v[2:3]|, 0
	v_and_b32_e32 v6, 0x7fffffff, v3
	v_trig_preop_f64 v[16:17], |v[2:3]|, 2
	s_mov_b64 s[16:17], 0x3ff921fb54442d18
	s_delay_alu instid0(VALU_DEP_2) | instskip(SKIP_2) | instid1(VALU_DEP_2)
	v_dual_mov_b32 v26, 0 :: v_dual_cndmask_b32 v1, v6, v1
	v_cndmask_b32_e32 v0, v2, v0, vcc_lo
	v_trig_preop_f64 v[6:7], |v[2:3]|, 1
	v_mul_f64_e32 v[8:9], v[4:5], v[0:1]
	s_delay_alu instid0(VALU_DEP_2) | instskip(NEXT) | instid1(VALU_DEP_2)
	v_mul_f64_e32 v[10:11], v[6:7], v[0:1]
	v_fma_f64 v[4:5], v[4:5], v[0:1], -v[8:9]
	s_delay_alu instid0(VALU_DEP_1) | instskip(NEXT) | instid1(VALU_DEP_1)
	v_add_f64_e32 v[12:13], v[10:11], v[4:5]
	v_add_f64_e64 v[14:15], v[12:13], -v[10:11]
	v_add_f64_e32 v[20:21], v[8:9], v[12:13]
	s_delay_alu instid0(VALU_DEP_2) | instskip(SKIP_2) | instid1(VALU_DEP_4)
	v_add_f64_e64 v[18:19], v[12:13], -v[14:15]
	v_fma_f64 v[6:7], v[6:7], v[0:1], -v[10:11]
	v_add_f64_e64 v[4:5], v[4:5], -v[14:15]
	v_ldexp_f64 v[14:15], v[20:21], -2
	v_mul_f64_e32 v[22:23], v[16:17], v[0:1]
	v_add_f64_e64 v[10:11], v[10:11], -v[18:19]
	s_delay_alu instid0(VALU_DEP_3) | instskip(NEXT) | instid1(VALU_DEP_3)
	v_cmp_neq_f64_e64 vcc_lo, 0x7ff00000, |v[14:15]|
	v_add_f64_e32 v[18:19], v[22:23], v[6:7]
	v_fma_f64 v[0:1], v[16:17], v[0:1], -v[22:23]
	s_delay_alu instid0(VALU_DEP_4) | instskip(SKIP_1) | instid1(VALU_DEP_1)
	v_add_f64_e32 v[4:5], v[4:5], v[10:11]
	v_fract_f64_e32 v[10:11], v[14:15]
	v_ldexp_f64 v[10:11], v[10:11], 2
	s_delay_alu instid0(VALU_DEP_1) | instskip(NEXT) | instid1(VALU_DEP_1)
	v_dual_add_f64 v[8:9], v[20:21], -v[8:9] :: v_dual_cndmask_b32 v11, 0, v11, vcc_lo
	v_dual_add_f64 v[8:9], v[12:13], -v[8:9] :: v_dual_cndmask_b32 v10, 0, v10, vcc_lo
	v_add_f64_e32 v[12:13], v[18:19], v[4:5]
	s_delay_alu instid0(VALU_DEP_1) | instskip(SKIP_1) | instid1(VALU_DEP_2)
	v_add_f64_e32 v[14:15], v[8:9], v[12:13]
	v_add_f64_e64 v[28:29], v[12:13], -v[18:19]
	v_add_f64_e32 v[20:21], v[14:15], v[10:11]
	s_delay_alu instid0(VALU_DEP_2) | instskip(SKIP_2) | instid1(VALU_DEP_4)
	v_add_f64_e64 v[34:35], v[12:13], -v[28:29]
	v_add_f64_e64 v[4:5], v[4:5], -v[28:29]
	;; [unrolled: 1-line block ×3, first 2 shown]
	v_cmp_gt_f64_e32 vcc_lo, 0, v[20:21]
	v_add_f64_e64 v[20:21], v[18:19], -v[22:23]
	v_cndmask_b32_e64 v27, 0, 0x40100000, vcc_lo
	s_delay_alu instid0(VALU_DEP_2) | instskip(SKIP_2) | instid1(VALU_DEP_4)
	v_add_f64_e64 v[32:33], v[18:19], -v[20:21]
	v_add_f64_e64 v[6:7], v[6:7], -v[20:21]
	;; [unrolled: 1-line block ×3, first 2 shown]
	v_add_f64_e32 v[10:11], v[10:11], v[26:27]
	s_delay_alu instid0(VALU_DEP_4) | instskip(NEXT) | instid1(VALU_DEP_3)
	v_add_f64_e64 v[20:21], v[22:23], -v[32:33]
	v_add_f64_e32 v[4:5], v[4:5], v[18:19]
	s_delay_alu instid0(VALU_DEP_3) | instskip(NEXT) | instid1(VALU_DEP_3)
	v_add_f64_e32 v[30:31], v[14:15], v[10:11]
	v_add_f64_e32 v[6:7], v[6:7], v[20:21]
	s_delay_alu instid0(VALU_DEP_2) | instskip(NEXT) | instid1(VALU_DEP_2)
	v_cvt_i32_f64_e32 v25, v[30:31]
	v_add_f64_e32 v[4:5], v[6:7], v[4:5]
	v_add_f64_e64 v[6:7], v[12:13], -v[8:9]
	s_delay_alu instid0(VALU_DEP_3) | instskip(NEXT) | instid1(VALU_DEP_3)
	v_cvt_f64_i32_e32 v[28:29], v25
	v_add_f64_e32 v[0:1], v[0:1], v[4:5]
	s_delay_alu instid0(VALU_DEP_2) | instskip(NEXT) | instid1(VALU_DEP_2)
	v_add_f64_e64 v[10:11], v[10:11], -v[28:29]
	v_add_f64_e32 v[0:1], v[6:7], v[0:1]
	s_delay_alu instid0(VALU_DEP_2) | instskip(NEXT) | instid1(VALU_DEP_1)
	v_add_f64_e32 v[16:17], v[14:15], v[10:11]
	v_add_f64_e64 v[4:5], v[16:17], -v[10:11]
	v_cmp_le_f64_e32 vcc_lo, 0.5, v[16:17]
	s_delay_alu instid0(VALU_DEP_2) | instskip(SKIP_2) | instid1(VALU_DEP_3)
	v_add_f64_e64 v[4:5], v[14:15], -v[4:5]
	v_cndmask_b32_e64 v27, 0, 0x3ff00000, vcc_lo
	v_add_co_ci_u32_e64 v6, null, 0, v25, vcc_lo
	v_add_f64_e32 v[0:1], v[0:1], v[4:5]
	s_delay_alu instid0(VALU_DEP_3) | instskip(NEXT) | instid1(VALU_DEP_1)
	v_add_f64_e64 v[4:5], v[16:17], -v[26:27]
	v_add_f64_e32 v[8:9], v[4:5], v[0:1]
	s_delay_alu instid0(VALU_DEP_1) | instskip(SKIP_1) | instid1(VALU_DEP_2)
	v_mul_f64_e32 v[10:11], 0x3ff921fb54442d18, v[8:9]
	v_add_f64_e64 v[4:5], v[8:9], -v[4:5]
	v_fma_f64 v[12:13], v[8:9], s[16:17], -v[10:11]
	s_delay_alu instid0(VALU_DEP_2) | instskip(NEXT) | instid1(VALU_DEP_2)
	v_add_f64_e64 v[0:1], v[0:1], -v[4:5]
	v_fmamk_f64 v[4:5], v[8:9], 0x3c91a62633145c07, v[12:13]
	s_delay_alu instid0(VALU_DEP_1) | instskip(NEXT) | instid1(VALU_DEP_1)
	v_fmac_f64_e32 v[4:5], 0x3ff921fb54442d18, v[0:1]
	v_add_f64_e32 v[0:1], v[10:11], v[4:5]
	s_delay_alu instid0(VALU_DEP_1) | instskip(NEXT) | instid1(VALU_DEP_1)
	v_add_f64_e64 v[8:9], v[0:1], -v[10:11]
	v_add_f64_e64 v[4:5], v[4:5], -v[8:9]
.LBB6_13:
	s_and_not1_saveexec_b32 s0, s0
	s_cbranch_execz .LBB6_15
; %bb.14:
	s_mov_b64 s[16:17], 0x3fe45f306dc9c883
	s_delay_alu instid0(SALU_CYCLE_1) | instskip(SKIP_1) | instid1(VALU_DEP_1)
	v_mul_f64_e64 v[0:1], |v[2:3]|, s[16:17]
	s_mov_b64 s[16:17], 0xbff921fb54442d18
	v_rndne_f64_e32 v[6:7], v[0:1]
	s_delay_alu instid0(VALU_DEP_1) | instskip(SKIP_1) | instid1(VALU_DEP_2)
	v_fma_f64 v[0:1], v[6:7], s[16:17], |v[2:3]|
	v_mul_f64_e32 v[4:5], 0xbc91a62633145c00, v[6:7]
	v_fmamk_f64 v[12:13], v[6:7], 0xbc91a62633145c00, v[0:1]
	s_delay_alu instid0(VALU_DEP_2) | instskip(NEXT) | instid1(VALU_DEP_1)
	v_add_f64_e32 v[8:9], v[0:1], v[4:5]
	v_add_f64_e64 v[10:11], v[0:1], -v[8:9]
	s_delay_alu instid0(VALU_DEP_3) | instskip(NEXT) | instid1(VALU_DEP_2)
	v_add_f64_e64 v[0:1], v[8:9], -v[12:13]
	v_add_f64_e32 v[8:9], v[10:11], v[4:5]
	v_fmamk_f64 v[4:5], v[6:7], 0x3c91a62633145c00, v[4:5]
	s_delay_alu instid0(VALU_DEP_2) | instskip(NEXT) | instid1(VALU_DEP_1)
	v_add_f64_e32 v[0:1], v[0:1], v[8:9]
	v_add_f64_e64 v[0:1], v[0:1], -v[4:5]
	s_delay_alu instid0(VALU_DEP_1) | instskip(SKIP_1) | instid1(VALU_DEP_2)
	v_fmamk_f64 v[4:5], v[6:7], 0xb97b839a252049c0, v[0:1]
	v_cvt_i32_f64_e32 v6, v[6:7]
	v_add_f64_e32 v[0:1], v[12:13], v[4:5]
	s_delay_alu instid0(VALU_DEP_1) | instskip(NEXT) | instid1(VALU_DEP_1)
	v_add_f64_e64 v[8:9], v[0:1], -v[12:13]
	v_add_f64_e64 v[4:5], v[4:5], -v[8:9]
.LBB6_15:
	s_or_b32 exec_lo, exec_lo, s0
	s_delay_alu instid0(VALU_DEP_4)
	v_dual_mul_f64 v[8:9], v[0:1], v[0:1] :: v_dual_bitop2_b32 v7, 1, v6 bitop3:0x40
	v_cmp_class_f64_e64 s0, v[2:3], 0x1f8
	s_mov_b64 s[16:17], 0x3de5e0b2f9a43bb8
	s_mov_b32 s11, 0
	v_dual_mul_f64 v[16:17], 0.5, v[4:5] :: v_dual_lshlrev_b32 v2, 30, v6
	v_cmp_eq_u32_e32 vcc_lo, 0, v7
	s_delay_alu instid0(VALU_DEP_2) | instskip(SKIP_3) | instid1(VALU_DEP_3)
	v_dual_mul_f64 v[10:11], 0.5, v[8:9] :: v_dual_bitop2_b32 v2, v2, v3 bitop3:0x14
	v_mul_f64_e64 v[18:19], v[0:1], -v[8:9]
	v_fmaak_f64 v[20:21], s[16:17], v[8:9], 0xbe5ae600b42fdfa7
	s_mov_b64 s[16:17], 0xbda907db46cc5e42
	v_add_f64_e64 v[12:13], -v[10:11], 1.0
	s_delay_alu instid0(VALU_DEP_1) | instskip(NEXT) | instid1(VALU_DEP_1)
	v_add_f64_e64 v[14:15], -v[12:13], 1.0
	v_add_f64_e64 v[10:11], v[14:15], -v[10:11]
	s_delay_alu instid0(VALU_DEP_4) | instskip(SKIP_1) | instid1(VALU_DEP_2)
	v_fmaak_f64 v[14:15], v[8:9], v[20:21], 0x3ec71de3796cde01
	v_mul_f64_e32 v[20:21], v[8:9], v[8:9]
	v_fmaak_f64 v[14:15], v[8:9], v[14:15], 0xbf2a01a019e83e5c
	s_delay_alu instid0(VALU_DEP_1) | instskip(NEXT) | instid1(VALU_DEP_1)
	v_fmaak_f64 v[14:15], v[8:9], v[14:15], 0x3f81111111110bb3
	v_fmac_f64_e32 v[16:17], v[18:19], v[14:15]
	v_fmaak_f64 v[14:15], s[16:17], v[8:9], 0x3e21eeb69037ab78
	s_and_b32 s16, s8, 0xff
	s_mov_b32 s17, -1
	s_cmp_lt_i32 s16, 11
	s_delay_alu instid0(VALU_DEP_1) | instskip(SKIP_1) | instid1(VALU_DEP_2)
	v_fmaak_f64 v[14:15], v[8:9], v[14:15], 0xbe927e4fa17f65f6
	v_fma_f64 v[10:11], v[0:1], -v[4:5], v[10:11]
	v_fmaak_f64 v[14:15], v[8:9], v[14:15], 0x3efa01a019f4ec90
	s_delay_alu instid0(VALU_DEP_1) | instskip(SKIP_1) | instid1(VALU_DEP_2)
	v_fmaak_f64 v[14:15], v[8:9], v[14:15], 0xbf56c16c16c16967
	v_fma_f64 v[4:5], v[8:9], v[16:17], -v[4:5]
	v_fmaak_f64 v[8:9], v[8:9], v[14:15], 0x3fa5555555555555
	s_delay_alu instid0(VALU_DEP_1) | instskip(NEXT) | instid1(VALU_DEP_3)
	v_fmac_f64_e32 v[10:11], v[20:21], v[8:9]
	v_fmamk_f64 v[4:5], v[18:19], 0xbfc5555555555555, v[4:5]
	s_delay_alu instid0(VALU_DEP_1) | instskip(NEXT) | instid1(VALU_DEP_3)
	v_add_f64_e64 v[0:1], v[0:1], -v[4:5]
	v_add_f64_e32 v[4:5], v[12:13], v[10:11]
	s_delay_alu instid0(VALU_DEP_1) | instskip(SKIP_1) | instid1(VALU_DEP_3)
	v_cndmask_b32_e32 v7, v4, v0, vcc_lo
	v_mul_lo_u32 v0, v24, s2
	v_cndmask_b32_e32 v3, v5, v1, vcc_lo
	s_delay_alu instid0(VALU_DEP_1) | instskip(NEXT) | instid1(VALU_DEP_3)
	v_bitop3_b32 v2, v3, v2, 0x80000000 bitop3:0x78
	v_ashrrev_i32_e32 v1, 31, v0
	s_delay_alu instid0(VALU_DEP_1) | instskip(SKIP_1) | instid1(VALU_DEP_4)
	v_add_nc_u64_e32 v[4:5], s[4:5], v[0:1]
	v_cndmask_b32_e64 v0, 0, v7, s0
	v_cndmask_b32_e64 v1, 0x7ff80000, v2, s0
	s_mov_b32 s0, 0
	s_cbranch_scc1 .LBB6_22
; %bb.16:
	s_and_b32 s17, 0xffff, s16
	s_delay_alu instid0(SALU_CYCLE_1)
	s_cmp_gt_i32 s17, 25
	s_cbranch_scc0 .LBB6_63
; %bb.17:
	s_cmp_gt_i32 s17, 28
	s_cbranch_scc0 .LBB6_65
; %bb.18:
	;; [unrolled: 3-line block ×4, first 2 shown]
	s_mov_b32 s18, 0
	s_mov_b32 s11, -1
	s_cmp_eq_u32 s17, 46
	s_cbranch_scc0 .LBB6_74
; %bb.21:
	v_cvt_f32_f64_e32 v2, v[0:1]
	s_mov_b32 s0, -1
	s_mov_b32 s11, 0
	s_delay_alu instid0(VALU_DEP_1) | instskip(SKIP_1) | instid1(VALU_DEP_2)
	v_bfe_u32 v3, v2, 16, 1
	v_cmp_o_f32_e32 vcc_lo, v2, v2
	v_add3_u32 v3, v2, v3, 0x7fff
	s_delay_alu instid0(VALU_DEP_1) | instskip(NEXT) | instid1(VALU_DEP_1)
	v_lshrrev_b32_e32 v3, 16, v3
	v_cndmask_b32_e32 v2, 0x7fc0, v3, vcc_lo
	global_store_b32 v[4:5], v2, off
	s_branch .LBB6_74
.LBB6_22:
	s_and_b32 vcc_lo, exec_lo, s17
	s_cbranch_vccz .LBB6_143
; %bb.23:
	s_and_b32 s0, 0xffff, s16
	s_mov_b32 s16, -1
	s_cmp_lt_i32 s0, 5
	s_cbranch_scc1 .LBB6_44
; %bb.24:
	s_cmp_lt_i32 s0, 8
	s_cbranch_scc1 .LBB6_34
; %bb.25:
	;; [unrolled: 3-line block ×3, first 2 shown]
	s_cmp_gt_i32 s0, 9
	s_cbranch_scc0 .LBB6_28
; %bb.27:
	s_wait_xcnt 0x0
	v_mov_b64_e32 v[2:3], 0
	s_mov_b32 s16, 0
	global_store_b128 v[4:5], v[0:3], off
.LBB6_28:
	s_and_not1_b32 vcc_lo, exec_lo, s16
	s_cbranch_vccnz .LBB6_30
; %bb.29:
	s_wait_xcnt 0x0
	v_cvt_f32_f64_e32 v2, v[0:1]
	v_mov_b32_e32 v3, 0
	global_store_b64 v[4:5], v[2:3], off
.LBB6_30:
	s_mov_b32 s16, 0
.LBB6_31:
	s_delay_alu instid0(SALU_CYCLE_1)
	s_and_not1_b32 vcc_lo, exec_lo, s16
	s_cbranch_vccnz .LBB6_33
; %bb.32:
	s_wait_xcnt 0x0
	v_and_or_b32 v2, 0x1ff, v1, v0
	v_lshrrev_b32_e32 v3, 8, v1
	v_bfe_u32 v6, v1, 20, 11
	s_delay_alu instid0(VALU_DEP_3) | instskip(NEXT) | instid1(VALU_DEP_2)
	v_cmp_ne_u32_e32 vcc_lo, 0, v2
	v_sub_nc_u32_e32 v7, 0x3f1, v6
	v_cndmask_b32_e64 v2, 0, 1, vcc_lo
	s_delay_alu instid0(VALU_DEP_1) | instskip(NEXT) | instid1(VALU_DEP_3)
	v_and_or_b32 v2, 0xffe, v3, v2
	v_med3_i32 v3, v7, 0, 13
	s_delay_alu instid0(VALU_DEP_2) | instskip(NEXT) | instid1(VALU_DEP_1)
	v_or_b32_e32 v7, 0x1000, v2
	v_lshrrev_b32_e32 v8, v3, v7
	s_delay_alu instid0(VALU_DEP_1) | instskip(NEXT) | instid1(VALU_DEP_1)
	v_lshlrev_b32_e32 v3, v3, v8
	v_cmp_ne_u32_e32 vcc_lo, v3, v7
	v_cndmask_b32_e64 v3, 0, 1, vcc_lo
	s_delay_alu instid0(VALU_DEP_1) | instskip(SKIP_1) | instid1(VALU_DEP_1)
	v_or_b32_e32 v3, v8, v3
	v_add_nc_u32_e32 v6, 0xfffffc10, v6
	v_lshl_or_b32 v7, v6, 12, v2
	v_cmp_gt_i32_e32 vcc_lo, 1, v6
	s_delay_alu instid0(VALU_DEP_2) | instskip(NEXT) | instid1(VALU_DEP_1)
	v_cndmask_b32_e32 v3, v7, v3, vcc_lo
	v_dual_lshrrev_b32 v3, 2, v3 :: v_dual_bitop2_b32 v7, 7, v3 bitop3:0x40
	s_delay_alu instid0(VALU_DEP_1) | instskip(SKIP_4) | instid1(VALU_DEP_2)
	v_cmp_lt_i32_e32 vcc_lo, 5, v7
	v_cndmask_b32_e64 v8, 0, 1, vcc_lo
	v_cmp_eq_u32_e32 vcc_lo, 3, v7
	v_cndmask_b32_e64 v7, 0, 1, vcc_lo
	v_cmp_ne_u32_e32 vcc_lo, 0, v2
	v_or_b32_e32 v7, v7, v8
	s_delay_alu instid0(VALU_DEP_1) | instskip(NEXT) | instid1(VALU_DEP_1)
	v_dual_mov_b32 v8, 0x7e00 :: v_dual_add_nc_u32 v3, v3, v7
	v_cndmask_b32_e32 v2, 0x7c00, v8, vcc_lo
	v_cmp_gt_i32_e32 vcc_lo, 31, v6
	v_lshrrev_b32_e32 v7, 16, v1
	s_delay_alu instid0(VALU_DEP_4) | instskip(SKIP_1) | instid1(VALU_DEP_2)
	v_cndmask_b32_e32 v3, 0x7c00, v3, vcc_lo
	v_cmp_eq_u32_e32 vcc_lo, 0x40f, v6
	v_cndmask_b32_e32 v2, v3, v2, vcc_lo
	s_delay_alu instid0(VALU_DEP_4) | instskip(NEXT) | instid1(VALU_DEP_1)
	v_and_b32_e32 v3, 0x8000, v7
	v_bitop3_b32 v2, v3, 0xffff, v2 bitop3:0xc8
	global_store_b32 v[4:5], v2, off
.LBB6_33:
	s_mov_b32 s16, 0
.LBB6_34:
	s_delay_alu instid0(SALU_CYCLE_1)
	s_and_not1_b32 vcc_lo, exec_lo, s16
	s_cbranch_vccnz .LBB6_43
; %bb.35:
	s_cmp_lt_i32 s0, 6
	s_mov_b32 s16, -1
	s_cbranch_scc1 .LBB6_41
; %bb.36:
	s_cmp_gt_i32 s0, 6
	s_cbranch_scc0 .LBB6_38
; %bb.37:
	s_mov_b32 s16, 0
	global_store_b64 v[4:5], v[0:1], off
.LBB6_38:
	s_and_not1_b32 vcc_lo, exec_lo, s16
	s_cbranch_vccnz .LBB6_40
; %bb.39:
	s_wait_xcnt 0x0
	v_cvt_f32_f64_e32 v2, v[0:1]
	global_store_b32 v[4:5], v2, off
.LBB6_40:
	s_mov_b32 s16, 0
.LBB6_41:
	s_delay_alu instid0(SALU_CYCLE_1)
	s_and_not1_b32 vcc_lo, exec_lo, s16
	s_cbranch_vccnz .LBB6_43
; %bb.42:
	s_wait_xcnt 0x0
	v_and_or_b32 v2, 0x1ff, v1, v0
	v_lshrrev_b32_e32 v3, 8, v1
	v_bfe_u32 v6, v1, 20, 11
	s_delay_alu instid0(VALU_DEP_3) | instskip(NEXT) | instid1(VALU_DEP_2)
	v_cmp_ne_u32_e32 vcc_lo, 0, v2
	v_sub_nc_u32_e32 v7, 0x3f1, v6
	v_cndmask_b32_e64 v2, 0, 1, vcc_lo
	s_delay_alu instid0(VALU_DEP_1) | instskip(NEXT) | instid1(VALU_DEP_3)
	v_and_or_b32 v2, 0xffe, v3, v2
	v_med3_i32 v3, v7, 0, 13
	s_delay_alu instid0(VALU_DEP_2) | instskip(NEXT) | instid1(VALU_DEP_1)
	v_or_b32_e32 v7, 0x1000, v2
	v_lshrrev_b32_e32 v8, v3, v7
	s_delay_alu instid0(VALU_DEP_1) | instskip(NEXT) | instid1(VALU_DEP_1)
	v_lshlrev_b32_e32 v3, v3, v8
	v_cmp_ne_u32_e32 vcc_lo, v3, v7
	v_cndmask_b32_e64 v3, 0, 1, vcc_lo
	s_delay_alu instid0(VALU_DEP_1) | instskip(SKIP_1) | instid1(VALU_DEP_1)
	v_or_b32_e32 v3, v8, v3
	v_add_nc_u32_e32 v6, 0xfffffc10, v6
	v_lshl_or_b32 v7, v6, 12, v2
	v_cmp_gt_i32_e32 vcc_lo, 1, v6
	s_delay_alu instid0(VALU_DEP_2) | instskip(NEXT) | instid1(VALU_DEP_1)
	v_cndmask_b32_e32 v3, v7, v3, vcc_lo
	v_dual_lshrrev_b32 v3, 2, v3 :: v_dual_bitop2_b32 v7, 7, v3 bitop3:0x40
	s_delay_alu instid0(VALU_DEP_1) | instskip(SKIP_4) | instid1(VALU_DEP_2)
	v_cmp_lt_i32_e32 vcc_lo, 5, v7
	v_cndmask_b32_e64 v8, 0, 1, vcc_lo
	v_cmp_eq_u32_e32 vcc_lo, 3, v7
	v_cndmask_b32_e64 v7, 0, 1, vcc_lo
	v_cmp_ne_u32_e32 vcc_lo, 0, v2
	v_or_b32_e32 v7, v7, v8
	s_delay_alu instid0(VALU_DEP_1) | instskip(NEXT) | instid1(VALU_DEP_1)
	v_dual_mov_b32 v8, 0x7e00 :: v_dual_add_nc_u32 v3, v3, v7
	v_cndmask_b32_e32 v2, 0x7c00, v8, vcc_lo
	v_cmp_gt_i32_e32 vcc_lo, 31, v6
	s_delay_alu instid0(VALU_DEP_3) | instskip(SKIP_1) | instid1(VALU_DEP_2)
	v_cndmask_b32_e32 v3, 0x7c00, v3, vcc_lo
	v_cmp_eq_u32_e32 vcc_lo, 0x40f, v6
	v_dual_cndmask_b32 v2, v3, v2 :: v_dual_lshrrev_b32 v3, 16, v1
	s_delay_alu instid0(VALU_DEP_1)
	v_and_or_b32 v2, 0x8000, v3, v2
	global_store_b16 v[4:5], v2, off
.LBB6_43:
	s_mov_b32 s16, 0
.LBB6_44:
	s_delay_alu instid0(SALU_CYCLE_1)
	s_and_not1_b32 vcc_lo, exec_lo, s16
	s_cbranch_vccnz .LBB6_60
; %bb.45:
	s_cmp_lt_i32 s0, 2
	s_mov_b32 s16, -1
	s_cbranch_scc1 .LBB6_55
; %bb.46:
	s_cmp_lt_i32 s0, 3
	s_cbranch_scc1 .LBB6_52
; %bb.47:
	s_cmp_gt_i32 s0, 3
	s_cbranch_scc0 .LBB6_49
; %bb.48:
	s_wait_xcnt 0x0
	v_trunc_f64_e32 v[2:3], v[0:1]
	s_mov_b32 s16, 0
	s_delay_alu instid0(VALU_DEP_1) | instskip(NEXT) | instid1(VALU_DEP_1)
	v_ldexp_f64 v[6:7], v[2:3], 0xffffffe0
	v_floor_f64_e32 v[6:7], v[6:7]
	s_delay_alu instid0(VALU_DEP_1) | instskip(SKIP_1) | instid1(VALU_DEP_2)
	v_fmamk_f64 v[2:3], v[6:7], 0xc1f00000, v[2:3]
	v_cvt_i32_f64_e32 v7, v[6:7]
	v_cvt_u32_f64_e32 v6, v[2:3]
	global_store_b64 v[4:5], v[6:7], off
.LBB6_49:
	s_and_not1_b32 vcc_lo, exec_lo, s16
	s_cbranch_vccnz .LBB6_51
; %bb.50:
	s_wait_xcnt 0x0
	v_cvt_i32_f64_e32 v2, v[0:1]
	global_store_b32 v[4:5], v2, off
.LBB6_51:
	s_mov_b32 s16, 0
.LBB6_52:
	s_delay_alu instid0(SALU_CYCLE_1)
	s_and_not1_b32 vcc_lo, exec_lo, s16
	s_cbranch_vccnz .LBB6_54
; %bb.53:
	s_wait_xcnt 0x0
	v_cvt_i32_f64_e32 v2, v[0:1]
	global_store_b16 v[4:5], v2, off
.LBB6_54:
	s_mov_b32 s16, 0
.LBB6_55:
	s_delay_alu instid0(SALU_CYCLE_1)
	s_and_not1_b32 vcc_lo, exec_lo, s16
	s_cbranch_vccnz .LBB6_60
; %bb.56:
	s_cmp_gt_i32 s0, 0
	s_mov_b32 s0, -1
	s_cbranch_scc0 .LBB6_58
; %bb.57:
	s_wait_xcnt 0x0
	v_cvt_i32_f64_e32 v2, v[0:1]
	s_mov_b32 s0, 0
	global_store_b8 v[4:5], v2, off
.LBB6_58:
	s_and_not1_b32 vcc_lo, exec_lo, s0
	s_cbranch_vccnz .LBB6_60
; %bb.59:
	s_wait_xcnt 0x0
	v_trunc_f64_e32 v[0:1], v[0:1]
	s_delay_alu instid0(VALU_DEP_1) | instskip(NEXT) | instid1(VALU_DEP_1)
	v_ldexp_f64 v[2:3], v[0:1], 0xffffffe0
	v_floor_f64_e32 v[2:3], v[2:3]
	s_delay_alu instid0(VALU_DEP_1) | instskip(NEXT) | instid1(VALU_DEP_1)
	v_fmamk_f64 v[0:1], v[2:3], 0xc1f00000, v[0:1]
	v_cvt_u32_f64_e32 v0, v[0:1]
	global_store_b8 v[4:5], v0, off
.LBB6_60:
	s_branch .LBB6_144
.LBB6_61:
                                        ; implicit-def: $vgpr2_vgpr3
	s_cbranch_execnz .LBB6_171
	s_branch .LBB6_205
.LBB6_62:
	s_mov_b32 s16, -1
                                        ; implicit-def: $vgpr2_vgpr3
	s_branch .LBB6_152
.LBB6_63:
	s_mov_b32 s18, -1
	s_branch .LBB6_101
.LBB6_64:
	s_mov_b32 s16, -1
                                        ; implicit-def: $vgpr2_vgpr3
	s_branch .LBB6_147
.LBB6_65:
	s_mov_b32 s18, -1
	s_branch .LBB6_84
.LBB6_66:
	s_mov_b32 s16, -1
	s_branch .LBB6_69
.LBB6_67:
	s_mov_b32 s18, -1
	s_branch .LBB6_80
.LBB6_68:
	s_mov_b32 s13, -1
.LBB6_69:
                                        ; implicit-def: $vgpr2_vgpr3
.LBB6_70:
	s_and_b32 vcc_lo, exec_lo, s16
	s_cbranch_vccz .LBB6_146
; %bb.71:
	s_cmp_eq_u32 s0, 44
	s_cbranch_scc0 .LBB6_145
; %bb.72:
	global_load_u8 v4, v[0:1], off
	s_mov_b32 s13, 0
	s_mov_b32 s11, -1
	s_wait_loadcnt 0x0
	v_cmp_ne_u32_e32 vcc_lo, 0xff, v4
	v_lshlrev_b32_e32 v2, 23, v4
	s_delay_alu instid0(VALU_DEP_1) | instskip(NEXT) | instid1(VALU_DEP_1)
	v_cvt_f64_f32_e32 v[2:3], v2
	v_cndmask_b32_e32 v2, 0x20000000, v2, vcc_lo
	s_delay_alu instid0(VALU_DEP_2) | instskip(SKIP_1) | instid1(VALU_DEP_2)
	v_cndmask_b32_e32 v3, 0x7ff80000, v3, vcc_lo
	v_cmp_ne_u32_e32 vcc_lo, 0, v4
	v_cndmask_b32_e32 v3, 0x38000000, v3, vcc_lo
	s_delay_alu instid0(VALU_DEP_4)
	v_cndmask_b32_e32 v2, 0, v2, vcc_lo
	s_branch .LBB6_146
.LBB6_73:
	s_mov_b32 s18, -1
.LBB6_74:
	s_delay_alu instid0(SALU_CYCLE_1)
	s_and_b32 vcc_lo, exec_lo, s18
	s_cbranch_vccz .LBB6_79
; %bb.75:
	s_cmp_eq_u32 s17, 44
	s_mov_b32 s11, -1
	s_cbranch_scc0 .LBB6_79
; %bb.76:
	s_wait_xcnt 0x0
	v_cvt_f32_f64_e32 v2, v[0:1]
	v_mov_b32_e32 v3, 0xff
	s_mov_b32 s11, exec_lo
	s_delay_alu instid0(VALU_DEP_2) | instskip(NEXT) | instid1(VALU_DEP_1)
	v_bfe_u32 v6, v2, 23, 8
	v_cmpx_ne_u32_e32 0xff, v6
	s_cbranch_execz .LBB6_78
; %bb.77:
	v_and_b32_e32 v3, 0x400000, v2
	v_and_or_b32 v6, 0x3fffff, v2, v6
	v_lshrrev_b32_e32 v2, 23, v2
	s_delay_alu instid0(VALU_DEP_3) | instskip(NEXT) | instid1(VALU_DEP_3)
	v_cmp_ne_u32_e32 vcc_lo, 0, v3
	v_cmp_ne_u32_e64 s0, 0, v6
	s_and_b32 s0, vcc_lo, s0
	s_delay_alu instid0(SALU_CYCLE_1) | instskip(NEXT) | instid1(VALU_DEP_1)
	v_cndmask_b32_e64 v3, 0, 1, s0
	v_add_nc_u32_e32 v3, v2, v3
.LBB6_78:
	s_or_b32 exec_lo, exec_lo, s11
	s_mov_b32 s0, -1
	s_mov_b32 s11, 0
	global_store_b8 v[4:5], v3, off
.LBB6_79:
	s_mov_b32 s18, 0
.LBB6_80:
	s_delay_alu instid0(SALU_CYCLE_1)
	s_and_b32 vcc_lo, exec_lo, s18
	s_cbranch_vccz .LBB6_83
; %bb.81:
	s_cmp_eq_u32 s17, 29
	s_mov_b32 s11, -1
	s_cbranch_scc0 .LBB6_83
; %bb.82:
	s_wait_xcnt 0x0
	v_trunc_f64_e32 v[2:3], v[0:1]
	s_mov_b32 s0, -1
	s_mov_b32 s11, 0
	s_mov_b32 s18, 0
	s_delay_alu instid0(VALU_DEP_1) | instskip(NEXT) | instid1(VALU_DEP_1)
	v_ldexp_f64 v[6:7], v[2:3], 0xffffffe0
	v_floor_f64_e32 v[6:7], v[6:7]
	s_delay_alu instid0(VALU_DEP_1) | instskip(SKIP_1) | instid1(VALU_DEP_2)
	v_fmamk_f64 v[2:3], v[6:7], 0xc1f00000, v[2:3]
	v_cvt_u32_f64_e32 v7, v[6:7]
	v_cvt_u32_f64_e32 v6, v[2:3]
	global_store_b64 v[4:5], v[6:7], off
	s_branch .LBB6_84
.LBB6_83:
	s_mov_b32 s18, 0
.LBB6_84:
	s_delay_alu instid0(SALU_CYCLE_1)
	s_and_b32 vcc_lo, exec_lo, s18
	s_cbranch_vccz .LBB6_100
; %bb.85:
	s_cmp_lt_i32 s17, 27
	s_mov_b32 s0, -1
	s_cbranch_scc1 .LBB6_91
; %bb.86:
	s_wait_xcnt 0x0
	v_cvt_u32_f64_e32 v2, v[0:1]
	s_cmp_gt_i32 s17, 27
	s_cbranch_scc0 .LBB6_88
; %bb.87:
	s_mov_b32 s0, 0
	global_store_b32 v[4:5], v2, off
.LBB6_88:
	s_and_not1_b32 vcc_lo, exec_lo, s0
	s_cbranch_vccnz .LBB6_90
; %bb.89:
	global_store_b16 v[4:5], v2, off
.LBB6_90:
	s_mov_b32 s0, 0
.LBB6_91:
	s_delay_alu instid0(SALU_CYCLE_1)
	s_and_not1_b32 vcc_lo, exec_lo, s0
	s_cbranch_vccnz .LBB6_99
; %bb.92:
	s_wait_xcnt 0x0
	v_cvt_f32_f64_e32 v2, v[0:1]
	v_mov_b32_e32 v6, 0x80
	s_mov_b32 s0, exec_lo
	s_delay_alu instid0(VALU_DEP_2) | instskip(NEXT) | instid1(VALU_DEP_1)
	v_and_b32_e32 v3, 0x7fffffff, v2
	v_cmpx_gt_u32_e32 0x43800000, v3
	s_cbranch_execz .LBB6_98
; %bb.93:
	v_cmp_lt_u32_e32 vcc_lo, 0x3bffffff, v3
	s_mov_b32 s18, 0
                                        ; implicit-def: $vgpr3
	s_and_saveexec_b32 s19, vcc_lo
	s_delay_alu instid0(SALU_CYCLE_1)
	s_xor_b32 s19, exec_lo, s19
	s_cbranch_execz .LBB6_326
; %bb.94:
	v_bfe_u32 v3, v2, 20, 1
	s_mov_b32 s18, exec_lo
	s_delay_alu instid0(VALU_DEP_1) | instskip(NEXT) | instid1(VALU_DEP_1)
	v_add3_u32 v3, v2, v3, 0x487ffff
	v_lshrrev_b32_e32 v3, 20, v3
	s_and_not1_saveexec_b32 s19, s19
	s_cbranch_execnz .LBB6_327
.LBB6_95:
	s_or_b32 exec_lo, exec_lo, s19
	v_mov_b32_e32 v6, 0
	s_and_saveexec_b32 s19, s18
.LBB6_96:
	v_lshrrev_b32_e32 v2, 24, v2
	s_delay_alu instid0(VALU_DEP_1)
	v_and_or_b32 v6, 0x80, v2, v3
.LBB6_97:
	s_or_b32 exec_lo, exec_lo, s19
.LBB6_98:
	s_delay_alu instid0(SALU_CYCLE_1)
	s_or_b32 exec_lo, exec_lo, s0
	global_store_b8 v[4:5], v6, off
.LBB6_99:
	s_mov_b32 s0, -1
.LBB6_100:
	s_mov_b32 s18, 0
.LBB6_101:
	s_delay_alu instid0(SALU_CYCLE_1)
	s_and_b32 vcc_lo, exec_lo, s18
	s_cbranch_vccz .LBB6_142
; %bb.102:
	s_cmp_gt_i32 s17, 22
	s_mov_b32 s18, -1
	s_cbranch_scc0 .LBB6_134
; %bb.103:
	s_cmp_lt_i32 s17, 24
	s_mov_b32 s0, -1
	s_cbranch_scc1 .LBB6_123
; %bb.104:
	s_cmp_gt_i32 s17, 24
	s_cbranch_scc0 .LBB6_112
; %bb.105:
	s_wait_xcnt 0x0
	v_cvt_f32_f64_e32 v2, v[0:1]
	v_mov_b32_e32 v6, 0x80
	s_mov_b32 s0, exec_lo
	s_delay_alu instid0(VALU_DEP_2) | instskip(NEXT) | instid1(VALU_DEP_1)
	v_and_b32_e32 v3, 0x7fffffff, v2
	v_cmpx_gt_u32_e32 0x47800000, v3
	s_cbranch_execz .LBB6_111
; %bb.106:
	v_cmp_lt_u32_e32 vcc_lo, 0x37ffffff, v3
	s_mov_b32 s18, 0
                                        ; implicit-def: $vgpr3
	s_and_saveexec_b32 s19, vcc_lo
	s_delay_alu instid0(SALU_CYCLE_1)
	s_xor_b32 s19, exec_lo, s19
	s_cbranch_execz .LBB6_330
; %bb.107:
	v_bfe_u32 v3, v2, 21, 1
	s_mov_b32 s18, exec_lo
	s_delay_alu instid0(VALU_DEP_1) | instskip(NEXT) | instid1(VALU_DEP_1)
	v_add3_u32 v3, v2, v3, 0x88fffff
	v_lshrrev_b32_e32 v3, 21, v3
	s_and_not1_saveexec_b32 s19, s19
	s_cbranch_execnz .LBB6_331
.LBB6_108:
	s_or_b32 exec_lo, exec_lo, s19
	v_mov_b32_e32 v6, 0
	s_and_saveexec_b32 s19, s18
.LBB6_109:
	v_lshrrev_b32_e32 v2, 24, v2
	s_delay_alu instid0(VALU_DEP_1)
	v_and_or_b32 v6, 0x80, v2, v3
.LBB6_110:
	s_or_b32 exec_lo, exec_lo, s19
.LBB6_111:
	s_delay_alu instid0(SALU_CYCLE_1)
	s_or_b32 exec_lo, exec_lo, s0
	s_mov_b32 s0, 0
	global_store_b8 v[4:5], v6, off
.LBB6_112:
	s_and_b32 vcc_lo, exec_lo, s0
	s_cbranch_vccz .LBB6_122
; %bb.113:
	s_wait_xcnt 0x0
	v_cvt_f32_f64_e32 v2, v[0:1]
	s_mov_b32 s0, exec_lo
                                        ; implicit-def: $vgpr3
	s_delay_alu instid0(VALU_DEP_1) | instskip(NEXT) | instid1(VALU_DEP_1)
	v_and_b32_e32 v6, 0x7fffffff, v2
	v_cmpx_gt_u32_e32 0x43f00000, v6
	s_xor_b32 s0, exec_lo, s0
	s_cbranch_execz .LBB6_119
; %bb.114:
	s_mov_b32 s18, exec_lo
                                        ; implicit-def: $vgpr3
	v_cmpx_lt_u32_e32 0x3c7fffff, v6
	s_xor_b32 s18, exec_lo, s18
; %bb.115:
	v_bfe_u32 v3, v2, 20, 1
	s_delay_alu instid0(VALU_DEP_1) | instskip(NEXT) | instid1(VALU_DEP_1)
	v_add3_u32 v3, v2, v3, 0x407ffff
	v_and_b32_e32 v6, 0xff00000, v3
	v_lshrrev_b32_e32 v3, 20, v3
	s_delay_alu instid0(VALU_DEP_2) | instskip(NEXT) | instid1(VALU_DEP_2)
	v_cmp_ne_u32_e32 vcc_lo, 0x7f00000, v6
	v_cndmask_b32_e32 v3, 0x7e, v3, vcc_lo
; %bb.116:
	s_and_not1_saveexec_b32 s18, s18
; %bb.117:
	v_add_f32_e64 v3, 0x46800000, |v2|
; %bb.118:
	s_or_b32 exec_lo, exec_lo, s18
                                        ; implicit-def: $vgpr6
.LBB6_119:
	s_and_not1_saveexec_b32 s0, s0
; %bb.120:
	v_mov_b32_e32 v3, 0x7f
	v_cmp_lt_u32_e32 vcc_lo, 0x7f800000, v6
	s_delay_alu instid0(VALU_DEP_2)
	v_cndmask_b32_e32 v3, 0x7e, v3, vcc_lo
; %bb.121:
	s_or_b32 exec_lo, exec_lo, s0
	v_lshrrev_b32_e32 v2, 24, v2
	s_delay_alu instid0(VALU_DEP_1)
	v_and_or_b32 v2, 0x80, v2, v3
	global_store_b8 v[4:5], v2, off
.LBB6_122:
	s_mov_b32 s0, 0
.LBB6_123:
	s_delay_alu instid0(SALU_CYCLE_1)
	s_and_not1_b32 vcc_lo, exec_lo, s0
	s_cbranch_vccnz .LBB6_133
; %bb.124:
	s_wait_xcnt 0x0
	v_cvt_f32_f64_e32 v2, v[0:1]
	s_mov_b32 s0, exec_lo
                                        ; implicit-def: $vgpr3
	s_delay_alu instid0(VALU_DEP_1) | instskip(NEXT) | instid1(VALU_DEP_1)
	v_and_b32_e32 v6, 0x7fffffff, v2
	v_cmpx_gt_u32_e32 0x47800000, v6
	s_xor_b32 s0, exec_lo, s0
	s_cbranch_execz .LBB6_130
; %bb.125:
	s_mov_b32 s18, exec_lo
                                        ; implicit-def: $vgpr3
	v_cmpx_lt_u32_e32 0x387fffff, v6
	s_xor_b32 s18, exec_lo, s18
; %bb.126:
	v_bfe_u32 v3, v2, 21, 1
	s_delay_alu instid0(VALU_DEP_1) | instskip(NEXT) | instid1(VALU_DEP_1)
	v_add3_u32 v3, v2, v3, 0x80fffff
	v_lshrrev_b32_e32 v3, 21, v3
; %bb.127:
	s_and_not1_saveexec_b32 s18, s18
; %bb.128:
	v_add_f32_e64 v3, 0x43000000, |v2|
; %bb.129:
	s_or_b32 exec_lo, exec_lo, s18
                                        ; implicit-def: $vgpr6
.LBB6_130:
	s_and_not1_saveexec_b32 s0, s0
; %bb.131:
	v_mov_b32_e32 v3, 0x7f
	v_cmp_lt_u32_e32 vcc_lo, 0x7f800000, v6
	s_delay_alu instid0(VALU_DEP_2)
	v_cndmask_b32_e32 v3, 0x7c, v3, vcc_lo
; %bb.132:
	s_or_b32 exec_lo, exec_lo, s0
	v_lshrrev_b32_e32 v2, 24, v2
	s_delay_alu instid0(VALU_DEP_1)
	v_and_or_b32 v2, 0x80, v2, v3
	global_store_b8 v[4:5], v2, off
.LBB6_133:
	s_mov_b32 s18, 0
	s_mov_b32 s0, -1
.LBB6_134:
	s_and_not1_b32 vcc_lo, exec_lo, s18
	s_cbranch_vccnz .LBB6_142
; %bb.135:
	s_cmp_gt_i32 s17, 14
	s_mov_b32 s18, -1
	s_cbranch_scc0 .LBB6_139
; %bb.136:
	s_cmp_eq_u32 s17, 15
	s_mov_b32 s11, -1
	s_cbranch_scc0 .LBB6_138
; %bb.137:
	s_wait_xcnt 0x0
	v_cvt_f32_f64_e32 v2, v[0:1]
	s_mov_b32 s0, -1
	s_mov_b32 s11, 0
	s_delay_alu instid0(VALU_DEP_1) | instskip(SKIP_1) | instid1(VALU_DEP_2)
	v_bfe_u32 v3, v2, 16, 1
	v_cmp_o_f32_e32 vcc_lo, v2, v2
	v_add3_u32 v3, v2, v3, 0x7fff
	s_delay_alu instid0(VALU_DEP_1) | instskip(NEXT) | instid1(VALU_DEP_1)
	v_lshrrev_b32_e32 v3, 16, v3
	v_cndmask_b32_e32 v2, 0x7fc0, v3, vcc_lo
	global_store_b16 v[4:5], v2, off
.LBB6_138:
	s_mov_b32 s18, 0
.LBB6_139:
	s_delay_alu instid0(SALU_CYCLE_1)
	s_and_b32 vcc_lo, exec_lo, s18
	s_cbranch_vccz .LBB6_142
; %bb.140:
	s_cmp_eq_u32 s17, 11
	s_mov_b32 s11, -1
	s_cbranch_scc0 .LBB6_142
; %bb.141:
	v_cmp_neq_f64_e32 vcc_lo, 0, v[0:1]
	s_mov_b32 s0, -1
	s_mov_b32 s11, 0
	s_wait_xcnt 0x0
	v_cndmask_b32_e64 v2, 0, 1, vcc_lo
	global_store_b8 v[4:5], v2, off
.LBB6_142:
.LBB6_143:
	s_and_not1_b32 vcc_lo, exec_lo, s0
	s_cbranch_vccnz .LBB6_254
.LBB6_144:
	v_add_nc_u32_e32 v24, 0x80, v24
	s_mov_b32 s0, -1
	s_branch .LBB6_255
.LBB6_145:
	s_mov_b32 s13, -1
                                        ; implicit-def: $vgpr2_vgpr3
.LBB6_146:
	s_mov_b32 s16, 0
.LBB6_147:
	s_delay_alu instid0(SALU_CYCLE_1)
	s_and_b32 vcc_lo, exec_lo, s16
	s_cbranch_vccz .LBB6_151
; %bb.148:
	s_cmp_eq_u32 s0, 29
	s_cbranch_scc0 .LBB6_150
; %bb.149:
	global_load_b64 v[2:3], v[0:1], off
	s_mov_b32 s11, -1
	s_mov_b32 s13, 0
	s_mov_b32 s16, 0
	s_wait_loadcnt 0x0
	v_cvt_f64_u32_e32 v[4:5], v3
	v_cvt_f64_u32_e32 v[2:3], v2
	s_delay_alu instid0(VALU_DEP_2) | instskip(NEXT) | instid1(VALU_DEP_1)
	v_ldexp_f64 v[4:5], v[4:5], 32
	v_add_f64_e32 v[2:3], v[4:5], v[2:3]
	s_branch .LBB6_152
.LBB6_150:
	s_mov_b32 s13, -1
                                        ; implicit-def: $vgpr2_vgpr3
.LBB6_151:
	s_mov_b32 s16, 0
.LBB6_152:
	s_delay_alu instid0(SALU_CYCLE_1)
	s_and_b32 vcc_lo, exec_lo, s16
	s_cbranch_vccz .LBB6_170
; %bb.153:
	s_cmp_lt_i32 s0, 27
	s_cbranch_scc1 .LBB6_156
; %bb.154:
	s_cmp_gt_i32 s0, 27
	s_cbranch_scc0 .LBB6_157
; %bb.155:
	global_load_b32 v2, v[0:1], off
	s_mov_b32 s11, 0
	s_wait_loadcnt 0x0
	v_cvt_f64_u32_e32 v[2:3], v2
	s_branch .LBB6_158
.LBB6_156:
	s_mov_b32 s11, -1
                                        ; implicit-def: $vgpr2_vgpr3
	s_branch .LBB6_161
.LBB6_157:
	s_mov_b32 s11, -1
                                        ; implicit-def: $vgpr2_vgpr3
.LBB6_158:
	s_delay_alu instid0(SALU_CYCLE_1)
	s_and_not1_b32 vcc_lo, exec_lo, s11
	s_cbranch_vccnz .LBB6_160
; %bb.159:
	global_load_u16 v2, v[0:1], off
	s_wait_loadcnt 0x0
	v_cvt_f64_u32_e32 v[2:3], v2
.LBB6_160:
	s_mov_b32 s11, 0
.LBB6_161:
	s_delay_alu instid0(SALU_CYCLE_1)
	s_and_not1_b32 vcc_lo, exec_lo, s11
	s_cbranch_vccnz .LBB6_169
; %bb.162:
	global_load_u8 v4, v[0:1], off
	s_mov_b32 s11, 0
	s_mov_b32 s16, exec_lo
	s_wait_loadcnt 0x0
	v_cmpx_lt_i16_e32 0x7f, v4
	s_xor_b32 s16, exec_lo, s16
	s_cbranch_execz .LBB6_182
; %bb.163:
	s_mov_b32 s11, -1
	s_mov_b32 s17, exec_lo
	v_cmpx_eq_u16_e32 0x80, v4
; %bb.164:
	s_xor_b32 s11, exec_lo, -1
; %bb.165:
	s_or_b32 exec_lo, exec_lo, s17
	s_delay_alu instid0(SALU_CYCLE_1)
	s_and_b32 s11, s11, exec_lo
	s_or_saveexec_b32 s16, s16
	v_mov_b64_e32 v[2:3], 0x7ff8000020000000
	s_xor_b32 exec_lo, exec_lo, s16
	s_cbranch_execnz .LBB6_183
.LBB6_166:
	s_or_b32 exec_lo, exec_lo, s16
	s_and_saveexec_b32 s16, s11
	s_cbranch_execz .LBB6_168
.LBB6_167:
	v_and_b32_e32 v2, 0xffff, v4
	s_delay_alu instid0(VALU_DEP_1) | instskip(SKIP_1) | instid1(VALU_DEP_2)
	v_and_b32_e32 v3, 7, v2
	v_bfe_u32 v7, v2, 3, 4
	v_clz_i32_u32_e32 v5, v3
	s_delay_alu instid0(VALU_DEP_2) | instskip(NEXT) | instid1(VALU_DEP_2)
	v_cmp_eq_u32_e32 vcc_lo, 0, v7
	v_min_u32_e32 v5, 32, v5
	s_delay_alu instid0(VALU_DEP_1) | instskip(NEXT) | instid1(VALU_DEP_1)
	v_subrev_nc_u32_e32 v6, 28, v5
	v_dual_lshlrev_b32 v2, v6, v2 :: v_dual_sub_nc_u32 v5, 29, v5
	s_delay_alu instid0(VALU_DEP_1) | instskip(NEXT) | instid1(VALU_DEP_2)
	v_dual_lshlrev_b32 v4, 24, v4 :: v_dual_bitop2_b32 v2, 7, v2 bitop3:0x40
	v_cndmask_b32_e32 v5, v7, v5, vcc_lo
	s_delay_alu instid0(VALU_DEP_2) | instskip(NEXT) | instid1(VALU_DEP_3)
	v_cndmask_b32_e32 v2, v3, v2, vcc_lo
	v_and_b32_e32 v3, 0x80000000, v4
	s_delay_alu instid0(VALU_DEP_3) | instskip(NEXT) | instid1(VALU_DEP_3)
	v_lshl_add_u32 v4, v5, 23, 0x3b800000
	v_lshlrev_b32_e32 v2, 20, v2
	s_delay_alu instid0(VALU_DEP_1) | instskip(NEXT) | instid1(VALU_DEP_1)
	v_or3_b32 v2, v3, v4, v2
	v_cvt_f64_f32_e32 v[2:3], v2
.LBB6_168:
	s_or_b32 exec_lo, exec_lo, s16
.LBB6_169:
	s_mov_b32 s11, -1
.LBB6_170:
	s_branch .LBB6_205
.LBB6_171:
	s_cmp_gt_i32 s0, 22
	s_cbranch_scc0 .LBB6_181
; %bb.172:
	s_cmp_lt_i32 s0, 24
	s_cbranch_scc1 .LBB6_184
; %bb.173:
	s_cmp_gt_i32 s0, 24
	s_cbranch_scc0 .LBB6_185
; %bb.174:
	global_load_u8 v4, v[0:1], off
	s_mov_b32 s11, 0
	s_mov_b32 s16, exec_lo
	s_wait_loadcnt 0x0
	v_cmpx_lt_i16_e32 0x7f, v4
	s_xor_b32 s16, exec_lo, s16
	s_cbranch_execz .LBB6_197
; %bb.175:
	s_mov_b32 s11, -1
	s_mov_b32 s17, exec_lo
	v_cmpx_eq_u16_e32 0x80, v4
; %bb.176:
	s_xor_b32 s11, exec_lo, -1
; %bb.177:
	s_or_b32 exec_lo, exec_lo, s17
	s_delay_alu instid0(SALU_CYCLE_1)
	s_and_b32 s11, s11, exec_lo
	s_or_saveexec_b32 s16, s16
	v_mov_b64_e32 v[2:3], 0x7ff8000020000000
	s_xor_b32 exec_lo, exec_lo, s16
	s_cbranch_execnz .LBB6_198
.LBB6_178:
	s_or_b32 exec_lo, exec_lo, s16
	s_and_saveexec_b32 s16, s11
	s_cbranch_execz .LBB6_180
.LBB6_179:
	v_and_b32_e32 v2, 0xffff, v4
	s_delay_alu instid0(VALU_DEP_1) | instskip(SKIP_1) | instid1(VALU_DEP_2)
	v_and_b32_e32 v3, 3, v2
	v_bfe_u32 v7, v2, 2, 5
	v_clz_i32_u32_e32 v5, v3
	s_delay_alu instid0(VALU_DEP_2) | instskip(NEXT) | instid1(VALU_DEP_2)
	v_cmp_eq_u32_e32 vcc_lo, 0, v7
	v_min_u32_e32 v5, 32, v5
	s_delay_alu instid0(VALU_DEP_1) | instskip(NEXT) | instid1(VALU_DEP_1)
	v_subrev_nc_u32_e32 v6, 29, v5
	v_dual_lshlrev_b32 v2, v6, v2 :: v_dual_sub_nc_u32 v5, 30, v5
	s_delay_alu instid0(VALU_DEP_1) | instskip(NEXT) | instid1(VALU_DEP_2)
	v_dual_lshlrev_b32 v4, 24, v4 :: v_dual_bitop2_b32 v2, 3, v2 bitop3:0x40
	v_cndmask_b32_e32 v5, v7, v5, vcc_lo
	s_delay_alu instid0(VALU_DEP_2) | instskip(NEXT) | instid1(VALU_DEP_3)
	v_cndmask_b32_e32 v2, v3, v2, vcc_lo
	v_and_b32_e32 v3, 0x80000000, v4
	s_delay_alu instid0(VALU_DEP_3) | instskip(NEXT) | instid1(VALU_DEP_3)
	v_lshl_add_u32 v4, v5, 23, 0x37800000
	v_lshlrev_b32_e32 v2, 21, v2
	s_delay_alu instid0(VALU_DEP_1) | instskip(NEXT) | instid1(VALU_DEP_1)
	v_or3_b32 v2, v3, v4, v2
	v_cvt_f64_f32_e32 v[2:3], v2
.LBB6_180:
	s_or_b32 exec_lo, exec_lo, s16
	s_mov_b32 s11, 0
	s_branch .LBB6_186
.LBB6_181:
	s_mov_b32 s16, -1
                                        ; implicit-def: $vgpr2_vgpr3
	s_branch .LBB6_192
.LBB6_182:
	s_or_saveexec_b32 s16, s16
	v_mov_b64_e32 v[2:3], 0x7ff8000020000000
	s_xor_b32 exec_lo, exec_lo, s16
	s_cbranch_execz .LBB6_166
.LBB6_183:
	v_cmp_ne_u16_e32 vcc_lo, 0, v4
	v_mov_b64_e32 v[2:3], 0
	s_and_not1_b32 s11, s11, exec_lo
	s_and_b32 s17, vcc_lo, exec_lo
	s_delay_alu instid0(SALU_CYCLE_1)
	s_or_b32 s11, s11, s17
	s_or_b32 exec_lo, exec_lo, s16
	s_and_saveexec_b32 s16, s11
	s_cbranch_execnz .LBB6_167
	s_branch .LBB6_168
.LBB6_184:
	s_mov_b32 s11, -1
                                        ; implicit-def: $vgpr2_vgpr3
	s_branch .LBB6_189
.LBB6_185:
	s_mov_b32 s11, -1
                                        ; implicit-def: $vgpr2_vgpr3
.LBB6_186:
	s_delay_alu instid0(SALU_CYCLE_1)
	s_and_b32 vcc_lo, exec_lo, s11
	s_cbranch_vccz .LBB6_188
; %bb.187:
	global_load_u8 v2, v[0:1], off
	s_wait_loadcnt 0x0
	v_lshlrev_b32_e32 v2, 24, v2
	s_delay_alu instid0(VALU_DEP_1) | instskip(NEXT) | instid1(VALU_DEP_1)
	v_and_b32_e32 v3, 0x7f000000, v2
	v_clz_i32_u32_e32 v4, v3
	v_cmp_ne_u32_e32 vcc_lo, 0, v3
	v_add_nc_u32_e32 v6, 0x1000000, v3
	s_delay_alu instid0(VALU_DEP_3) | instskip(NEXT) | instid1(VALU_DEP_1)
	v_min_u32_e32 v4, 32, v4
	v_sub_nc_u32_e64 v4, v4, 4 clamp
	s_delay_alu instid0(VALU_DEP_1) | instskip(NEXT) | instid1(VALU_DEP_1)
	v_dual_lshlrev_b32 v5, v4, v3 :: v_dual_lshlrev_b32 v4, 23, v4
	v_lshrrev_b32_e32 v5, 4, v5
	s_delay_alu instid0(VALU_DEP_1) | instskip(NEXT) | instid1(VALU_DEP_1)
	v_dual_sub_nc_u32 v4, v5, v4 :: v_dual_ashrrev_i32 v5, 8, v6
	v_add_nc_u32_e32 v4, 0x3c000000, v4
	s_delay_alu instid0(VALU_DEP_1) | instskip(NEXT) | instid1(VALU_DEP_1)
	v_and_or_b32 v4, 0x7f800000, v5, v4
	v_cndmask_b32_e32 v3, 0, v4, vcc_lo
	s_delay_alu instid0(VALU_DEP_1) | instskip(NEXT) | instid1(VALU_DEP_1)
	v_and_or_b32 v2, 0x80000000, v2, v3
	v_cvt_f64_f32_e32 v[2:3], v2
.LBB6_188:
	s_mov_b32 s11, 0
.LBB6_189:
	s_delay_alu instid0(SALU_CYCLE_1)
	s_and_not1_b32 vcc_lo, exec_lo, s11
	s_cbranch_vccnz .LBB6_191
; %bb.190:
	global_load_u8 v2, v[0:1], off
	s_wait_loadcnt 0x0
	v_lshlrev_b32_e32 v3, 25, v2
	v_lshlrev_b16 v2, 8, v2
	s_delay_alu instid0(VALU_DEP_1) | instskip(SKIP_1) | instid1(VALU_DEP_2)
	v_and_or_b32 v5, 0x7f00, v2, 0.5
	v_bfe_i32 v2, v2, 0, 16
	v_dual_add_f32 v5, -0.5, v5 :: v_dual_lshrrev_b32 v4, 4, v3
	v_cmp_gt_u32_e32 vcc_lo, 0x8000000, v3
	s_delay_alu instid0(VALU_DEP_2) | instskip(NEXT) | instid1(VALU_DEP_1)
	v_or_b32_e32 v4, 0x70000000, v4
	v_mul_f32_e32 v4, 0x7800000, v4
	s_delay_alu instid0(VALU_DEP_1) | instskip(NEXT) | instid1(VALU_DEP_1)
	v_cndmask_b32_e32 v3, v4, v5, vcc_lo
	v_and_or_b32 v2, 0x80000000, v2, v3
	s_delay_alu instid0(VALU_DEP_1)
	v_cvt_f64_f32_e32 v[2:3], v2
.LBB6_191:
	s_mov_b32 s16, 0
	s_mov_b32 s11, -1
.LBB6_192:
	s_and_not1_b32 vcc_lo, exec_lo, s16
	s_cbranch_vccnz .LBB6_205
; %bb.193:
	s_cmp_gt_i32 s0, 14
	s_cbranch_scc0 .LBB6_196
; %bb.194:
	s_cmp_eq_u32 s0, 15
	s_cbranch_scc0 .LBB6_199
; %bb.195:
	global_load_u16 v2, v[0:1], off
	s_mov_b32 s11, -1
	s_mov_b32 s13, 0
	s_wait_loadcnt 0x0
	v_lshlrev_b32_e32 v2, 16, v2
	s_delay_alu instid0(VALU_DEP_1)
	v_cvt_f64_f32_e32 v[2:3], v2
	s_branch .LBB6_200
.LBB6_196:
	s_mov_b32 s16, -1
                                        ; implicit-def: $vgpr2_vgpr3
	s_branch .LBB6_201
.LBB6_197:
	s_or_saveexec_b32 s16, s16
	v_mov_b64_e32 v[2:3], 0x7ff8000020000000
	s_xor_b32 exec_lo, exec_lo, s16
	s_cbranch_execz .LBB6_178
.LBB6_198:
	v_cmp_ne_u16_e32 vcc_lo, 0, v4
	v_mov_b64_e32 v[2:3], 0
	s_and_not1_b32 s11, s11, exec_lo
	s_and_b32 s17, vcc_lo, exec_lo
	s_delay_alu instid0(SALU_CYCLE_1)
	s_or_b32 s11, s11, s17
	s_or_b32 exec_lo, exec_lo, s16
	s_and_saveexec_b32 s16, s11
	s_cbranch_execnz .LBB6_179
	s_branch .LBB6_180
.LBB6_199:
	s_mov_b32 s13, -1
                                        ; implicit-def: $vgpr2_vgpr3
.LBB6_200:
	s_mov_b32 s16, 0
.LBB6_201:
	s_delay_alu instid0(SALU_CYCLE_1)
	s_and_b32 vcc_lo, exec_lo, s16
	s_cbranch_vccz .LBB6_205
; %bb.202:
	s_cmp_eq_u32 s0, 11
	s_cbranch_scc0 .LBB6_204
; %bb.203:
	global_load_u8 v2, v[0:1], off
	s_mov_b32 s13, 0
	s_mov_b32 s11, -1
	s_wait_loadcnt 0x0
	v_cmp_ne_u16_e32 vcc_lo, 0, v2
	v_mov_b32_e32 v2, 0
	v_cndmask_b32_e64 v3, 0, 0x3ff00000, vcc_lo
	s_branch .LBB6_205
.LBB6_204:
	s_mov_b32 s13, -1
                                        ; implicit-def: $vgpr2_vgpr3
.LBB6_205:
	s_branch .LBB6_10
.LBB6_206:
	s_cmp_lt_i32 s0, 5
	s_cbranch_scc1 .LBB6_211
; %bb.207:
	s_cmp_lt_i32 s0, 8
	s_cbranch_scc1 .LBB6_212
; %bb.208:
	s_cmp_lt_i32 s0, 9
	s_cbranch_scc1 .LBB6_213
; %bb.209:
	s_cmp_gt_i32 s0, 9
	s_cbranch_scc0 .LBB6_214
; %bb.210:
	global_load_b64 v[2:3], v[0:1], off
	s_mov_b32 s11, 0
	s_branch .LBB6_215
.LBB6_211:
                                        ; implicit-def: $vgpr2_vgpr3
	s_branch .LBB6_233
.LBB6_212:
	s_mov_b32 s11, -1
                                        ; implicit-def: $vgpr2_vgpr3
	s_branch .LBB6_221
.LBB6_213:
	s_mov_b32 s11, -1
                                        ; implicit-def: $vgpr2_vgpr3
	s_branch .LBB6_218
.LBB6_214:
	s_mov_b32 s11, -1
                                        ; implicit-def: $vgpr2_vgpr3
.LBB6_215:
	s_delay_alu instid0(SALU_CYCLE_1)
	s_and_not1_b32 vcc_lo, exec_lo, s11
	s_cbranch_vccnz .LBB6_217
; %bb.216:
	s_wait_loadcnt 0x0
	global_load_b32 v2, v[0:1], off
	s_wait_loadcnt 0x0
	v_cvt_f64_f32_e32 v[2:3], v2
.LBB6_217:
	s_mov_b32 s11, 0
.LBB6_218:
	s_delay_alu instid0(SALU_CYCLE_1)
	s_and_not1_b32 vcc_lo, exec_lo, s11
	s_cbranch_vccnz .LBB6_220
; %bb.219:
	s_wait_loadcnt 0x0
	global_load_b32 v2, v[0:1], off
	s_wait_loadcnt 0x0
	v_cvt_f32_f16_e32 v2, v2
	s_delay_alu instid0(VALU_DEP_1)
	v_cvt_f64_f32_e32 v[2:3], v2
.LBB6_220:
	s_mov_b32 s11, 0
.LBB6_221:
	s_delay_alu instid0(SALU_CYCLE_1)
	s_and_not1_b32 vcc_lo, exec_lo, s11
	s_cbranch_vccnz .LBB6_232
; %bb.222:
	s_cmp_lt_i32 s0, 6
	s_cbranch_scc1 .LBB6_225
; %bb.223:
	s_cmp_gt_i32 s0, 6
	s_cbranch_scc0 .LBB6_226
; %bb.224:
	s_wait_loadcnt 0x0
	global_load_b64 v[2:3], v[0:1], off
	s_mov_b32 s11, 0
	s_branch .LBB6_227
.LBB6_225:
	s_mov_b32 s11, -1
                                        ; implicit-def: $vgpr2_vgpr3
	s_branch .LBB6_230
.LBB6_226:
	s_mov_b32 s11, -1
                                        ; implicit-def: $vgpr2_vgpr3
.LBB6_227:
	s_delay_alu instid0(SALU_CYCLE_1)
	s_and_not1_b32 vcc_lo, exec_lo, s11
	s_cbranch_vccnz .LBB6_229
; %bb.228:
	s_wait_loadcnt 0x0
	global_load_b32 v2, v[0:1], off
	s_wait_loadcnt 0x0
	v_cvt_f64_f32_e32 v[2:3], v2
.LBB6_229:
	s_mov_b32 s11, 0
.LBB6_230:
	s_delay_alu instid0(SALU_CYCLE_1)
	s_and_not1_b32 vcc_lo, exec_lo, s11
	s_cbranch_vccnz .LBB6_232
; %bb.231:
	s_wait_loadcnt 0x0
	global_load_u16 v2, v[0:1], off
	s_wait_loadcnt 0x0
	v_cvt_f32_f16_e32 v2, v2
	s_delay_alu instid0(VALU_DEP_1)
	v_cvt_f64_f32_e32 v[2:3], v2
.LBB6_232:
	s_cbranch_execnz .LBB6_252
.LBB6_233:
	s_cmp_lt_i32 s0, 2
	s_cbranch_scc1 .LBB6_237
; %bb.234:
	s_cmp_lt_i32 s0, 3
	s_cbranch_scc1 .LBB6_238
; %bb.235:
	s_cmp_gt_i32 s0, 3
	s_cbranch_scc0 .LBB6_239
; %bb.236:
	s_wait_loadcnt 0x0
	global_load_b64 v[2:3], v[0:1], off
	s_mov_b32 s11, 0
	s_wait_loadcnt 0x0
	v_cvt_f64_i32_e32 v[4:5], v3
	v_cvt_f64_u32_e32 v[2:3], v2
	s_delay_alu instid0(VALU_DEP_2) | instskip(NEXT) | instid1(VALU_DEP_1)
	v_ldexp_f64 v[4:5], v[4:5], 32
	v_add_f64_e32 v[2:3], v[4:5], v[2:3]
	s_branch .LBB6_240
.LBB6_237:
	s_mov_b32 s11, -1
                                        ; implicit-def: $vgpr2_vgpr3
	s_branch .LBB6_246
.LBB6_238:
	s_mov_b32 s11, -1
                                        ; implicit-def: $vgpr2_vgpr3
	s_branch .LBB6_243
.LBB6_239:
	s_mov_b32 s11, -1
                                        ; implicit-def: $vgpr2_vgpr3
.LBB6_240:
	s_delay_alu instid0(SALU_CYCLE_1)
	s_and_not1_b32 vcc_lo, exec_lo, s11
	s_cbranch_vccnz .LBB6_242
; %bb.241:
	s_wait_loadcnt 0x0
	global_load_b32 v2, v[0:1], off
	s_wait_loadcnt 0x0
	v_cvt_f64_i32_e32 v[2:3], v2
.LBB6_242:
	s_mov_b32 s11, 0
.LBB6_243:
	s_delay_alu instid0(SALU_CYCLE_1)
	s_and_not1_b32 vcc_lo, exec_lo, s11
	s_cbranch_vccnz .LBB6_245
; %bb.244:
	s_wait_loadcnt 0x0
	global_load_i16 v2, v[0:1], off
	s_wait_loadcnt 0x0
	v_cvt_f64_i32_e32 v[2:3], v2
.LBB6_245:
	s_mov_b32 s11, 0
.LBB6_246:
	s_delay_alu instid0(SALU_CYCLE_1)
	s_and_not1_b32 vcc_lo, exec_lo, s11
	s_cbranch_vccnz .LBB6_252
; %bb.247:
	s_cmp_gt_i32 s0, 0
	s_mov_b32 s0, 0
	s_cbranch_scc0 .LBB6_249
; %bb.248:
	s_wait_loadcnt 0x0
	global_load_i8 v2, v[0:1], off
	s_wait_loadcnt 0x0
	v_cvt_f64_i32_e32 v[2:3], v2
	s_branch .LBB6_250
.LBB6_249:
	s_mov_b32 s0, -1
                                        ; implicit-def: $vgpr2_vgpr3
.LBB6_250:
	s_delay_alu instid0(SALU_CYCLE_1)
	s_and_not1_b32 vcc_lo, exec_lo, s0
	s_cbranch_vccnz .LBB6_252
; %bb.251:
	global_load_u8 v0, v[0:1], off
	s_wait_loadcnt 0x0
	v_cvt_f64_u32_e32 v[2:3], v0
.LBB6_252:
	s_branch .LBB6_11
.LBB6_253:
	s_mov_b32 s11, 0
.LBB6_254:
	s_mov_b32 s0, 0
                                        ; implicit-def: $vgpr24
.LBB6_255:
	s_and_b32 s11, s11, exec_lo
	s_and_b32 s13, s13, exec_lo
	s_or_not1_b32 s17, s0, exec_lo
.LBB6_256:
	s_wait_xcnt 0x0
	s_or_b32 exec_lo, exec_lo, s14
	s_mov_b32 s16, 0
	s_mov_b32 s0, 0
                                        ; implicit-def: $vgpr0_vgpr1
                                        ; implicit-def: $vgpr2_vgpr3
	s_and_saveexec_b32 s14, s17
	s_cbranch_execz .LBB6_265
; %bb.257:
	s_mov_b32 s0, -1
	s_mov_b32 s15, s13
	s_mov_b32 s16, s11
	s_mov_b32 s17, exec_lo
	v_cmpx_gt_i32_e64 s12, v24
	s_cbranch_execz .LBB6_522
; %bb.258:
	v_mul_lo_u32 v0, v24, s3
	s_and_b32 s0, 0xffff, s9
	s_delay_alu instid0(SALU_CYCLE_1) | instskip(NEXT) | instid1(VALU_DEP_1)
	s_cmp_lt_i32 s0, 11
	v_ashrrev_i32_e32 v1, 31, v0
	s_delay_alu instid0(VALU_DEP_1)
	v_add_nc_u64_e32 v[0:1], s[6:7], v[0:1]
	s_cbranch_scc1 .LBB6_268
; %bb.259:
	s_cmp_gt_i32 s0, 25
	s_cbranch_scc0 .LBB6_321
; %bb.260:
	s_cmp_gt_i32 s0, 28
	s_cbranch_scc0 .LBB6_322
	;; [unrolled: 3-line block ×4, first 2 shown]
; %bb.263:
	s_cmp_eq_u32 s0, 46
	s_mov_b32 s18, 0
	s_cbranch_scc0 .LBB6_332
; %bb.264:
	s_wait_loadcnt 0x0
	global_load_b32 v2, v[0:1], off
	s_mov_b32 s16, -1
	s_mov_b32 s15, 0
	s_wait_loadcnt 0x0
	v_lshlrev_b32_e32 v2, 16, v2
	s_delay_alu instid0(VALU_DEP_1)
	v_cvt_f64_f32_e32 v[2:3], v2
	s_branch .LBB6_334
.LBB6_265:
	s_or_b32 exec_lo, exec_lo, s14
	s_mov_b32 s12, 0
	s_and_saveexec_b32 s14, s13
	s_cbranch_execnz .LBB6_873
.LBB6_266:
	s_or_b32 exec_lo, exec_lo, s14
	s_and_saveexec_b32 s13, s15
	s_delay_alu instid0(SALU_CYCLE_1)
	s_xor_b32 s13, exec_lo, s13
	s_cbranch_execz .LBB6_874
.LBB6_267:
	s_wait_loadcnt 0x0
	global_load_u8 v2, v[0:1], off
	s_or_b32 s0, s0, exec_lo
	s_wait_loadcnt 0x0
	v_cmp_ne_u16_e32 vcc_lo, 0, v2
	v_mov_b32_e32 v2, 0
	v_cndmask_b32_e64 v3, 0, 0x3ff00000, vcc_lo
	s_wait_xcnt 0x0
	s_or_b32 exec_lo, exec_lo, s13
	s_and_saveexec_b32 s13, s16
	s_cbranch_execz .LBB6_920
	s_branch .LBB6_875
.LBB6_268:
	s_mov_b32 s16, 0
	s_mov_b32 s15, s13
                                        ; implicit-def: $vgpr2_vgpr3
	s_cbranch_execnz .LBB6_471
.LBB6_269:
	s_and_not1_b32 vcc_lo, exec_lo, s16
	s_cbranch_vccnz .LBB6_519
.LBB6_270:
	s_wait_loadcnt 0x0
	s_delay_alu instid0(VALU_DEP_1) | instskip(SKIP_2) | instid1(SALU_CYCLE_1)
	v_cmp_ngt_f64_e64 s0, 0x41d00000, |v[2:3]|
                                        ; implicit-def: $vgpr6
                                        ; implicit-def: $vgpr0_vgpr1
                                        ; implicit-def: $vgpr4_vgpr5
	s_wait_xcnt 0x0
	s_and_saveexec_b32 s16, s0
	s_xor_b32 s0, exec_lo, s16
	s_cbranch_execz .LBB6_272
; %bb.271:
	v_ldexp_f64 v[0:1], |v[2:3]|, 0xffffff80
	v_cmp_le_f64_e64 vcc_lo, 0x7b000000, |v[2:3]|
	v_trig_preop_f64 v[4:5], |v[2:3]|, 0
	v_and_b32_e32 v6, 0x7fffffff, v3
	v_trig_preop_f64 v[16:17], |v[2:3]|, 2
	s_mov_b64 s[18:19], 0x3ff921fb54442d18
	s_delay_alu instid0(VALU_DEP_2) | instskip(SKIP_2) | instid1(VALU_DEP_2)
	v_dual_mov_b32 v26, 0 :: v_dual_cndmask_b32 v1, v6, v1
	v_cndmask_b32_e32 v0, v2, v0, vcc_lo
	v_trig_preop_f64 v[6:7], |v[2:3]|, 1
	v_mul_f64_e32 v[8:9], v[4:5], v[0:1]
	s_delay_alu instid0(VALU_DEP_2) | instskip(NEXT) | instid1(VALU_DEP_2)
	v_mul_f64_e32 v[10:11], v[6:7], v[0:1]
	v_fma_f64 v[4:5], v[4:5], v[0:1], -v[8:9]
	s_delay_alu instid0(VALU_DEP_1) | instskip(NEXT) | instid1(VALU_DEP_1)
	v_add_f64_e32 v[12:13], v[10:11], v[4:5]
	v_add_f64_e64 v[14:15], v[12:13], -v[10:11]
	v_add_f64_e32 v[20:21], v[8:9], v[12:13]
	s_delay_alu instid0(VALU_DEP_2) | instskip(SKIP_2) | instid1(VALU_DEP_4)
	v_add_f64_e64 v[18:19], v[12:13], -v[14:15]
	v_fma_f64 v[6:7], v[6:7], v[0:1], -v[10:11]
	v_add_f64_e64 v[4:5], v[4:5], -v[14:15]
	v_ldexp_f64 v[14:15], v[20:21], -2
	v_mul_f64_e32 v[22:23], v[16:17], v[0:1]
	v_add_f64_e64 v[10:11], v[10:11], -v[18:19]
	s_delay_alu instid0(VALU_DEP_3) | instskip(NEXT) | instid1(VALU_DEP_3)
	v_cmp_neq_f64_e64 vcc_lo, 0x7ff00000, |v[14:15]|
	v_add_f64_e32 v[18:19], v[22:23], v[6:7]
	v_fma_f64 v[0:1], v[16:17], v[0:1], -v[22:23]
	s_delay_alu instid0(VALU_DEP_4) | instskip(SKIP_1) | instid1(VALU_DEP_1)
	v_add_f64_e32 v[4:5], v[4:5], v[10:11]
	v_fract_f64_e32 v[10:11], v[14:15]
	v_ldexp_f64 v[10:11], v[10:11], 2
	s_delay_alu instid0(VALU_DEP_1) | instskip(NEXT) | instid1(VALU_DEP_1)
	v_dual_add_f64 v[8:9], v[20:21], -v[8:9] :: v_dual_cndmask_b32 v11, 0, v11, vcc_lo
	v_dual_add_f64 v[8:9], v[12:13], -v[8:9] :: v_dual_cndmask_b32 v10, 0, v10, vcc_lo
	v_add_f64_e32 v[12:13], v[18:19], v[4:5]
	s_delay_alu instid0(VALU_DEP_1) | instskip(SKIP_1) | instid1(VALU_DEP_2)
	v_add_f64_e32 v[14:15], v[8:9], v[12:13]
	v_add_f64_e64 v[28:29], v[12:13], -v[18:19]
	v_add_f64_e32 v[20:21], v[14:15], v[10:11]
	s_delay_alu instid0(VALU_DEP_2) | instskip(SKIP_2) | instid1(VALU_DEP_4)
	v_add_f64_e64 v[34:35], v[12:13], -v[28:29]
	v_add_f64_e64 v[4:5], v[4:5], -v[28:29]
	;; [unrolled: 1-line block ×3, first 2 shown]
	v_cmp_gt_f64_e32 vcc_lo, 0, v[20:21]
	v_add_f64_e64 v[20:21], v[18:19], -v[22:23]
	v_cndmask_b32_e64 v27, 0, 0x40100000, vcc_lo
	s_delay_alu instid0(VALU_DEP_2) | instskip(SKIP_2) | instid1(VALU_DEP_4)
	v_add_f64_e64 v[32:33], v[18:19], -v[20:21]
	v_add_f64_e64 v[6:7], v[6:7], -v[20:21]
	v_add_f64_e64 v[18:19], v[18:19], -v[34:35]
	v_add_f64_e32 v[10:11], v[10:11], v[26:27]
	s_delay_alu instid0(VALU_DEP_4) | instskip(NEXT) | instid1(VALU_DEP_3)
	v_add_f64_e64 v[20:21], v[22:23], -v[32:33]
	v_add_f64_e32 v[4:5], v[4:5], v[18:19]
	s_delay_alu instid0(VALU_DEP_3) | instskip(NEXT) | instid1(VALU_DEP_3)
	v_add_f64_e32 v[30:31], v[14:15], v[10:11]
	v_add_f64_e32 v[6:7], v[6:7], v[20:21]
	s_delay_alu instid0(VALU_DEP_2) | instskip(NEXT) | instid1(VALU_DEP_2)
	v_cvt_i32_f64_e32 v25, v[30:31]
	v_add_f64_e32 v[4:5], v[6:7], v[4:5]
	v_add_f64_e64 v[6:7], v[12:13], -v[8:9]
	s_delay_alu instid0(VALU_DEP_3) | instskip(NEXT) | instid1(VALU_DEP_3)
	v_cvt_f64_i32_e32 v[28:29], v25
	v_add_f64_e32 v[0:1], v[0:1], v[4:5]
	s_delay_alu instid0(VALU_DEP_2) | instskip(NEXT) | instid1(VALU_DEP_2)
	v_add_f64_e64 v[10:11], v[10:11], -v[28:29]
	v_add_f64_e32 v[0:1], v[6:7], v[0:1]
	s_delay_alu instid0(VALU_DEP_2) | instskip(NEXT) | instid1(VALU_DEP_1)
	v_add_f64_e32 v[16:17], v[14:15], v[10:11]
	v_add_f64_e64 v[4:5], v[16:17], -v[10:11]
	v_cmp_le_f64_e32 vcc_lo, 0.5, v[16:17]
	s_delay_alu instid0(VALU_DEP_2) | instskip(SKIP_2) | instid1(VALU_DEP_3)
	v_add_f64_e64 v[4:5], v[14:15], -v[4:5]
	v_cndmask_b32_e64 v27, 0, 0x3ff00000, vcc_lo
	v_add_co_ci_u32_e64 v6, null, 0, v25, vcc_lo
	v_add_f64_e32 v[0:1], v[0:1], v[4:5]
	s_delay_alu instid0(VALU_DEP_3) | instskip(NEXT) | instid1(VALU_DEP_1)
	v_add_f64_e64 v[4:5], v[16:17], -v[26:27]
	v_add_f64_e32 v[8:9], v[4:5], v[0:1]
	s_delay_alu instid0(VALU_DEP_1) | instskip(SKIP_1) | instid1(VALU_DEP_2)
	v_mul_f64_e32 v[10:11], 0x3ff921fb54442d18, v[8:9]
	v_add_f64_e64 v[4:5], v[8:9], -v[4:5]
	v_fma_f64 v[12:13], v[8:9], s[18:19], -v[10:11]
	s_delay_alu instid0(VALU_DEP_2) | instskip(NEXT) | instid1(VALU_DEP_2)
	v_add_f64_e64 v[0:1], v[0:1], -v[4:5]
	v_fmamk_f64 v[4:5], v[8:9], 0x3c91a62633145c07, v[12:13]
	s_delay_alu instid0(VALU_DEP_1) | instskip(NEXT) | instid1(VALU_DEP_1)
	v_fmac_f64_e32 v[4:5], 0x3ff921fb54442d18, v[0:1]
	v_add_f64_e32 v[0:1], v[10:11], v[4:5]
	s_delay_alu instid0(VALU_DEP_1) | instskip(NEXT) | instid1(VALU_DEP_1)
	v_add_f64_e64 v[8:9], v[0:1], -v[10:11]
	v_add_f64_e64 v[4:5], v[4:5], -v[8:9]
.LBB6_272:
	s_and_not1_saveexec_b32 s0, s0
	s_cbranch_execz .LBB6_274
; %bb.273:
	s_mov_b64 s[18:19], 0x3fe45f306dc9c883
	s_delay_alu instid0(SALU_CYCLE_1) | instskip(SKIP_1) | instid1(VALU_DEP_1)
	v_mul_f64_e64 v[0:1], |v[2:3]|, s[18:19]
	s_mov_b64 s[18:19], 0xbff921fb54442d18
	v_rndne_f64_e32 v[6:7], v[0:1]
	s_delay_alu instid0(VALU_DEP_1) | instskip(SKIP_1) | instid1(VALU_DEP_2)
	v_fma_f64 v[0:1], v[6:7], s[18:19], |v[2:3]|
	v_mul_f64_e32 v[4:5], 0xbc91a62633145c00, v[6:7]
	v_fmamk_f64 v[12:13], v[6:7], 0xbc91a62633145c00, v[0:1]
	s_delay_alu instid0(VALU_DEP_2) | instskip(NEXT) | instid1(VALU_DEP_1)
	v_add_f64_e32 v[8:9], v[0:1], v[4:5]
	v_add_f64_e64 v[10:11], v[0:1], -v[8:9]
	s_delay_alu instid0(VALU_DEP_3) | instskip(NEXT) | instid1(VALU_DEP_2)
	v_add_f64_e64 v[0:1], v[8:9], -v[12:13]
	v_add_f64_e32 v[8:9], v[10:11], v[4:5]
	v_fmamk_f64 v[4:5], v[6:7], 0x3c91a62633145c00, v[4:5]
	s_delay_alu instid0(VALU_DEP_2) | instskip(NEXT) | instid1(VALU_DEP_1)
	v_add_f64_e32 v[0:1], v[0:1], v[8:9]
	v_add_f64_e64 v[0:1], v[0:1], -v[4:5]
	s_delay_alu instid0(VALU_DEP_1) | instskip(SKIP_1) | instid1(VALU_DEP_2)
	v_fmamk_f64 v[4:5], v[6:7], 0xb97b839a252049c0, v[0:1]
	v_cvt_i32_f64_e32 v6, v[6:7]
	v_add_f64_e32 v[0:1], v[12:13], v[4:5]
	s_delay_alu instid0(VALU_DEP_1) | instskip(NEXT) | instid1(VALU_DEP_1)
	v_add_f64_e64 v[8:9], v[0:1], -v[12:13]
	v_add_f64_e64 v[4:5], v[4:5], -v[8:9]
.LBB6_274:
	s_or_b32 exec_lo, exec_lo, s0
	s_delay_alu instid0(VALU_DEP_4)
	v_dual_mul_f64 v[8:9], v[0:1], v[0:1] :: v_dual_bitop2_b32 v7, 1, v6 bitop3:0x40
	v_cmp_class_f64_e64 s0, v[2:3], 0x1f8
	s_mov_b64 s[18:19], 0x3de5e0b2f9a43bb8
	s_and_b32 s16, s8, 0xff
	v_dual_mul_f64 v[16:17], 0.5, v[4:5] :: v_dual_lshlrev_b32 v2, 30, v6
	v_cmp_eq_u32_e32 vcc_lo, 0, v7
	s_cmp_lt_i32 s16, 11
	s_delay_alu instid0(VALU_DEP_2) | instskip(SKIP_3) | instid1(VALU_DEP_3)
	v_dual_mul_f64 v[10:11], 0.5, v[8:9] :: v_dual_bitop2_b32 v2, v2, v3 bitop3:0x14
	v_mul_f64_e64 v[18:19], v[0:1], -v[8:9]
	v_fmaak_f64 v[20:21], s[18:19], v[8:9], 0xbe5ae600b42fdfa7
	s_mov_b64 s[18:19], 0xbda907db46cc5e42
	v_add_f64_e64 v[12:13], -v[10:11], 1.0
	s_delay_alu instid0(VALU_DEP_1) | instskip(NEXT) | instid1(VALU_DEP_1)
	v_add_f64_e64 v[14:15], -v[12:13], 1.0
	v_add_f64_e64 v[10:11], v[14:15], -v[10:11]
	s_delay_alu instid0(VALU_DEP_4) | instskip(SKIP_1) | instid1(VALU_DEP_2)
	v_fmaak_f64 v[14:15], v[8:9], v[20:21], 0x3ec71de3796cde01
	v_mul_f64_e32 v[20:21], v[8:9], v[8:9]
	v_fmaak_f64 v[14:15], v[8:9], v[14:15], 0xbf2a01a019e83e5c
	s_delay_alu instid0(VALU_DEP_1) | instskip(NEXT) | instid1(VALU_DEP_1)
	v_fmaak_f64 v[14:15], v[8:9], v[14:15], 0x3f81111111110bb3
	v_fmac_f64_e32 v[16:17], v[18:19], v[14:15]
	v_fmaak_f64 v[14:15], s[18:19], v[8:9], 0x3e21eeb69037ab78
	s_mov_b32 s19, 0
	s_mov_b32 s18, -1
	s_delay_alu instid0(VALU_DEP_1) | instskip(SKIP_1) | instid1(VALU_DEP_2)
	v_fmaak_f64 v[14:15], v[8:9], v[14:15], 0xbe927e4fa17f65f6
	v_fma_f64 v[10:11], v[0:1], -v[4:5], v[10:11]
	v_fmaak_f64 v[14:15], v[8:9], v[14:15], 0x3efa01a019f4ec90
	s_delay_alu instid0(VALU_DEP_1) | instskip(SKIP_1) | instid1(VALU_DEP_2)
	v_fmaak_f64 v[14:15], v[8:9], v[14:15], 0xbf56c16c16c16967
	v_fma_f64 v[4:5], v[8:9], v[16:17], -v[4:5]
	v_fmaak_f64 v[8:9], v[8:9], v[14:15], 0x3fa5555555555555
	s_delay_alu instid0(VALU_DEP_1) | instskip(NEXT) | instid1(VALU_DEP_3)
	v_fmac_f64_e32 v[10:11], v[20:21], v[8:9]
	v_fmamk_f64 v[4:5], v[18:19], 0xbfc5555555555555, v[4:5]
	s_delay_alu instid0(VALU_DEP_1) | instskip(NEXT) | instid1(VALU_DEP_3)
	v_add_f64_e64 v[0:1], v[0:1], -v[4:5]
	v_add_f64_e32 v[4:5], v[12:13], v[10:11]
	s_delay_alu instid0(VALU_DEP_1) | instskip(SKIP_1) | instid1(VALU_DEP_3)
	v_cndmask_b32_e32 v7, v4, v0, vcc_lo
	v_mul_lo_u32 v0, v24, s2
	v_cndmask_b32_e32 v3, v5, v1, vcc_lo
	s_delay_alu instid0(VALU_DEP_1) | instskip(NEXT) | instid1(VALU_DEP_3)
	v_bitop3_b32 v2, v3, v2, 0x80000000 bitop3:0x78
	v_ashrrev_i32_e32 v1, 31, v0
	s_delay_alu instid0(VALU_DEP_1) | instskip(SKIP_1) | instid1(VALU_DEP_4)
	v_add_nc_u64_e32 v[4:5], s[4:5], v[0:1]
	v_cndmask_b32_e64 v0, 0, v7, s0
	v_cndmask_b32_e64 v1, 0x7ff80000, v2, s0
	s_mov_b32 s0, s11
	s_cbranch_scc1 .LBB6_281
; %bb.275:
	s_and_b32 s18, 0xffff, s16
	s_delay_alu instid0(SALU_CYCLE_1)
	s_cmp_gt_i32 s18, 25
	s_cbranch_scc0 .LBB6_323
; %bb.276:
	s_cmp_gt_i32 s18, 28
	s_cbranch_scc0 .LBB6_325
; %bb.277:
	;; [unrolled: 3-line block ×4, first 2 shown]
	s_mov_b32 s20, 0
	s_mov_b32 s0, -1
	s_cmp_eq_u32 s18, 46
	s_cbranch_scc0 .LBB6_338
; %bb.280:
	v_cvt_f32_f64_e32 v2, v[0:1]
	s_mov_b32 s19, -1
	s_mov_b32 s0, 0
	s_delay_alu instid0(VALU_DEP_1) | instskip(SKIP_1) | instid1(VALU_DEP_2)
	v_bfe_u32 v3, v2, 16, 1
	v_cmp_o_f32_e32 vcc_lo, v2, v2
	v_add3_u32 v3, v2, v3, 0x7fff
	s_delay_alu instid0(VALU_DEP_1) | instskip(NEXT) | instid1(VALU_DEP_1)
	v_lshrrev_b32_e32 v3, 16, v3
	v_cndmask_b32_e32 v2, 0x7fc0, v3, vcc_lo
	global_store_b32 v[4:5], v2, off
	s_branch .LBB6_338
.LBB6_281:
	s_and_b32 vcc_lo, exec_lo, s18
	s_cbranch_vccz .LBB6_407
; %bb.282:
	s_and_b32 s16, 0xffff, s16
	s_mov_b32 s18, -1
	s_cmp_lt_i32 s16, 5
	s_cbranch_scc1 .LBB6_303
; %bb.283:
	s_cmp_lt_i32 s16, 8
	s_cbranch_scc1 .LBB6_293
; %bb.284:
	;; [unrolled: 3-line block ×3, first 2 shown]
	s_cmp_gt_i32 s16, 9
	s_cbranch_scc0 .LBB6_287
; %bb.286:
	s_wait_xcnt 0x0
	v_mov_b64_e32 v[2:3], 0
	s_mov_b32 s18, 0
	global_store_b128 v[4:5], v[0:3], off
.LBB6_287:
	s_and_not1_b32 vcc_lo, exec_lo, s18
	s_cbranch_vccnz .LBB6_289
; %bb.288:
	s_wait_xcnt 0x0
	v_cvt_f32_f64_e32 v2, v[0:1]
	v_mov_b32_e32 v3, 0
	global_store_b64 v[4:5], v[2:3], off
.LBB6_289:
	s_mov_b32 s18, 0
.LBB6_290:
	s_delay_alu instid0(SALU_CYCLE_1)
	s_and_not1_b32 vcc_lo, exec_lo, s18
	s_cbranch_vccnz .LBB6_292
; %bb.291:
	s_wait_xcnt 0x0
	v_and_or_b32 v2, 0x1ff, v1, v0
	v_lshrrev_b32_e32 v3, 8, v1
	v_bfe_u32 v6, v1, 20, 11
	s_delay_alu instid0(VALU_DEP_3) | instskip(NEXT) | instid1(VALU_DEP_2)
	v_cmp_ne_u32_e32 vcc_lo, 0, v2
	v_sub_nc_u32_e32 v7, 0x3f1, v6
	v_cndmask_b32_e64 v2, 0, 1, vcc_lo
	s_delay_alu instid0(VALU_DEP_1) | instskip(NEXT) | instid1(VALU_DEP_3)
	v_and_or_b32 v2, 0xffe, v3, v2
	v_med3_i32 v3, v7, 0, 13
	s_delay_alu instid0(VALU_DEP_2) | instskip(NEXT) | instid1(VALU_DEP_1)
	v_or_b32_e32 v7, 0x1000, v2
	v_lshrrev_b32_e32 v8, v3, v7
	s_delay_alu instid0(VALU_DEP_1) | instskip(NEXT) | instid1(VALU_DEP_1)
	v_lshlrev_b32_e32 v3, v3, v8
	v_cmp_ne_u32_e32 vcc_lo, v3, v7
	v_cndmask_b32_e64 v3, 0, 1, vcc_lo
	s_delay_alu instid0(VALU_DEP_1) | instskip(SKIP_1) | instid1(VALU_DEP_1)
	v_or_b32_e32 v3, v8, v3
	v_add_nc_u32_e32 v6, 0xfffffc10, v6
	v_lshl_or_b32 v7, v6, 12, v2
	v_cmp_gt_i32_e32 vcc_lo, 1, v6
	s_delay_alu instid0(VALU_DEP_2) | instskip(NEXT) | instid1(VALU_DEP_1)
	v_cndmask_b32_e32 v3, v7, v3, vcc_lo
	v_dual_lshrrev_b32 v3, 2, v3 :: v_dual_bitop2_b32 v7, 7, v3 bitop3:0x40
	s_delay_alu instid0(VALU_DEP_1) | instskip(SKIP_4) | instid1(VALU_DEP_2)
	v_cmp_lt_i32_e32 vcc_lo, 5, v7
	v_cndmask_b32_e64 v8, 0, 1, vcc_lo
	v_cmp_eq_u32_e32 vcc_lo, 3, v7
	v_cndmask_b32_e64 v7, 0, 1, vcc_lo
	v_cmp_ne_u32_e32 vcc_lo, 0, v2
	v_or_b32_e32 v7, v7, v8
	s_delay_alu instid0(VALU_DEP_1) | instskip(NEXT) | instid1(VALU_DEP_1)
	v_dual_mov_b32 v8, 0x7e00 :: v_dual_add_nc_u32 v3, v3, v7
	v_cndmask_b32_e32 v2, 0x7c00, v8, vcc_lo
	v_cmp_gt_i32_e32 vcc_lo, 31, v6
	v_lshrrev_b32_e32 v7, 16, v1
	s_delay_alu instid0(VALU_DEP_4) | instskip(SKIP_1) | instid1(VALU_DEP_2)
	v_cndmask_b32_e32 v3, 0x7c00, v3, vcc_lo
	v_cmp_eq_u32_e32 vcc_lo, 0x40f, v6
	v_cndmask_b32_e32 v2, v3, v2, vcc_lo
	s_delay_alu instid0(VALU_DEP_4) | instskip(NEXT) | instid1(VALU_DEP_1)
	v_and_b32_e32 v3, 0x8000, v7
	v_bitop3_b32 v2, v3, 0xffff, v2 bitop3:0xc8
	global_store_b32 v[4:5], v2, off
.LBB6_292:
	s_mov_b32 s18, 0
.LBB6_293:
	s_delay_alu instid0(SALU_CYCLE_1)
	s_and_not1_b32 vcc_lo, exec_lo, s18
	s_cbranch_vccnz .LBB6_302
; %bb.294:
	s_cmp_lt_i32 s16, 6
	s_mov_b32 s18, -1
	s_cbranch_scc1 .LBB6_300
; %bb.295:
	s_cmp_gt_i32 s16, 6
	s_cbranch_scc0 .LBB6_297
; %bb.296:
	s_mov_b32 s18, 0
	global_store_b64 v[4:5], v[0:1], off
.LBB6_297:
	s_and_not1_b32 vcc_lo, exec_lo, s18
	s_cbranch_vccnz .LBB6_299
; %bb.298:
	s_wait_xcnt 0x0
	v_cvt_f32_f64_e32 v2, v[0:1]
	global_store_b32 v[4:5], v2, off
.LBB6_299:
	s_mov_b32 s18, 0
.LBB6_300:
	s_delay_alu instid0(SALU_CYCLE_1)
	s_and_not1_b32 vcc_lo, exec_lo, s18
	s_cbranch_vccnz .LBB6_302
; %bb.301:
	s_wait_xcnt 0x0
	v_and_or_b32 v2, 0x1ff, v1, v0
	v_lshrrev_b32_e32 v3, 8, v1
	v_bfe_u32 v6, v1, 20, 11
	s_delay_alu instid0(VALU_DEP_3) | instskip(NEXT) | instid1(VALU_DEP_2)
	v_cmp_ne_u32_e32 vcc_lo, 0, v2
	v_sub_nc_u32_e32 v7, 0x3f1, v6
	v_cndmask_b32_e64 v2, 0, 1, vcc_lo
	s_delay_alu instid0(VALU_DEP_1) | instskip(NEXT) | instid1(VALU_DEP_3)
	v_and_or_b32 v2, 0xffe, v3, v2
	v_med3_i32 v3, v7, 0, 13
	s_delay_alu instid0(VALU_DEP_2) | instskip(NEXT) | instid1(VALU_DEP_1)
	v_or_b32_e32 v7, 0x1000, v2
	v_lshrrev_b32_e32 v8, v3, v7
	s_delay_alu instid0(VALU_DEP_1) | instskip(NEXT) | instid1(VALU_DEP_1)
	v_lshlrev_b32_e32 v3, v3, v8
	v_cmp_ne_u32_e32 vcc_lo, v3, v7
	v_cndmask_b32_e64 v3, 0, 1, vcc_lo
	s_delay_alu instid0(VALU_DEP_1) | instskip(SKIP_1) | instid1(VALU_DEP_1)
	v_or_b32_e32 v3, v8, v3
	v_add_nc_u32_e32 v6, 0xfffffc10, v6
	v_lshl_or_b32 v7, v6, 12, v2
	v_cmp_gt_i32_e32 vcc_lo, 1, v6
	s_delay_alu instid0(VALU_DEP_2) | instskip(NEXT) | instid1(VALU_DEP_1)
	v_cndmask_b32_e32 v3, v7, v3, vcc_lo
	v_dual_lshrrev_b32 v3, 2, v3 :: v_dual_bitop2_b32 v7, 7, v3 bitop3:0x40
	s_delay_alu instid0(VALU_DEP_1) | instskip(SKIP_4) | instid1(VALU_DEP_2)
	v_cmp_lt_i32_e32 vcc_lo, 5, v7
	v_cndmask_b32_e64 v8, 0, 1, vcc_lo
	v_cmp_eq_u32_e32 vcc_lo, 3, v7
	v_cndmask_b32_e64 v7, 0, 1, vcc_lo
	v_cmp_ne_u32_e32 vcc_lo, 0, v2
	v_or_b32_e32 v7, v7, v8
	s_delay_alu instid0(VALU_DEP_1) | instskip(NEXT) | instid1(VALU_DEP_1)
	v_dual_mov_b32 v8, 0x7e00 :: v_dual_add_nc_u32 v3, v3, v7
	v_cndmask_b32_e32 v2, 0x7c00, v8, vcc_lo
	v_cmp_gt_i32_e32 vcc_lo, 31, v6
	s_delay_alu instid0(VALU_DEP_3) | instskip(SKIP_1) | instid1(VALU_DEP_2)
	v_cndmask_b32_e32 v3, 0x7c00, v3, vcc_lo
	v_cmp_eq_u32_e32 vcc_lo, 0x40f, v6
	v_dual_cndmask_b32 v2, v3, v2 :: v_dual_lshrrev_b32 v3, 16, v1
	s_delay_alu instid0(VALU_DEP_1)
	v_and_or_b32 v2, 0x8000, v3, v2
	global_store_b16 v[4:5], v2, off
.LBB6_302:
	s_mov_b32 s18, 0
.LBB6_303:
	s_delay_alu instid0(SALU_CYCLE_1)
	s_and_not1_b32 vcc_lo, exec_lo, s18
	s_cbranch_vccnz .LBB6_319
; %bb.304:
	s_cmp_lt_i32 s16, 2
	s_mov_b32 s18, -1
	s_cbranch_scc1 .LBB6_314
; %bb.305:
	s_cmp_lt_i32 s16, 3
	s_cbranch_scc1 .LBB6_311
; %bb.306:
	s_cmp_gt_i32 s16, 3
	s_cbranch_scc0 .LBB6_308
; %bb.307:
	s_wait_xcnt 0x0
	v_trunc_f64_e32 v[2:3], v[0:1]
	s_mov_b32 s18, 0
	s_delay_alu instid0(VALU_DEP_1) | instskip(NEXT) | instid1(VALU_DEP_1)
	v_ldexp_f64 v[6:7], v[2:3], 0xffffffe0
	v_floor_f64_e32 v[6:7], v[6:7]
	s_delay_alu instid0(VALU_DEP_1) | instskip(SKIP_1) | instid1(VALU_DEP_2)
	v_fmamk_f64 v[2:3], v[6:7], 0xc1f00000, v[2:3]
	v_cvt_i32_f64_e32 v7, v[6:7]
	v_cvt_u32_f64_e32 v6, v[2:3]
	global_store_b64 v[4:5], v[6:7], off
.LBB6_308:
	s_and_not1_b32 vcc_lo, exec_lo, s18
	s_cbranch_vccnz .LBB6_310
; %bb.309:
	s_wait_xcnt 0x0
	v_cvt_i32_f64_e32 v2, v[0:1]
	global_store_b32 v[4:5], v2, off
.LBB6_310:
	s_mov_b32 s18, 0
.LBB6_311:
	s_delay_alu instid0(SALU_CYCLE_1)
	s_and_not1_b32 vcc_lo, exec_lo, s18
	s_cbranch_vccnz .LBB6_313
; %bb.312:
	s_wait_xcnt 0x0
	v_cvt_i32_f64_e32 v2, v[0:1]
	global_store_b16 v[4:5], v2, off
.LBB6_313:
	s_mov_b32 s18, 0
.LBB6_314:
	s_delay_alu instid0(SALU_CYCLE_1)
	s_and_not1_b32 vcc_lo, exec_lo, s18
	s_cbranch_vccnz .LBB6_319
; %bb.315:
	s_cmp_gt_i32 s16, 0
	s_mov_b32 s16, -1
	s_cbranch_scc0 .LBB6_317
; %bb.316:
	s_wait_xcnt 0x0
	v_cvt_i32_f64_e32 v2, v[0:1]
	s_mov_b32 s16, 0
	global_store_b8 v[4:5], v2, off
.LBB6_317:
	s_and_not1_b32 vcc_lo, exec_lo, s16
	s_cbranch_vccnz .LBB6_319
; %bb.318:
	s_wait_xcnt 0x0
	v_trunc_f64_e32 v[0:1], v[0:1]
	s_delay_alu instid0(VALU_DEP_1) | instskip(NEXT) | instid1(VALU_DEP_1)
	v_ldexp_f64 v[2:3], v[0:1], 0xffffffe0
	v_floor_f64_e32 v[2:3], v[2:3]
	s_delay_alu instid0(VALU_DEP_1) | instskip(NEXT) | instid1(VALU_DEP_1)
	v_fmamk_f64 v[0:1], v[2:3], 0xc1f00000, v[0:1]
	v_cvt_u32_f64_e32 v0, v[0:1]
	global_store_b8 v[4:5], v0, off
.LBB6_319:
	s_branch .LBB6_408
.LBB6_320:
	s_mov_b32 s18, 0
	s_branch .LBB6_520
.LBB6_321:
	s_mov_b32 s18, -1
	s_mov_b32 s16, 0
	s_mov_b32 s15, s13
                                        ; implicit-def: $vgpr2_vgpr3
	s_branch .LBB6_435
.LBB6_322:
	s_mov_b32 s18, -1
	s_mov_b32 s16, 0
	s_mov_b32 s15, s13
                                        ; implicit-def: $vgpr2_vgpr3
	s_branch .LBB6_416
.LBB6_323:
	s_mov_b32 s20, -1
	s_mov_b32 s0, s11
	s_branch .LBB6_365
.LBB6_324:
	s_mov_b32 s18, -1
	s_mov_b32 s16, 0
	s_mov_b32 s15, s13
                                        ; implicit-def: $vgpr2_vgpr3
	s_branch .LBB6_411
.LBB6_325:
	s_mov_b32 s20, -1
	s_mov_b32 s0, s11
	s_branch .LBB6_348
.LBB6_326:
	s_and_not1_saveexec_b32 s19, s19
	s_cbranch_execz .LBB6_95
.LBB6_327:
	v_add_f32_e64 v3, 0x46000000, |v2|
	s_and_not1_b32 s18, s18, exec_lo
	s_delay_alu instid0(VALU_DEP_1) | instskip(NEXT) | instid1(VALU_DEP_1)
	v_and_b32_e32 v3, 0xff, v3
	v_cmp_ne_u32_e32 vcc_lo, 0, v3
	s_and_b32 s20, vcc_lo, exec_lo
	s_delay_alu instid0(SALU_CYCLE_1)
	s_or_b32 s18, s18, s20
	s_or_b32 exec_lo, exec_lo, s19
	v_mov_b32_e32 v6, 0
	s_and_saveexec_b32 s19, s18
	s_cbranch_execnz .LBB6_96
	s_branch .LBB6_97
.LBB6_328:
	s_mov_b32 s18, -1
	s_mov_b32 s16, 0
	s_mov_b32 s15, s13
	s_branch .LBB6_333
.LBB6_329:
	s_mov_b32 s20, -1
	s_mov_b32 s0, s11
	s_branch .LBB6_344
.LBB6_330:
	s_and_not1_saveexec_b32 s19, s19
	s_cbranch_execz .LBB6_108
.LBB6_331:
	v_add_f32_e64 v3, 0x42800000, |v2|
	s_and_not1_b32 s18, s18, exec_lo
	s_delay_alu instid0(VALU_DEP_1) | instskip(NEXT) | instid1(VALU_DEP_1)
	v_and_b32_e32 v3, 0xff, v3
	v_cmp_ne_u32_e32 vcc_lo, 0, v3
	s_and_b32 s20, vcc_lo, exec_lo
	s_delay_alu instid0(SALU_CYCLE_1)
	s_or_b32 s18, s18, s20
	s_or_b32 exec_lo, exec_lo, s19
	v_mov_b32_e32 v6, 0
	s_and_saveexec_b32 s19, s18
	s_cbranch_execnz .LBB6_109
	s_branch .LBB6_110
.LBB6_332:
	s_mov_b32 s15, -1
	s_mov_b32 s16, 0
.LBB6_333:
                                        ; implicit-def: $vgpr2_vgpr3
.LBB6_334:
	s_and_b32 vcc_lo, exec_lo, s18
	s_cbranch_vccz .LBB6_410
; %bb.335:
	s_cmp_eq_u32 s0, 44
	s_cbranch_scc0 .LBB6_409
; %bb.336:
	global_load_u8 v4, v[0:1], off
	s_mov_b32 s15, 0
	s_mov_b32 s16, -1
	s_wait_loadcnt 0x0
	v_cmp_ne_u32_e32 vcc_lo, 0xff, v4
	v_lshlrev_b32_e32 v2, 23, v4
	s_delay_alu instid0(VALU_DEP_1) | instskip(NEXT) | instid1(VALU_DEP_1)
	v_cvt_f64_f32_e32 v[2:3], v2
	v_cndmask_b32_e32 v2, 0x20000000, v2, vcc_lo
	s_delay_alu instid0(VALU_DEP_2) | instskip(SKIP_1) | instid1(VALU_DEP_2)
	v_cndmask_b32_e32 v3, 0x7ff80000, v3, vcc_lo
	v_cmp_ne_u32_e32 vcc_lo, 0, v4
	v_cndmask_b32_e32 v3, 0x38000000, v3, vcc_lo
	s_delay_alu instid0(VALU_DEP_4)
	v_cndmask_b32_e32 v2, 0, v2, vcc_lo
	s_branch .LBB6_410
.LBB6_337:
	s_mov_b32 s20, -1
	s_mov_b32 s0, s11
.LBB6_338:
	s_and_b32 vcc_lo, exec_lo, s20
	s_cbranch_vccz .LBB6_343
; %bb.339:
	s_cmp_eq_u32 s18, 44
	s_mov_b32 s0, -1
	s_cbranch_scc0 .LBB6_343
; %bb.340:
	s_wait_xcnt 0x0
	v_cvt_f32_f64_e32 v2, v[0:1]
	v_mov_b32_e32 v3, 0xff
	s_mov_b32 s19, exec_lo
	s_delay_alu instid0(VALU_DEP_2) | instskip(NEXT) | instid1(VALU_DEP_1)
	v_bfe_u32 v6, v2, 23, 8
	v_cmpx_ne_u32_e32 0xff, v6
	s_cbranch_execz .LBB6_342
; %bb.341:
	v_and_b32_e32 v3, 0x400000, v2
	v_and_or_b32 v6, 0x3fffff, v2, v6
	v_lshrrev_b32_e32 v2, 23, v2
	s_delay_alu instid0(VALU_DEP_3) | instskip(NEXT) | instid1(VALU_DEP_3)
	v_cmp_ne_u32_e32 vcc_lo, 0, v3
	v_cmp_ne_u32_e64 s0, 0, v6
	s_and_b32 s0, vcc_lo, s0
	s_delay_alu instid0(SALU_CYCLE_1) | instskip(NEXT) | instid1(VALU_DEP_1)
	v_cndmask_b32_e64 v3, 0, 1, s0
	v_add_nc_u32_e32 v3, v2, v3
.LBB6_342:
	s_or_b32 exec_lo, exec_lo, s19
	s_mov_b32 s19, -1
	s_mov_b32 s0, 0
	global_store_b8 v[4:5], v3, off
.LBB6_343:
	s_mov_b32 s20, 0
.LBB6_344:
	s_delay_alu instid0(SALU_CYCLE_1)
	s_and_b32 vcc_lo, exec_lo, s20
	s_cbranch_vccz .LBB6_347
; %bb.345:
	s_cmp_eq_u32 s18, 29
	s_mov_b32 s0, -1
	s_cbranch_scc0 .LBB6_347
; %bb.346:
	s_wait_xcnt 0x0
	v_trunc_f64_e32 v[2:3], v[0:1]
	s_mov_b32 s19, -1
	s_mov_b32 s0, 0
	s_mov_b32 s20, 0
	s_delay_alu instid0(VALU_DEP_1) | instskip(NEXT) | instid1(VALU_DEP_1)
	v_ldexp_f64 v[6:7], v[2:3], 0xffffffe0
	v_floor_f64_e32 v[6:7], v[6:7]
	s_delay_alu instid0(VALU_DEP_1) | instskip(SKIP_1) | instid1(VALU_DEP_2)
	v_fmamk_f64 v[2:3], v[6:7], 0xc1f00000, v[2:3]
	v_cvt_u32_f64_e32 v7, v[6:7]
	v_cvt_u32_f64_e32 v6, v[2:3]
	global_store_b64 v[4:5], v[6:7], off
	s_branch .LBB6_348
.LBB6_347:
	s_mov_b32 s20, 0
.LBB6_348:
	s_delay_alu instid0(SALU_CYCLE_1)
	s_and_b32 vcc_lo, exec_lo, s20
	s_cbranch_vccz .LBB6_364
; %bb.349:
	s_cmp_lt_i32 s18, 27
	s_mov_b32 s19, -1
	s_cbranch_scc1 .LBB6_355
; %bb.350:
	s_wait_xcnt 0x0
	v_cvt_u32_f64_e32 v2, v[0:1]
	s_cmp_gt_i32 s18, 27
	s_cbranch_scc0 .LBB6_352
; %bb.351:
	s_mov_b32 s19, 0
	global_store_b32 v[4:5], v2, off
.LBB6_352:
	s_and_not1_b32 vcc_lo, exec_lo, s19
	s_cbranch_vccnz .LBB6_354
; %bb.353:
	global_store_b16 v[4:5], v2, off
.LBB6_354:
	s_mov_b32 s19, 0
.LBB6_355:
	s_delay_alu instid0(SALU_CYCLE_1)
	s_and_not1_b32 vcc_lo, exec_lo, s19
	s_cbranch_vccnz .LBB6_363
; %bb.356:
	s_wait_xcnt 0x0
	v_cvt_f32_f64_e32 v2, v[0:1]
	v_mov_b32_e32 v6, 0x80
	s_mov_b32 s19, exec_lo
	s_delay_alu instid0(VALU_DEP_2) | instskip(NEXT) | instid1(VALU_DEP_1)
	v_and_b32_e32 v3, 0x7fffffff, v2
	v_cmpx_gt_u32_e32 0x43800000, v3
	s_cbranch_execz .LBB6_362
; %bb.357:
	v_cmp_lt_u32_e32 vcc_lo, 0x3bffffff, v3
	s_mov_b32 s20, 0
                                        ; implicit-def: $vgpr3
	s_and_saveexec_b32 s21, vcc_lo
	s_delay_alu instid0(SALU_CYCLE_1)
	s_xor_b32 s21, exec_lo, s21
	s_cbranch_execz .LBB6_535
; %bb.358:
	v_bfe_u32 v3, v2, 20, 1
	s_mov_b32 s20, exec_lo
	s_delay_alu instid0(VALU_DEP_1) | instskip(NEXT) | instid1(VALU_DEP_1)
	v_add3_u32 v3, v2, v3, 0x487ffff
	v_lshrrev_b32_e32 v3, 20, v3
	s_and_not1_saveexec_b32 s21, s21
	s_cbranch_execnz .LBB6_536
.LBB6_359:
	s_or_b32 exec_lo, exec_lo, s21
	v_mov_b32_e32 v6, 0
	s_and_saveexec_b32 s21, s20
.LBB6_360:
	v_lshrrev_b32_e32 v2, 24, v2
	s_delay_alu instid0(VALU_DEP_1)
	v_and_or_b32 v6, 0x80, v2, v3
.LBB6_361:
	s_or_b32 exec_lo, exec_lo, s21
.LBB6_362:
	s_delay_alu instid0(SALU_CYCLE_1)
	s_or_b32 exec_lo, exec_lo, s19
	global_store_b8 v[4:5], v6, off
.LBB6_363:
	s_mov_b32 s19, -1
.LBB6_364:
	s_mov_b32 s20, 0
.LBB6_365:
	s_delay_alu instid0(SALU_CYCLE_1)
	s_and_b32 vcc_lo, exec_lo, s20
	s_cbranch_vccz .LBB6_406
; %bb.366:
	s_cmp_gt_i32 s18, 22
	s_mov_b32 s20, -1
	s_cbranch_scc0 .LBB6_398
; %bb.367:
	s_cmp_lt_i32 s18, 24
	s_mov_b32 s19, -1
	s_cbranch_scc1 .LBB6_387
; %bb.368:
	s_cmp_gt_i32 s18, 24
	s_cbranch_scc0 .LBB6_376
; %bb.369:
	s_wait_xcnt 0x0
	v_cvt_f32_f64_e32 v2, v[0:1]
	v_mov_b32_e32 v6, 0x80
	s_mov_b32 s19, exec_lo
	s_delay_alu instid0(VALU_DEP_2) | instskip(NEXT) | instid1(VALU_DEP_1)
	v_and_b32_e32 v3, 0x7fffffff, v2
	v_cmpx_gt_u32_e32 0x47800000, v3
	s_cbranch_execz .LBB6_375
; %bb.370:
	v_cmp_lt_u32_e32 vcc_lo, 0x37ffffff, v3
	s_mov_b32 s20, 0
                                        ; implicit-def: $vgpr3
	s_and_saveexec_b32 s21, vcc_lo
	s_delay_alu instid0(SALU_CYCLE_1)
	s_xor_b32 s21, exec_lo, s21
	s_cbranch_execz .LBB6_538
; %bb.371:
	v_bfe_u32 v3, v2, 21, 1
	s_mov_b32 s20, exec_lo
	s_delay_alu instid0(VALU_DEP_1) | instskip(NEXT) | instid1(VALU_DEP_1)
	v_add3_u32 v3, v2, v3, 0x88fffff
	v_lshrrev_b32_e32 v3, 21, v3
	s_and_not1_saveexec_b32 s21, s21
	s_cbranch_execnz .LBB6_539
.LBB6_372:
	s_or_b32 exec_lo, exec_lo, s21
	v_mov_b32_e32 v6, 0
	s_and_saveexec_b32 s21, s20
.LBB6_373:
	v_lshrrev_b32_e32 v2, 24, v2
	s_delay_alu instid0(VALU_DEP_1)
	v_and_or_b32 v6, 0x80, v2, v3
.LBB6_374:
	s_or_b32 exec_lo, exec_lo, s21
.LBB6_375:
	s_delay_alu instid0(SALU_CYCLE_1)
	s_or_b32 exec_lo, exec_lo, s19
	s_mov_b32 s19, 0
	global_store_b8 v[4:5], v6, off
.LBB6_376:
	s_and_b32 vcc_lo, exec_lo, s19
	s_cbranch_vccz .LBB6_386
; %bb.377:
	s_wait_xcnt 0x0
	v_cvt_f32_f64_e32 v2, v[0:1]
	s_mov_b32 s19, exec_lo
                                        ; implicit-def: $vgpr3
	s_delay_alu instid0(VALU_DEP_1) | instskip(NEXT) | instid1(VALU_DEP_1)
	v_and_b32_e32 v6, 0x7fffffff, v2
	v_cmpx_gt_u32_e32 0x43f00000, v6
	s_xor_b32 s19, exec_lo, s19
	s_cbranch_execz .LBB6_383
; %bb.378:
	s_mov_b32 s20, exec_lo
                                        ; implicit-def: $vgpr3
	v_cmpx_lt_u32_e32 0x3c7fffff, v6
	s_xor_b32 s20, exec_lo, s20
; %bb.379:
	v_bfe_u32 v3, v2, 20, 1
	s_delay_alu instid0(VALU_DEP_1) | instskip(NEXT) | instid1(VALU_DEP_1)
	v_add3_u32 v3, v2, v3, 0x407ffff
	v_and_b32_e32 v6, 0xff00000, v3
	v_lshrrev_b32_e32 v3, 20, v3
	s_delay_alu instid0(VALU_DEP_2) | instskip(NEXT) | instid1(VALU_DEP_2)
	v_cmp_ne_u32_e32 vcc_lo, 0x7f00000, v6
	v_cndmask_b32_e32 v3, 0x7e, v3, vcc_lo
; %bb.380:
	s_and_not1_saveexec_b32 s20, s20
; %bb.381:
	v_add_f32_e64 v3, 0x46800000, |v2|
; %bb.382:
	s_or_b32 exec_lo, exec_lo, s20
                                        ; implicit-def: $vgpr6
.LBB6_383:
	s_and_not1_saveexec_b32 s19, s19
; %bb.384:
	v_mov_b32_e32 v3, 0x7f
	v_cmp_lt_u32_e32 vcc_lo, 0x7f800000, v6
	s_delay_alu instid0(VALU_DEP_2)
	v_cndmask_b32_e32 v3, 0x7e, v3, vcc_lo
; %bb.385:
	s_or_b32 exec_lo, exec_lo, s19
	v_lshrrev_b32_e32 v2, 24, v2
	s_delay_alu instid0(VALU_DEP_1)
	v_and_or_b32 v2, 0x80, v2, v3
	global_store_b8 v[4:5], v2, off
.LBB6_386:
	s_mov_b32 s19, 0
.LBB6_387:
	s_delay_alu instid0(SALU_CYCLE_1)
	s_and_not1_b32 vcc_lo, exec_lo, s19
	s_cbranch_vccnz .LBB6_397
; %bb.388:
	s_wait_xcnt 0x0
	v_cvt_f32_f64_e32 v2, v[0:1]
	s_mov_b32 s19, exec_lo
                                        ; implicit-def: $vgpr3
	s_delay_alu instid0(VALU_DEP_1) | instskip(NEXT) | instid1(VALU_DEP_1)
	v_and_b32_e32 v6, 0x7fffffff, v2
	v_cmpx_gt_u32_e32 0x47800000, v6
	s_xor_b32 s19, exec_lo, s19
	s_cbranch_execz .LBB6_394
; %bb.389:
	s_mov_b32 s20, exec_lo
                                        ; implicit-def: $vgpr3
	v_cmpx_lt_u32_e32 0x387fffff, v6
	s_xor_b32 s20, exec_lo, s20
; %bb.390:
	v_bfe_u32 v3, v2, 21, 1
	s_delay_alu instid0(VALU_DEP_1) | instskip(NEXT) | instid1(VALU_DEP_1)
	v_add3_u32 v3, v2, v3, 0x80fffff
	v_lshrrev_b32_e32 v3, 21, v3
; %bb.391:
	s_and_not1_saveexec_b32 s20, s20
; %bb.392:
	v_add_f32_e64 v3, 0x43000000, |v2|
; %bb.393:
	s_or_b32 exec_lo, exec_lo, s20
                                        ; implicit-def: $vgpr6
.LBB6_394:
	s_and_not1_saveexec_b32 s19, s19
; %bb.395:
	v_mov_b32_e32 v3, 0x7f
	v_cmp_lt_u32_e32 vcc_lo, 0x7f800000, v6
	s_delay_alu instid0(VALU_DEP_2)
	v_cndmask_b32_e32 v3, 0x7c, v3, vcc_lo
; %bb.396:
	s_or_b32 exec_lo, exec_lo, s19
	v_lshrrev_b32_e32 v2, 24, v2
	s_delay_alu instid0(VALU_DEP_1)
	v_and_or_b32 v2, 0x80, v2, v3
	global_store_b8 v[4:5], v2, off
.LBB6_397:
	s_mov_b32 s20, 0
	s_mov_b32 s19, -1
.LBB6_398:
	s_and_not1_b32 vcc_lo, exec_lo, s20
	s_cbranch_vccnz .LBB6_406
; %bb.399:
	s_cmp_gt_i32 s18, 14
	s_mov_b32 s20, -1
	s_cbranch_scc0 .LBB6_403
; %bb.400:
	s_cmp_eq_u32 s18, 15
	s_mov_b32 s0, -1
	s_cbranch_scc0 .LBB6_402
; %bb.401:
	s_wait_xcnt 0x0
	v_cvt_f32_f64_e32 v2, v[0:1]
	s_mov_b32 s19, -1
	s_mov_b32 s0, 0
	s_delay_alu instid0(VALU_DEP_1) | instskip(SKIP_1) | instid1(VALU_DEP_2)
	v_bfe_u32 v3, v2, 16, 1
	v_cmp_o_f32_e32 vcc_lo, v2, v2
	v_add3_u32 v3, v2, v3, 0x7fff
	s_delay_alu instid0(VALU_DEP_1) | instskip(NEXT) | instid1(VALU_DEP_1)
	v_lshrrev_b32_e32 v3, 16, v3
	v_cndmask_b32_e32 v2, 0x7fc0, v3, vcc_lo
	global_store_b16 v[4:5], v2, off
.LBB6_402:
	s_mov_b32 s20, 0
.LBB6_403:
	s_delay_alu instid0(SALU_CYCLE_1)
	s_and_b32 vcc_lo, exec_lo, s20
	s_cbranch_vccz .LBB6_406
; %bb.404:
	s_cmp_eq_u32 s18, 11
	s_mov_b32 s0, -1
	s_cbranch_scc0 .LBB6_406
; %bb.405:
	v_cmp_neq_f64_e32 vcc_lo, 0, v[0:1]
	s_mov_b32 s19, -1
	s_mov_b32 s0, 0
	s_wait_xcnt 0x0
	v_cndmask_b32_e64 v2, 0, 1, vcc_lo
	global_store_b8 v[4:5], v2, off
.LBB6_406:
.LBB6_407:
	s_and_not1_b32 vcc_lo, exec_lo, s19
	s_cbranch_vccnz .LBB6_320
.LBB6_408:
	v_add_nc_u32_e32 v24, 0x80, v24
	s_mov_b32 s18, -1
	s_branch .LBB6_521
.LBB6_409:
	s_mov_b32 s15, -1
                                        ; implicit-def: $vgpr2_vgpr3
.LBB6_410:
	s_mov_b32 s18, 0
.LBB6_411:
	s_delay_alu instid0(SALU_CYCLE_1)
	s_and_b32 vcc_lo, exec_lo, s18
	s_cbranch_vccz .LBB6_415
; %bb.412:
	s_cmp_eq_u32 s0, 29
	s_cbranch_scc0 .LBB6_414
; %bb.413:
	s_wait_loadcnt 0x0
	global_load_b64 v[2:3], v[0:1], off
	s_mov_b32 s16, -1
	s_mov_b32 s15, 0
	s_mov_b32 s18, 0
	s_wait_loadcnt 0x0
	v_cvt_f64_u32_e32 v[4:5], v3
	v_cvt_f64_u32_e32 v[2:3], v2
	s_delay_alu instid0(VALU_DEP_2) | instskip(NEXT) | instid1(VALU_DEP_1)
	v_ldexp_f64 v[4:5], v[4:5], 32
	v_add_f64_e32 v[2:3], v[4:5], v[2:3]
	s_branch .LBB6_416
.LBB6_414:
	s_mov_b32 s15, -1
                                        ; implicit-def: $vgpr2_vgpr3
.LBB6_415:
	s_mov_b32 s18, 0
.LBB6_416:
	s_delay_alu instid0(SALU_CYCLE_1)
	s_and_b32 vcc_lo, exec_lo, s18
	s_cbranch_vccz .LBB6_434
; %bb.417:
	s_cmp_lt_i32 s0, 27
	s_cbranch_scc1 .LBB6_420
; %bb.418:
	s_cmp_gt_i32 s0, 27
	s_cbranch_scc0 .LBB6_421
; %bb.419:
	s_wait_loadcnt 0x0
	global_load_b32 v2, v[0:1], off
	s_mov_b32 s16, 0
	s_wait_loadcnt 0x0
	v_cvt_f64_u32_e32 v[2:3], v2
	s_branch .LBB6_422
.LBB6_420:
	s_mov_b32 s16, -1
                                        ; implicit-def: $vgpr2_vgpr3
	s_branch .LBB6_425
.LBB6_421:
	s_mov_b32 s16, -1
                                        ; implicit-def: $vgpr2_vgpr3
.LBB6_422:
	s_delay_alu instid0(SALU_CYCLE_1)
	s_and_not1_b32 vcc_lo, exec_lo, s16
	s_cbranch_vccnz .LBB6_424
; %bb.423:
	s_wait_loadcnt 0x0
	global_load_u16 v2, v[0:1], off
	s_wait_loadcnt 0x0
	v_cvt_f64_u32_e32 v[2:3], v2
.LBB6_424:
	s_mov_b32 s16, 0
.LBB6_425:
	s_delay_alu instid0(SALU_CYCLE_1)
	s_and_not1_b32 vcc_lo, exec_lo, s16
	s_cbranch_vccnz .LBB6_433
; %bb.426:
	global_load_u8 v4, v[0:1], off
	s_mov_b32 s16, 0
	s_mov_b32 s18, exec_lo
	s_wait_loadcnt 0x0
	v_cmpx_lt_i16_e32 0x7f, v4
	s_xor_b32 s18, exec_lo, s18
	s_cbranch_execz .LBB6_447
; %bb.427:
	s_mov_b32 s16, -1
	s_mov_b32 s19, exec_lo
	v_cmpx_eq_u16_e32 0x80, v4
; %bb.428:
	s_xor_b32 s16, exec_lo, -1
; %bb.429:
	s_or_b32 exec_lo, exec_lo, s19
	s_delay_alu instid0(SALU_CYCLE_1)
	s_and_b32 s16, s16, exec_lo
	s_or_saveexec_b32 s18, s18
	v_mov_b64_e32 v[2:3], 0x7ff8000020000000
	s_xor_b32 exec_lo, exec_lo, s18
	s_cbranch_execnz .LBB6_448
.LBB6_430:
	s_or_b32 exec_lo, exec_lo, s18
	s_and_saveexec_b32 s18, s16
	s_cbranch_execz .LBB6_432
.LBB6_431:
	v_and_b32_e32 v2, 0xffff, v4
	s_delay_alu instid0(VALU_DEP_1) | instskip(SKIP_1) | instid1(VALU_DEP_2)
	v_and_b32_e32 v3, 7, v2
	v_bfe_u32 v7, v2, 3, 4
	v_clz_i32_u32_e32 v5, v3
	s_delay_alu instid0(VALU_DEP_2) | instskip(NEXT) | instid1(VALU_DEP_2)
	v_cmp_eq_u32_e32 vcc_lo, 0, v7
	v_min_u32_e32 v5, 32, v5
	s_delay_alu instid0(VALU_DEP_1) | instskip(NEXT) | instid1(VALU_DEP_1)
	v_subrev_nc_u32_e32 v6, 28, v5
	v_dual_lshlrev_b32 v2, v6, v2 :: v_dual_sub_nc_u32 v5, 29, v5
	s_delay_alu instid0(VALU_DEP_1) | instskip(NEXT) | instid1(VALU_DEP_2)
	v_dual_lshlrev_b32 v4, 24, v4 :: v_dual_bitop2_b32 v2, 7, v2 bitop3:0x40
	v_cndmask_b32_e32 v5, v7, v5, vcc_lo
	s_delay_alu instid0(VALU_DEP_2) | instskip(NEXT) | instid1(VALU_DEP_3)
	v_cndmask_b32_e32 v2, v3, v2, vcc_lo
	v_and_b32_e32 v3, 0x80000000, v4
	s_delay_alu instid0(VALU_DEP_3) | instskip(NEXT) | instid1(VALU_DEP_3)
	v_lshl_add_u32 v4, v5, 23, 0x3b800000
	v_lshlrev_b32_e32 v2, 20, v2
	s_delay_alu instid0(VALU_DEP_1) | instskip(NEXT) | instid1(VALU_DEP_1)
	v_or3_b32 v2, v3, v4, v2
	v_cvt_f64_f32_e32 v[2:3], v2
.LBB6_432:
	s_or_b32 exec_lo, exec_lo, s18
.LBB6_433:
	s_mov_b32 s16, -1
.LBB6_434:
	s_mov_b32 s18, 0
.LBB6_435:
	s_delay_alu instid0(SALU_CYCLE_1)
	s_and_b32 vcc_lo, exec_lo, s18
	s_cbranch_vccz .LBB6_470
; %bb.436:
	s_cmp_gt_i32 s0, 22
	s_cbranch_scc0 .LBB6_446
; %bb.437:
	s_cmp_lt_i32 s0, 24
	s_cbranch_scc1 .LBB6_449
; %bb.438:
	s_cmp_gt_i32 s0, 24
	s_cbranch_scc0 .LBB6_450
; %bb.439:
	global_load_u8 v4, v[0:1], off
	s_mov_b32 s16, 0
	s_mov_b32 s18, exec_lo
	s_wait_loadcnt 0x0
	v_cmpx_lt_i16_e32 0x7f, v4
	s_xor_b32 s18, exec_lo, s18
	s_cbranch_execz .LBB6_462
; %bb.440:
	s_mov_b32 s16, -1
	s_mov_b32 s19, exec_lo
	v_cmpx_eq_u16_e32 0x80, v4
; %bb.441:
	s_xor_b32 s16, exec_lo, -1
; %bb.442:
	s_or_b32 exec_lo, exec_lo, s19
	s_delay_alu instid0(SALU_CYCLE_1)
	s_and_b32 s16, s16, exec_lo
	s_or_saveexec_b32 s18, s18
	v_mov_b64_e32 v[2:3], 0x7ff8000020000000
	s_xor_b32 exec_lo, exec_lo, s18
	s_cbranch_execnz .LBB6_463
.LBB6_443:
	s_or_b32 exec_lo, exec_lo, s18
	s_and_saveexec_b32 s18, s16
	s_cbranch_execz .LBB6_445
.LBB6_444:
	v_and_b32_e32 v2, 0xffff, v4
	s_delay_alu instid0(VALU_DEP_1) | instskip(SKIP_1) | instid1(VALU_DEP_2)
	v_and_b32_e32 v3, 3, v2
	v_bfe_u32 v7, v2, 2, 5
	v_clz_i32_u32_e32 v5, v3
	s_delay_alu instid0(VALU_DEP_2) | instskip(NEXT) | instid1(VALU_DEP_2)
	v_cmp_eq_u32_e32 vcc_lo, 0, v7
	v_min_u32_e32 v5, 32, v5
	s_delay_alu instid0(VALU_DEP_1) | instskip(NEXT) | instid1(VALU_DEP_1)
	v_subrev_nc_u32_e32 v6, 29, v5
	v_dual_lshlrev_b32 v2, v6, v2 :: v_dual_sub_nc_u32 v5, 30, v5
	s_delay_alu instid0(VALU_DEP_1) | instskip(NEXT) | instid1(VALU_DEP_2)
	v_dual_lshlrev_b32 v4, 24, v4 :: v_dual_bitop2_b32 v2, 3, v2 bitop3:0x40
	v_cndmask_b32_e32 v5, v7, v5, vcc_lo
	s_delay_alu instid0(VALU_DEP_2) | instskip(NEXT) | instid1(VALU_DEP_3)
	v_cndmask_b32_e32 v2, v3, v2, vcc_lo
	v_and_b32_e32 v3, 0x80000000, v4
	s_delay_alu instid0(VALU_DEP_3) | instskip(NEXT) | instid1(VALU_DEP_3)
	v_lshl_add_u32 v4, v5, 23, 0x37800000
	v_lshlrev_b32_e32 v2, 21, v2
	s_delay_alu instid0(VALU_DEP_1) | instskip(NEXT) | instid1(VALU_DEP_1)
	v_or3_b32 v2, v3, v4, v2
	v_cvt_f64_f32_e32 v[2:3], v2
.LBB6_445:
	s_or_b32 exec_lo, exec_lo, s18
	s_mov_b32 s16, 0
	s_branch .LBB6_451
.LBB6_446:
	s_mov_b32 s18, -1
                                        ; implicit-def: $vgpr2_vgpr3
	s_branch .LBB6_457
.LBB6_447:
	s_or_saveexec_b32 s18, s18
	v_mov_b64_e32 v[2:3], 0x7ff8000020000000
	s_xor_b32 exec_lo, exec_lo, s18
	s_cbranch_execz .LBB6_430
.LBB6_448:
	v_cmp_ne_u16_e32 vcc_lo, 0, v4
	v_mov_b64_e32 v[2:3], 0
	s_and_not1_b32 s16, s16, exec_lo
	s_and_b32 s19, vcc_lo, exec_lo
	s_delay_alu instid0(SALU_CYCLE_1)
	s_or_b32 s16, s16, s19
	s_or_b32 exec_lo, exec_lo, s18
	s_and_saveexec_b32 s18, s16
	s_cbranch_execnz .LBB6_431
	s_branch .LBB6_432
.LBB6_449:
	s_mov_b32 s16, -1
                                        ; implicit-def: $vgpr2_vgpr3
	s_branch .LBB6_454
.LBB6_450:
	s_mov_b32 s16, -1
                                        ; implicit-def: $vgpr2_vgpr3
.LBB6_451:
	s_delay_alu instid0(SALU_CYCLE_1)
	s_and_b32 vcc_lo, exec_lo, s16
	s_cbranch_vccz .LBB6_453
; %bb.452:
	s_wait_loadcnt 0x0
	global_load_u8 v2, v[0:1], off
	s_wait_loadcnt 0x0
	v_lshlrev_b32_e32 v2, 24, v2
	s_delay_alu instid0(VALU_DEP_1) | instskip(NEXT) | instid1(VALU_DEP_1)
	v_and_b32_e32 v3, 0x7f000000, v2
	v_clz_i32_u32_e32 v4, v3
	v_cmp_ne_u32_e32 vcc_lo, 0, v3
	v_add_nc_u32_e32 v6, 0x1000000, v3
	s_delay_alu instid0(VALU_DEP_3) | instskip(NEXT) | instid1(VALU_DEP_1)
	v_min_u32_e32 v4, 32, v4
	v_sub_nc_u32_e64 v4, v4, 4 clamp
	s_delay_alu instid0(VALU_DEP_1) | instskip(NEXT) | instid1(VALU_DEP_1)
	v_dual_lshlrev_b32 v5, v4, v3 :: v_dual_lshlrev_b32 v4, 23, v4
	v_lshrrev_b32_e32 v5, 4, v5
	s_delay_alu instid0(VALU_DEP_1) | instskip(NEXT) | instid1(VALU_DEP_1)
	v_dual_sub_nc_u32 v4, v5, v4 :: v_dual_ashrrev_i32 v5, 8, v6
	v_add_nc_u32_e32 v4, 0x3c000000, v4
	s_delay_alu instid0(VALU_DEP_1) | instskip(NEXT) | instid1(VALU_DEP_1)
	v_and_or_b32 v4, 0x7f800000, v5, v4
	v_cndmask_b32_e32 v3, 0, v4, vcc_lo
	s_delay_alu instid0(VALU_DEP_1) | instskip(NEXT) | instid1(VALU_DEP_1)
	v_and_or_b32 v2, 0x80000000, v2, v3
	v_cvt_f64_f32_e32 v[2:3], v2
.LBB6_453:
	s_mov_b32 s16, 0
.LBB6_454:
	s_delay_alu instid0(SALU_CYCLE_1)
	s_and_not1_b32 vcc_lo, exec_lo, s16
	s_cbranch_vccnz .LBB6_456
; %bb.455:
	s_wait_loadcnt 0x0
	global_load_u8 v2, v[0:1], off
	s_wait_loadcnt 0x0
	v_lshlrev_b32_e32 v3, 25, v2
	v_lshlrev_b16 v2, 8, v2
	s_delay_alu instid0(VALU_DEP_1) | instskip(SKIP_1) | instid1(VALU_DEP_2)
	v_and_or_b32 v5, 0x7f00, v2, 0.5
	v_bfe_i32 v2, v2, 0, 16
	v_dual_add_f32 v5, -0.5, v5 :: v_dual_lshrrev_b32 v4, 4, v3
	v_cmp_gt_u32_e32 vcc_lo, 0x8000000, v3
	s_delay_alu instid0(VALU_DEP_2) | instskip(NEXT) | instid1(VALU_DEP_1)
	v_or_b32_e32 v4, 0x70000000, v4
	v_mul_f32_e32 v4, 0x7800000, v4
	s_delay_alu instid0(VALU_DEP_1) | instskip(NEXT) | instid1(VALU_DEP_1)
	v_cndmask_b32_e32 v3, v4, v5, vcc_lo
	v_and_or_b32 v2, 0x80000000, v2, v3
	s_delay_alu instid0(VALU_DEP_1)
	v_cvt_f64_f32_e32 v[2:3], v2
.LBB6_456:
	s_mov_b32 s18, 0
	s_mov_b32 s16, -1
.LBB6_457:
	s_and_not1_b32 vcc_lo, exec_lo, s18
	s_cbranch_vccnz .LBB6_470
; %bb.458:
	s_cmp_gt_i32 s0, 14
	s_cbranch_scc0 .LBB6_461
; %bb.459:
	s_cmp_eq_u32 s0, 15
	s_cbranch_scc0 .LBB6_464
; %bb.460:
	s_wait_loadcnt 0x0
	global_load_u16 v2, v[0:1], off
	s_mov_b32 s16, -1
	s_mov_b32 s15, 0
	s_wait_loadcnt 0x0
	v_lshlrev_b32_e32 v2, 16, v2
	s_delay_alu instid0(VALU_DEP_1)
	v_cvt_f64_f32_e32 v[2:3], v2
	s_branch .LBB6_465
.LBB6_461:
	s_mov_b32 s18, -1
                                        ; implicit-def: $vgpr2_vgpr3
	s_branch .LBB6_466
.LBB6_462:
	s_or_saveexec_b32 s18, s18
	v_mov_b64_e32 v[2:3], 0x7ff8000020000000
	s_xor_b32 exec_lo, exec_lo, s18
	s_cbranch_execz .LBB6_443
.LBB6_463:
	v_cmp_ne_u16_e32 vcc_lo, 0, v4
	v_mov_b64_e32 v[2:3], 0
	s_and_not1_b32 s16, s16, exec_lo
	s_and_b32 s19, vcc_lo, exec_lo
	s_delay_alu instid0(SALU_CYCLE_1)
	s_or_b32 s16, s16, s19
	s_or_b32 exec_lo, exec_lo, s18
	s_and_saveexec_b32 s18, s16
	s_cbranch_execnz .LBB6_444
	s_branch .LBB6_445
.LBB6_464:
	s_mov_b32 s15, -1
                                        ; implicit-def: $vgpr2_vgpr3
.LBB6_465:
	s_mov_b32 s18, 0
.LBB6_466:
	s_delay_alu instid0(SALU_CYCLE_1)
	s_and_b32 vcc_lo, exec_lo, s18
	s_cbranch_vccz .LBB6_470
; %bb.467:
	s_cmp_eq_u32 s0, 11
	s_cbranch_scc0 .LBB6_469
; %bb.468:
	s_wait_loadcnt 0x0
	global_load_u8 v2, v[0:1], off
	s_mov_b32 s15, 0
	s_mov_b32 s16, -1
	s_wait_loadcnt 0x0
	v_cmp_ne_u16_e32 vcc_lo, 0, v2
	v_mov_b32_e32 v2, 0
	v_cndmask_b32_e64 v3, 0, 0x3ff00000, vcc_lo
	s_branch .LBB6_470
.LBB6_469:
	s_mov_b32 s15, -1
                                        ; implicit-def: $vgpr2_vgpr3
.LBB6_470:
	s_branch .LBB6_269
.LBB6_471:
	s_cmp_lt_i32 s0, 5
	s_cbranch_scc1 .LBB6_476
; %bb.472:
	s_cmp_lt_i32 s0, 8
	s_cbranch_scc1 .LBB6_477
; %bb.473:
	;; [unrolled: 3-line block ×3, first 2 shown]
	s_cmp_gt_i32 s0, 9
	s_cbranch_scc0 .LBB6_479
; %bb.475:
	s_wait_loadcnt 0x0
	global_load_b64 v[2:3], v[0:1], off
	s_mov_b32 s16, 0
	s_branch .LBB6_480
.LBB6_476:
	s_mov_b32 s16, -1
                                        ; implicit-def: $vgpr2_vgpr3
	s_branch .LBB6_498
.LBB6_477:
	s_mov_b32 s16, -1
                                        ; implicit-def: $vgpr2_vgpr3
	s_branch .LBB6_486
.LBB6_478:
	s_mov_b32 s16, -1
                                        ; implicit-def: $vgpr2_vgpr3
	s_branch .LBB6_483
.LBB6_479:
	s_mov_b32 s16, -1
                                        ; implicit-def: $vgpr2_vgpr3
.LBB6_480:
	s_delay_alu instid0(SALU_CYCLE_1)
	s_and_not1_b32 vcc_lo, exec_lo, s16
	s_cbranch_vccnz .LBB6_482
; %bb.481:
	s_wait_loadcnt 0x0
	global_load_b32 v2, v[0:1], off
	s_wait_loadcnt 0x0
	v_cvt_f64_f32_e32 v[2:3], v2
.LBB6_482:
	s_mov_b32 s16, 0
.LBB6_483:
	s_delay_alu instid0(SALU_CYCLE_1)
	s_and_not1_b32 vcc_lo, exec_lo, s16
	s_cbranch_vccnz .LBB6_485
; %bb.484:
	s_wait_loadcnt 0x0
	global_load_b32 v2, v[0:1], off
	s_wait_loadcnt 0x0
	v_cvt_f32_f16_e32 v2, v2
	s_delay_alu instid0(VALU_DEP_1)
	v_cvt_f64_f32_e32 v[2:3], v2
.LBB6_485:
	s_mov_b32 s16, 0
.LBB6_486:
	s_delay_alu instid0(SALU_CYCLE_1)
	s_and_not1_b32 vcc_lo, exec_lo, s16
	s_cbranch_vccnz .LBB6_497
; %bb.487:
	s_cmp_lt_i32 s0, 6
	s_cbranch_scc1 .LBB6_490
; %bb.488:
	s_cmp_gt_i32 s0, 6
	s_cbranch_scc0 .LBB6_491
; %bb.489:
	s_wait_loadcnt 0x0
	global_load_b64 v[2:3], v[0:1], off
	s_mov_b32 s16, 0
	s_branch .LBB6_492
.LBB6_490:
	s_mov_b32 s16, -1
                                        ; implicit-def: $vgpr2_vgpr3
	s_branch .LBB6_495
.LBB6_491:
	s_mov_b32 s16, -1
                                        ; implicit-def: $vgpr2_vgpr3
.LBB6_492:
	s_delay_alu instid0(SALU_CYCLE_1)
	s_and_not1_b32 vcc_lo, exec_lo, s16
	s_cbranch_vccnz .LBB6_494
; %bb.493:
	s_wait_loadcnt 0x0
	global_load_b32 v2, v[0:1], off
	s_wait_loadcnt 0x0
	v_cvt_f64_f32_e32 v[2:3], v2
.LBB6_494:
	s_mov_b32 s16, 0
.LBB6_495:
	s_delay_alu instid0(SALU_CYCLE_1)
	s_and_not1_b32 vcc_lo, exec_lo, s16
	s_cbranch_vccnz .LBB6_497
; %bb.496:
	s_wait_loadcnt 0x0
	global_load_u16 v2, v[0:1], off
	s_wait_loadcnt 0x0
	v_cvt_f32_f16_e32 v2, v2
	s_delay_alu instid0(VALU_DEP_1)
	v_cvt_f64_f32_e32 v[2:3], v2
.LBB6_497:
	s_mov_b32 s16, 0
.LBB6_498:
	s_delay_alu instid0(SALU_CYCLE_1)
	s_and_not1_b32 vcc_lo, exec_lo, s16
	s_cbranch_vccnz .LBB6_518
; %bb.499:
	s_cmp_lt_i32 s0, 2
	s_cbranch_scc1 .LBB6_503
; %bb.500:
	s_cmp_lt_i32 s0, 3
	s_cbranch_scc1 .LBB6_504
; %bb.501:
	s_cmp_gt_i32 s0, 3
	s_cbranch_scc0 .LBB6_505
; %bb.502:
	s_wait_loadcnt 0x0
	global_load_b64 v[2:3], v[0:1], off
	s_mov_b32 s16, 0
	s_wait_loadcnt 0x0
	v_cvt_f64_i32_e32 v[4:5], v3
	v_cvt_f64_u32_e32 v[2:3], v2
	s_delay_alu instid0(VALU_DEP_2) | instskip(NEXT) | instid1(VALU_DEP_1)
	v_ldexp_f64 v[4:5], v[4:5], 32
	v_add_f64_e32 v[2:3], v[4:5], v[2:3]
	s_branch .LBB6_506
.LBB6_503:
	s_mov_b32 s16, -1
                                        ; implicit-def: $vgpr2_vgpr3
	s_branch .LBB6_512
.LBB6_504:
	s_mov_b32 s16, -1
                                        ; implicit-def: $vgpr2_vgpr3
	s_branch .LBB6_509
.LBB6_505:
	s_mov_b32 s16, -1
                                        ; implicit-def: $vgpr2_vgpr3
.LBB6_506:
	s_delay_alu instid0(SALU_CYCLE_1)
	s_and_not1_b32 vcc_lo, exec_lo, s16
	s_cbranch_vccnz .LBB6_508
; %bb.507:
	s_wait_loadcnt 0x0
	global_load_b32 v2, v[0:1], off
	s_wait_loadcnt 0x0
	v_cvt_f64_i32_e32 v[2:3], v2
.LBB6_508:
	s_mov_b32 s16, 0
.LBB6_509:
	s_delay_alu instid0(SALU_CYCLE_1)
	s_and_not1_b32 vcc_lo, exec_lo, s16
	s_cbranch_vccnz .LBB6_511
; %bb.510:
	s_wait_loadcnt 0x0
	global_load_i16 v2, v[0:1], off
	s_wait_loadcnt 0x0
	v_cvt_f64_i32_e32 v[2:3], v2
.LBB6_511:
	s_mov_b32 s16, 0
.LBB6_512:
	s_delay_alu instid0(SALU_CYCLE_1)
	s_and_not1_b32 vcc_lo, exec_lo, s16
	s_cbranch_vccnz .LBB6_518
; %bb.513:
	s_cmp_gt_i32 s0, 0
	s_mov_b32 s0, 0
	s_cbranch_scc0 .LBB6_515
; %bb.514:
	s_wait_loadcnt 0x0
	global_load_i8 v2, v[0:1], off
	s_wait_loadcnt 0x0
	v_cvt_f64_i32_e32 v[2:3], v2
	s_branch .LBB6_516
.LBB6_515:
	s_mov_b32 s0, -1
                                        ; implicit-def: $vgpr2_vgpr3
.LBB6_516:
	s_delay_alu instid0(SALU_CYCLE_1)
	s_and_not1_b32 vcc_lo, exec_lo, s0
	s_cbranch_vccnz .LBB6_518
; %bb.517:
	global_load_u8 v0, v[0:1], off
	s_wait_loadcnt 0x0
	v_cvt_f64_u32_e32 v[2:3], v0
.LBB6_518:
	s_branch .LBB6_270
.LBB6_519:
	s_mov_b32 s18, 0
	s_mov_b32 s0, s11
.LBB6_520:
                                        ; implicit-def: $vgpr24
.LBB6_521:
	s_and_not1_b32 s16, s11, exec_lo
	s_and_b32 s0, s0, exec_lo
	s_and_not1_b32 s19, s13, exec_lo
	s_and_b32 s15, s15, exec_lo
	s_or_b32 s16, s16, s0
	s_or_b32 s15, s19, s15
	s_or_not1_b32 s0, s18, exec_lo
.LBB6_522:
	s_wait_xcnt 0x0
	s_or_b32 exec_lo, exec_lo, s17
	s_mov_b32 s18, 0
	s_mov_b32 s19, 0
	s_mov_b32 s20, 0
                                        ; implicit-def: $vgpr0_vgpr1
                                        ; implicit-def: $vgpr2_vgpr3
	s_and_saveexec_b32 s17, s0
	s_cbranch_execz .LBB6_872
; %bb.523:
	s_mov_b32 s20, -1
	s_mov_b32 s0, s15
	s_mov_b32 s19, s16
	s_mov_b32 s18, exec_lo
	v_cmpx_gt_i32_e64 s12, v24
	s_cbranch_execz .LBB6_786
; %bb.524:
	v_mul_lo_u32 v0, v24, s3
	s_and_b32 s0, 0xffff, s9
	s_delay_alu instid0(SALU_CYCLE_1) | instskip(NEXT) | instid1(VALU_DEP_1)
	s_cmp_lt_i32 s0, 11
	v_ashrrev_i32_e32 v1, 31, v0
	s_delay_alu instid0(VALU_DEP_1)
	v_add_nc_u64_e32 v[0:1], s[6:7], v[0:1]
	s_cbranch_scc1 .LBB6_531
; %bb.525:
	s_cmp_gt_i32 s0, 25
	s_cbranch_scc0 .LBB6_532
; %bb.526:
	s_cmp_gt_i32 s0, 28
	s_cbranch_scc0 .LBB6_533
	;; [unrolled: 3-line block ×4, first 2 shown]
; %bb.529:
	s_cmp_eq_u32 s0, 46
	s_mov_b32 s21, 0
	s_cbranch_scc0 .LBB6_540
; %bb.530:
	s_wait_loadcnt 0x0
	global_load_b32 v2, v[0:1], off
	s_mov_b32 s19, 0
	s_wait_loadcnt 0x0
	v_lshlrev_b32_e32 v2, 16, v2
	s_delay_alu instid0(VALU_DEP_1)
	v_cvt_f64_f32_e32 v[2:3], v2
	s_branch .LBB6_542
.LBB6_531:
	s_mov_b32 s21, -1
	s_mov_b32 s20, 0
	s_mov_b32 s19, s15
                                        ; implicit-def: $vgpr2_vgpr3
	s_branch .LBB6_607
.LBB6_532:
	s_mov_b32 s21, -1
	s_mov_b32 s20, 0
	s_mov_b32 s19, s15
                                        ; implicit-def: $vgpr2_vgpr3
	s_branch .LBB6_571
.LBB6_533:
	s_mov_b32 s21, -1
	s_mov_b32 s20, 0
	s_mov_b32 s19, s15
                                        ; implicit-def: $vgpr2_vgpr3
	s_branch .LBB6_552
.LBB6_534:
	s_mov_b32 s21, -1
	s_mov_b32 s20, 0
	s_mov_b32 s19, s15
                                        ; implicit-def: $vgpr2_vgpr3
	s_branch .LBB6_547
.LBB6_535:
	s_and_not1_saveexec_b32 s21, s21
	s_cbranch_execz .LBB6_359
.LBB6_536:
	v_add_f32_e64 v3, 0x46000000, |v2|
	s_and_not1_b32 s20, s20, exec_lo
	s_delay_alu instid0(VALU_DEP_1) | instskip(NEXT) | instid1(VALU_DEP_1)
	v_and_b32_e32 v3, 0xff, v3
	v_cmp_ne_u32_e32 vcc_lo, 0, v3
	s_and_b32 s22, vcc_lo, exec_lo
	s_delay_alu instid0(SALU_CYCLE_1)
	s_or_b32 s20, s20, s22
	s_or_b32 exec_lo, exec_lo, s21
	v_mov_b32_e32 v6, 0
	s_and_saveexec_b32 s21, s20
	s_cbranch_execnz .LBB6_360
	s_branch .LBB6_361
.LBB6_537:
	s_mov_b32 s21, -1
	s_mov_b32 s20, 0
	s_mov_b32 s19, s15
	s_branch .LBB6_541
.LBB6_538:
	s_and_not1_saveexec_b32 s21, s21
	s_cbranch_execz .LBB6_372
.LBB6_539:
	v_add_f32_e64 v3, 0x42800000, |v2|
	s_and_not1_b32 s20, s20, exec_lo
	s_delay_alu instid0(VALU_DEP_1) | instskip(NEXT) | instid1(VALU_DEP_1)
	v_and_b32_e32 v3, 0xff, v3
	v_cmp_ne_u32_e32 vcc_lo, 0, v3
	s_and_b32 s22, vcc_lo, exec_lo
	s_delay_alu instid0(SALU_CYCLE_1)
	s_or_b32 s20, s20, s22
	s_or_b32 exec_lo, exec_lo, s21
	v_mov_b32_e32 v6, 0
	s_and_saveexec_b32 s21, s20
	s_cbranch_execnz .LBB6_373
	s_branch .LBB6_374
.LBB6_540:
	s_mov_b32 s19, -1
	s_mov_b32 s20, 0
.LBB6_541:
                                        ; implicit-def: $vgpr2_vgpr3
.LBB6_542:
	s_and_b32 vcc_lo, exec_lo, s21
	s_cbranch_vccz .LBB6_546
; %bb.543:
	s_cmp_eq_u32 s0, 44
	s_cbranch_scc0 .LBB6_545
; %bb.544:
	global_load_u8 v4, v[0:1], off
	s_mov_b32 s19, 0
	s_mov_b32 s20, -1
	s_wait_loadcnt 0x0
	v_cmp_ne_u32_e32 vcc_lo, 0xff, v4
	v_lshlrev_b32_e32 v2, 23, v4
	s_delay_alu instid0(VALU_DEP_1) | instskip(NEXT) | instid1(VALU_DEP_1)
	v_cvt_f64_f32_e32 v[2:3], v2
	v_cndmask_b32_e32 v2, 0x20000000, v2, vcc_lo
	s_delay_alu instid0(VALU_DEP_2) | instskip(SKIP_1) | instid1(VALU_DEP_2)
	v_cndmask_b32_e32 v3, 0x7ff80000, v3, vcc_lo
	v_cmp_ne_u32_e32 vcc_lo, 0, v4
	v_cndmask_b32_e32 v3, 0x38000000, v3, vcc_lo
	s_delay_alu instid0(VALU_DEP_4)
	v_cndmask_b32_e32 v2, 0, v2, vcc_lo
	s_branch .LBB6_546
.LBB6_545:
	s_mov_b32 s19, -1
                                        ; implicit-def: $vgpr2_vgpr3
.LBB6_546:
	s_mov_b32 s21, 0
.LBB6_547:
	s_delay_alu instid0(SALU_CYCLE_1)
	s_and_b32 vcc_lo, exec_lo, s21
	s_cbranch_vccz .LBB6_551
; %bb.548:
	s_cmp_eq_u32 s0, 29
	s_cbranch_scc0 .LBB6_550
; %bb.549:
	s_wait_loadcnt 0x0
	global_load_b64 v[2:3], v[0:1], off
	s_mov_b32 s20, -1
	s_mov_b32 s19, 0
	s_mov_b32 s21, 0
	s_wait_loadcnt 0x0
	v_cvt_f64_u32_e32 v[4:5], v3
	v_cvt_f64_u32_e32 v[2:3], v2
	s_delay_alu instid0(VALU_DEP_2) | instskip(NEXT) | instid1(VALU_DEP_1)
	v_ldexp_f64 v[4:5], v[4:5], 32
	v_add_f64_e32 v[2:3], v[4:5], v[2:3]
	s_branch .LBB6_552
.LBB6_550:
	s_mov_b32 s19, -1
                                        ; implicit-def: $vgpr2_vgpr3
.LBB6_551:
	s_mov_b32 s21, 0
.LBB6_552:
	s_delay_alu instid0(SALU_CYCLE_1)
	s_and_b32 vcc_lo, exec_lo, s21
	s_cbranch_vccz .LBB6_570
; %bb.553:
	s_cmp_lt_i32 s0, 27
	s_cbranch_scc1 .LBB6_556
; %bb.554:
	s_cmp_gt_i32 s0, 27
	s_cbranch_scc0 .LBB6_557
; %bb.555:
	s_wait_loadcnt 0x0
	global_load_b32 v2, v[0:1], off
	s_mov_b32 s20, 0
	s_wait_loadcnt 0x0
	v_cvt_f64_u32_e32 v[2:3], v2
	s_branch .LBB6_558
.LBB6_556:
	s_mov_b32 s20, -1
                                        ; implicit-def: $vgpr2_vgpr3
	s_branch .LBB6_561
.LBB6_557:
	s_mov_b32 s20, -1
                                        ; implicit-def: $vgpr2_vgpr3
.LBB6_558:
	s_delay_alu instid0(SALU_CYCLE_1)
	s_and_not1_b32 vcc_lo, exec_lo, s20
	s_cbranch_vccnz .LBB6_560
; %bb.559:
	s_wait_loadcnt 0x0
	global_load_u16 v2, v[0:1], off
	s_wait_loadcnt 0x0
	v_cvt_f64_u32_e32 v[2:3], v2
.LBB6_560:
	s_mov_b32 s20, 0
.LBB6_561:
	s_delay_alu instid0(SALU_CYCLE_1)
	s_and_not1_b32 vcc_lo, exec_lo, s20
	s_cbranch_vccnz .LBB6_569
; %bb.562:
	global_load_u8 v4, v[0:1], off
	s_mov_b32 s20, 0
	s_mov_b32 s21, exec_lo
	s_wait_loadcnt 0x0
	v_cmpx_lt_i16_e32 0x7f, v4
	s_xor_b32 s21, exec_lo, s21
	s_cbranch_execz .LBB6_583
; %bb.563:
	s_mov_b32 s20, -1
	s_mov_b32 s22, exec_lo
	v_cmpx_eq_u16_e32 0x80, v4
; %bb.564:
	s_xor_b32 s20, exec_lo, -1
; %bb.565:
	s_or_b32 exec_lo, exec_lo, s22
	s_delay_alu instid0(SALU_CYCLE_1)
	s_and_b32 s20, s20, exec_lo
	s_or_saveexec_b32 s21, s21
	v_mov_b64_e32 v[2:3], 0x7ff8000020000000
	s_xor_b32 exec_lo, exec_lo, s21
	s_cbranch_execnz .LBB6_584
.LBB6_566:
	s_or_b32 exec_lo, exec_lo, s21
	s_and_saveexec_b32 s21, s20
	s_cbranch_execz .LBB6_568
.LBB6_567:
	v_and_b32_e32 v2, 0xffff, v4
	s_delay_alu instid0(VALU_DEP_1) | instskip(SKIP_1) | instid1(VALU_DEP_2)
	v_and_b32_e32 v3, 7, v2
	v_bfe_u32 v7, v2, 3, 4
	v_clz_i32_u32_e32 v5, v3
	s_delay_alu instid0(VALU_DEP_2) | instskip(NEXT) | instid1(VALU_DEP_2)
	v_cmp_eq_u32_e32 vcc_lo, 0, v7
	v_min_u32_e32 v5, 32, v5
	s_delay_alu instid0(VALU_DEP_1) | instskip(NEXT) | instid1(VALU_DEP_1)
	v_subrev_nc_u32_e32 v6, 28, v5
	v_dual_lshlrev_b32 v2, v6, v2 :: v_dual_sub_nc_u32 v5, 29, v5
	s_delay_alu instid0(VALU_DEP_1) | instskip(NEXT) | instid1(VALU_DEP_2)
	v_dual_lshlrev_b32 v4, 24, v4 :: v_dual_bitop2_b32 v2, 7, v2 bitop3:0x40
	v_cndmask_b32_e32 v5, v7, v5, vcc_lo
	s_delay_alu instid0(VALU_DEP_2) | instskip(NEXT) | instid1(VALU_DEP_3)
	v_cndmask_b32_e32 v2, v3, v2, vcc_lo
	v_and_b32_e32 v3, 0x80000000, v4
	s_delay_alu instid0(VALU_DEP_3) | instskip(NEXT) | instid1(VALU_DEP_3)
	v_lshl_add_u32 v4, v5, 23, 0x3b800000
	v_lshlrev_b32_e32 v2, 20, v2
	s_delay_alu instid0(VALU_DEP_1) | instskip(NEXT) | instid1(VALU_DEP_1)
	v_or3_b32 v2, v3, v4, v2
	v_cvt_f64_f32_e32 v[2:3], v2
.LBB6_568:
	s_or_b32 exec_lo, exec_lo, s21
.LBB6_569:
	s_mov_b32 s20, -1
.LBB6_570:
	s_mov_b32 s21, 0
.LBB6_571:
	s_delay_alu instid0(SALU_CYCLE_1)
	s_and_b32 vcc_lo, exec_lo, s21
	s_cbranch_vccz .LBB6_606
; %bb.572:
	s_cmp_gt_i32 s0, 22
	s_cbranch_scc0 .LBB6_582
; %bb.573:
	s_cmp_lt_i32 s0, 24
	s_cbranch_scc1 .LBB6_585
; %bb.574:
	s_cmp_gt_i32 s0, 24
	s_cbranch_scc0 .LBB6_586
; %bb.575:
	global_load_u8 v4, v[0:1], off
	s_mov_b32 s20, 0
	s_mov_b32 s21, exec_lo
	s_wait_loadcnt 0x0
	v_cmpx_lt_i16_e32 0x7f, v4
	s_xor_b32 s21, exec_lo, s21
	s_cbranch_execz .LBB6_598
; %bb.576:
	s_mov_b32 s20, -1
	s_mov_b32 s22, exec_lo
	v_cmpx_eq_u16_e32 0x80, v4
; %bb.577:
	s_xor_b32 s20, exec_lo, -1
; %bb.578:
	s_or_b32 exec_lo, exec_lo, s22
	s_delay_alu instid0(SALU_CYCLE_1)
	s_and_b32 s20, s20, exec_lo
	s_or_saveexec_b32 s21, s21
	v_mov_b64_e32 v[2:3], 0x7ff8000020000000
	s_xor_b32 exec_lo, exec_lo, s21
	s_cbranch_execnz .LBB6_599
.LBB6_579:
	s_or_b32 exec_lo, exec_lo, s21
	s_and_saveexec_b32 s21, s20
	s_cbranch_execz .LBB6_581
.LBB6_580:
	v_and_b32_e32 v2, 0xffff, v4
	s_delay_alu instid0(VALU_DEP_1) | instskip(SKIP_1) | instid1(VALU_DEP_2)
	v_and_b32_e32 v3, 3, v2
	v_bfe_u32 v7, v2, 2, 5
	v_clz_i32_u32_e32 v5, v3
	s_delay_alu instid0(VALU_DEP_2) | instskip(NEXT) | instid1(VALU_DEP_2)
	v_cmp_eq_u32_e32 vcc_lo, 0, v7
	v_min_u32_e32 v5, 32, v5
	s_delay_alu instid0(VALU_DEP_1) | instskip(NEXT) | instid1(VALU_DEP_1)
	v_subrev_nc_u32_e32 v6, 29, v5
	v_dual_lshlrev_b32 v2, v6, v2 :: v_dual_sub_nc_u32 v5, 30, v5
	s_delay_alu instid0(VALU_DEP_1) | instskip(NEXT) | instid1(VALU_DEP_2)
	v_dual_lshlrev_b32 v4, 24, v4 :: v_dual_bitop2_b32 v2, 3, v2 bitop3:0x40
	v_cndmask_b32_e32 v5, v7, v5, vcc_lo
	s_delay_alu instid0(VALU_DEP_2) | instskip(NEXT) | instid1(VALU_DEP_3)
	v_cndmask_b32_e32 v2, v3, v2, vcc_lo
	v_and_b32_e32 v3, 0x80000000, v4
	s_delay_alu instid0(VALU_DEP_3) | instskip(NEXT) | instid1(VALU_DEP_3)
	v_lshl_add_u32 v4, v5, 23, 0x37800000
	v_lshlrev_b32_e32 v2, 21, v2
	s_delay_alu instid0(VALU_DEP_1) | instskip(NEXT) | instid1(VALU_DEP_1)
	v_or3_b32 v2, v3, v4, v2
	v_cvt_f64_f32_e32 v[2:3], v2
.LBB6_581:
	s_or_b32 exec_lo, exec_lo, s21
	s_mov_b32 s20, 0
	s_branch .LBB6_587
.LBB6_582:
	s_mov_b32 s21, -1
                                        ; implicit-def: $vgpr2_vgpr3
	s_branch .LBB6_593
.LBB6_583:
	s_or_saveexec_b32 s21, s21
	v_mov_b64_e32 v[2:3], 0x7ff8000020000000
	s_xor_b32 exec_lo, exec_lo, s21
	s_cbranch_execz .LBB6_566
.LBB6_584:
	v_cmp_ne_u16_e32 vcc_lo, 0, v4
	v_mov_b64_e32 v[2:3], 0
	s_and_not1_b32 s20, s20, exec_lo
	s_and_b32 s22, vcc_lo, exec_lo
	s_delay_alu instid0(SALU_CYCLE_1)
	s_or_b32 s20, s20, s22
	s_or_b32 exec_lo, exec_lo, s21
	s_and_saveexec_b32 s21, s20
	s_cbranch_execnz .LBB6_567
	s_branch .LBB6_568
.LBB6_585:
	s_mov_b32 s20, -1
                                        ; implicit-def: $vgpr2_vgpr3
	s_branch .LBB6_590
.LBB6_586:
	s_mov_b32 s20, -1
                                        ; implicit-def: $vgpr2_vgpr3
.LBB6_587:
	s_delay_alu instid0(SALU_CYCLE_1)
	s_and_b32 vcc_lo, exec_lo, s20
	s_cbranch_vccz .LBB6_589
; %bb.588:
	s_wait_loadcnt 0x0
	global_load_u8 v2, v[0:1], off
	s_wait_loadcnt 0x0
	v_lshlrev_b32_e32 v2, 24, v2
	s_delay_alu instid0(VALU_DEP_1) | instskip(NEXT) | instid1(VALU_DEP_1)
	v_and_b32_e32 v3, 0x7f000000, v2
	v_clz_i32_u32_e32 v4, v3
	v_cmp_ne_u32_e32 vcc_lo, 0, v3
	v_add_nc_u32_e32 v6, 0x1000000, v3
	s_delay_alu instid0(VALU_DEP_3) | instskip(NEXT) | instid1(VALU_DEP_1)
	v_min_u32_e32 v4, 32, v4
	v_sub_nc_u32_e64 v4, v4, 4 clamp
	s_delay_alu instid0(VALU_DEP_1) | instskip(NEXT) | instid1(VALU_DEP_1)
	v_dual_lshlrev_b32 v5, v4, v3 :: v_dual_lshlrev_b32 v4, 23, v4
	v_lshrrev_b32_e32 v5, 4, v5
	s_delay_alu instid0(VALU_DEP_1) | instskip(NEXT) | instid1(VALU_DEP_1)
	v_dual_sub_nc_u32 v4, v5, v4 :: v_dual_ashrrev_i32 v5, 8, v6
	v_add_nc_u32_e32 v4, 0x3c000000, v4
	s_delay_alu instid0(VALU_DEP_1) | instskip(NEXT) | instid1(VALU_DEP_1)
	v_and_or_b32 v4, 0x7f800000, v5, v4
	v_cndmask_b32_e32 v3, 0, v4, vcc_lo
	s_delay_alu instid0(VALU_DEP_1) | instskip(NEXT) | instid1(VALU_DEP_1)
	v_and_or_b32 v2, 0x80000000, v2, v3
	v_cvt_f64_f32_e32 v[2:3], v2
.LBB6_589:
	s_mov_b32 s20, 0
.LBB6_590:
	s_delay_alu instid0(SALU_CYCLE_1)
	s_and_not1_b32 vcc_lo, exec_lo, s20
	s_cbranch_vccnz .LBB6_592
; %bb.591:
	s_wait_loadcnt 0x0
	global_load_u8 v2, v[0:1], off
	s_wait_loadcnt 0x0
	v_lshlrev_b32_e32 v3, 25, v2
	v_lshlrev_b16 v2, 8, v2
	s_delay_alu instid0(VALU_DEP_1) | instskip(SKIP_1) | instid1(VALU_DEP_2)
	v_and_or_b32 v5, 0x7f00, v2, 0.5
	v_bfe_i32 v2, v2, 0, 16
	v_dual_add_f32 v5, -0.5, v5 :: v_dual_lshrrev_b32 v4, 4, v3
	v_cmp_gt_u32_e32 vcc_lo, 0x8000000, v3
	s_delay_alu instid0(VALU_DEP_2) | instskip(NEXT) | instid1(VALU_DEP_1)
	v_or_b32_e32 v4, 0x70000000, v4
	v_mul_f32_e32 v4, 0x7800000, v4
	s_delay_alu instid0(VALU_DEP_1) | instskip(NEXT) | instid1(VALU_DEP_1)
	v_cndmask_b32_e32 v3, v4, v5, vcc_lo
	v_and_or_b32 v2, 0x80000000, v2, v3
	s_delay_alu instid0(VALU_DEP_1)
	v_cvt_f64_f32_e32 v[2:3], v2
.LBB6_592:
	s_mov_b32 s21, 0
	s_mov_b32 s20, -1
.LBB6_593:
	s_and_not1_b32 vcc_lo, exec_lo, s21
	s_cbranch_vccnz .LBB6_606
; %bb.594:
	s_cmp_gt_i32 s0, 14
	s_cbranch_scc0 .LBB6_597
; %bb.595:
	s_cmp_eq_u32 s0, 15
	s_cbranch_scc0 .LBB6_600
; %bb.596:
	s_wait_loadcnt 0x0
	global_load_u16 v2, v[0:1], off
	s_mov_b32 s20, -1
	s_mov_b32 s19, 0
	s_wait_loadcnt 0x0
	v_lshlrev_b32_e32 v2, 16, v2
	s_delay_alu instid0(VALU_DEP_1)
	v_cvt_f64_f32_e32 v[2:3], v2
	s_branch .LBB6_601
.LBB6_597:
	s_mov_b32 s21, -1
                                        ; implicit-def: $vgpr2_vgpr3
	s_branch .LBB6_602
.LBB6_598:
	s_or_saveexec_b32 s21, s21
	v_mov_b64_e32 v[2:3], 0x7ff8000020000000
	s_xor_b32 exec_lo, exec_lo, s21
	s_cbranch_execz .LBB6_579
.LBB6_599:
	v_cmp_ne_u16_e32 vcc_lo, 0, v4
	v_mov_b64_e32 v[2:3], 0
	s_and_not1_b32 s20, s20, exec_lo
	s_and_b32 s22, vcc_lo, exec_lo
	s_delay_alu instid0(SALU_CYCLE_1)
	s_or_b32 s20, s20, s22
	s_or_b32 exec_lo, exec_lo, s21
	s_and_saveexec_b32 s21, s20
	s_cbranch_execnz .LBB6_580
	s_branch .LBB6_581
.LBB6_600:
	s_mov_b32 s19, -1
                                        ; implicit-def: $vgpr2_vgpr3
.LBB6_601:
	s_mov_b32 s21, 0
.LBB6_602:
	s_delay_alu instid0(SALU_CYCLE_1)
	s_and_b32 vcc_lo, exec_lo, s21
	s_cbranch_vccz .LBB6_606
; %bb.603:
	s_cmp_eq_u32 s0, 11
	s_cbranch_scc0 .LBB6_605
; %bb.604:
	s_wait_loadcnt 0x0
	global_load_u8 v2, v[0:1], off
	s_mov_b32 s19, 0
	s_mov_b32 s20, -1
	s_wait_loadcnt 0x0
	v_cmp_ne_u16_e32 vcc_lo, 0, v2
	v_mov_b32_e32 v2, 0
	v_cndmask_b32_e64 v3, 0, 0x3ff00000, vcc_lo
	s_branch .LBB6_606
.LBB6_605:
	s_mov_b32 s19, -1
                                        ; implicit-def: $vgpr2_vgpr3
.LBB6_606:
	s_mov_b32 s21, 0
.LBB6_607:
	s_delay_alu instid0(SALU_CYCLE_1)
	s_and_b32 vcc_lo, exec_lo, s21
	s_cbranch_vccz .LBB6_656
; %bb.608:
	s_cmp_lt_i32 s0, 5
	s_cbranch_scc1 .LBB6_613
; %bb.609:
	s_cmp_lt_i32 s0, 8
	s_cbranch_scc1 .LBB6_614
	;; [unrolled: 3-line block ×3, first 2 shown]
; %bb.611:
	s_cmp_gt_i32 s0, 9
	s_cbranch_scc0 .LBB6_616
; %bb.612:
	s_wait_loadcnt 0x0
	global_load_b64 v[2:3], v[0:1], off
	s_mov_b32 s20, 0
	s_branch .LBB6_617
.LBB6_613:
	s_mov_b32 s20, -1
                                        ; implicit-def: $vgpr2_vgpr3
	s_branch .LBB6_635
.LBB6_614:
	s_mov_b32 s20, -1
                                        ; implicit-def: $vgpr2_vgpr3
	s_branch .LBB6_623
.LBB6_615:
	s_mov_b32 s20, -1
                                        ; implicit-def: $vgpr2_vgpr3
	s_branch .LBB6_620
.LBB6_616:
	s_mov_b32 s20, -1
                                        ; implicit-def: $vgpr2_vgpr3
.LBB6_617:
	s_delay_alu instid0(SALU_CYCLE_1)
	s_and_not1_b32 vcc_lo, exec_lo, s20
	s_cbranch_vccnz .LBB6_619
; %bb.618:
	s_wait_loadcnt 0x0
	global_load_b32 v2, v[0:1], off
	s_wait_loadcnt 0x0
	v_cvt_f64_f32_e32 v[2:3], v2
.LBB6_619:
	s_mov_b32 s20, 0
.LBB6_620:
	s_delay_alu instid0(SALU_CYCLE_1)
	s_and_not1_b32 vcc_lo, exec_lo, s20
	s_cbranch_vccnz .LBB6_622
; %bb.621:
	s_wait_loadcnt 0x0
	global_load_b32 v2, v[0:1], off
	s_wait_loadcnt 0x0
	v_cvt_f32_f16_e32 v2, v2
	s_delay_alu instid0(VALU_DEP_1)
	v_cvt_f64_f32_e32 v[2:3], v2
.LBB6_622:
	s_mov_b32 s20, 0
.LBB6_623:
	s_delay_alu instid0(SALU_CYCLE_1)
	s_and_not1_b32 vcc_lo, exec_lo, s20
	s_cbranch_vccnz .LBB6_634
; %bb.624:
	s_cmp_lt_i32 s0, 6
	s_cbranch_scc1 .LBB6_627
; %bb.625:
	s_cmp_gt_i32 s0, 6
	s_cbranch_scc0 .LBB6_628
; %bb.626:
	s_wait_loadcnt 0x0
	global_load_b64 v[2:3], v[0:1], off
	s_mov_b32 s20, 0
	s_branch .LBB6_629
.LBB6_627:
	s_mov_b32 s20, -1
                                        ; implicit-def: $vgpr2_vgpr3
	s_branch .LBB6_632
.LBB6_628:
	s_mov_b32 s20, -1
                                        ; implicit-def: $vgpr2_vgpr3
.LBB6_629:
	s_delay_alu instid0(SALU_CYCLE_1)
	s_and_not1_b32 vcc_lo, exec_lo, s20
	s_cbranch_vccnz .LBB6_631
; %bb.630:
	s_wait_loadcnt 0x0
	global_load_b32 v2, v[0:1], off
	s_wait_loadcnt 0x0
	v_cvt_f64_f32_e32 v[2:3], v2
.LBB6_631:
	s_mov_b32 s20, 0
.LBB6_632:
	s_delay_alu instid0(SALU_CYCLE_1)
	s_and_not1_b32 vcc_lo, exec_lo, s20
	s_cbranch_vccnz .LBB6_634
; %bb.633:
	s_wait_loadcnt 0x0
	global_load_u16 v2, v[0:1], off
	s_wait_loadcnt 0x0
	v_cvt_f32_f16_e32 v2, v2
	s_delay_alu instid0(VALU_DEP_1)
	v_cvt_f64_f32_e32 v[2:3], v2
.LBB6_634:
	s_mov_b32 s20, 0
.LBB6_635:
	s_delay_alu instid0(SALU_CYCLE_1)
	s_and_not1_b32 vcc_lo, exec_lo, s20
	s_cbranch_vccnz .LBB6_655
; %bb.636:
	s_cmp_lt_i32 s0, 2
	s_cbranch_scc1 .LBB6_640
; %bb.637:
	s_cmp_lt_i32 s0, 3
	s_cbranch_scc1 .LBB6_641
; %bb.638:
	s_cmp_gt_i32 s0, 3
	s_cbranch_scc0 .LBB6_642
; %bb.639:
	s_wait_loadcnt 0x0
	global_load_b64 v[2:3], v[0:1], off
	s_mov_b32 s20, 0
	s_wait_loadcnt 0x0
	v_cvt_f64_i32_e32 v[4:5], v3
	v_cvt_f64_u32_e32 v[2:3], v2
	s_delay_alu instid0(VALU_DEP_2) | instskip(NEXT) | instid1(VALU_DEP_1)
	v_ldexp_f64 v[4:5], v[4:5], 32
	v_add_f64_e32 v[2:3], v[4:5], v[2:3]
	s_branch .LBB6_643
.LBB6_640:
	s_mov_b32 s20, -1
                                        ; implicit-def: $vgpr2_vgpr3
	s_branch .LBB6_649
.LBB6_641:
	s_mov_b32 s20, -1
                                        ; implicit-def: $vgpr2_vgpr3
	s_branch .LBB6_646
.LBB6_642:
	s_mov_b32 s20, -1
                                        ; implicit-def: $vgpr2_vgpr3
.LBB6_643:
	s_delay_alu instid0(SALU_CYCLE_1)
	s_and_not1_b32 vcc_lo, exec_lo, s20
	s_cbranch_vccnz .LBB6_645
; %bb.644:
	s_wait_loadcnt 0x0
	global_load_b32 v2, v[0:1], off
	s_wait_loadcnt 0x0
	v_cvt_f64_i32_e32 v[2:3], v2
.LBB6_645:
	s_mov_b32 s20, 0
.LBB6_646:
	s_delay_alu instid0(SALU_CYCLE_1)
	s_and_not1_b32 vcc_lo, exec_lo, s20
	s_cbranch_vccnz .LBB6_648
; %bb.647:
	s_wait_loadcnt 0x0
	global_load_i16 v2, v[0:1], off
	s_wait_loadcnt 0x0
	v_cvt_f64_i32_e32 v[2:3], v2
.LBB6_648:
	s_mov_b32 s20, 0
.LBB6_649:
	s_delay_alu instid0(SALU_CYCLE_1)
	s_and_not1_b32 vcc_lo, exec_lo, s20
	s_cbranch_vccnz .LBB6_655
; %bb.650:
	s_cmp_gt_i32 s0, 0
	s_mov_b32 s0, 0
	s_cbranch_scc0 .LBB6_652
; %bb.651:
	s_wait_loadcnt 0x0
	global_load_i8 v2, v[0:1], off
	s_wait_loadcnt 0x0
	v_cvt_f64_i32_e32 v[2:3], v2
	s_branch .LBB6_653
.LBB6_652:
	s_mov_b32 s0, -1
                                        ; implicit-def: $vgpr2_vgpr3
.LBB6_653:
	s_delay_alu instid0(SALU_CYCLE_1)
	s_and_not1_b32 vcc_lo, exec_lo, s0
	s_cbranch_vccnz .LBB6_655
; %bb.654:
	global_load_u8 v0, v[0:1], off
	s_wait_loadcnt 0x0
	v_cvt_f64_u32_e32 v[2:3], v0
.LBB6_655:
	s_mov_b32 s20, -1
.LBB6_656:
	s_delay_alu instid0(SALU_CYCLE_1)
	s_and_not1_b32 vcc_lo, exec_lo, s20
	s_cbranch_vccnz .LBB6_668
; %bb.657:
	s_wait_loadcnt 0x0
	s_delay_alu instid0(VALU_DEP_1) | instskip(SKIP_2) | instid1(SALU_CYCLE_1)
	v_cmp_ngt_f64_e64 s0, 0x41d00000, |v[2:3]|
                                        ; implicit-def: $vgpr6
                                        ; implicit-def: $vgpr0_vgpr1
                                        ; implicit-def: $vgpr4_vgpr5
	s_wait_xcnt 0x0
	s_and_saveexec_b32 s20, s0
	s_xor_b32 s0, exec_lo, s20
	s_cbranch_execz .LBB6_659
; %bb.658:
	v_ldexp_f64 v[0:1], |v[2:3]|, 0xffffff80
	v_cmp_le_f64_e64 vcc_lo, 0x7b000000, |v[2:3]|
	v_trig_preop_f64 v[4:5], |v[2:3]|, 0
	v_and_b32_e32 v6, 0x7fffffff, v3
	v_trig_preop_f64 v[16:17], |v[2:3]|, 2
	s_mov_b64 s[20:21], 0x3ff921fb54442d18
	s_delay_alu instid0(VALU_DEP_2) | instskip(SKIP_2) | instid1(VALU_DEP_2)
	v_dual_mov_b32 v26, 0 :: v_dual_cndmask_b32 v1, v6, v1
	v_cndmask_b32_e32 v0, v2, v0, vcc_lo
	v_trig_preop_f64 v[6:7], |v[2:3]|, 1
	v_mul_f64_e32 v[8:9], v[4:5], v[0:1]
	s_delay_alu instid0(VALU_DEP_2) | instskip(NEXT) | instid1(VALU_DEP_2)
	v_mul_f64_e32 v[10:11], v[6:7], v[0:1]
	v_fma_f64 v[4:5], v[4:5], v[0:1], -v[8:9]
	s_delay_alu instid0(VALU_DEP_1) | instskip(NEXT) | instid1(VALU_DEP_1)
	v_add_f64_e32 v[12:13], v[10:11], v[4:5]
	v_add_f64_e64 v[14:15], v[12:13], -v[10:11]
	v_add_f64_e32 v[20:21], v[8:9], v[12:13]
	s_delay_alu instid0(VALU_DEP_2) | instskip(SKIP_2) | instid1(VALU_DEP_4)
	v_add_f64_e64 v[18:19], v[12:13], -v[14:15]
	v_fma_f64 v[6:7], v[6:7], v[0:1], -v[10:11]
	v_add_f64_e64 v[4:5], v[4:5], -v[14:15]
	v_ldexp_f64 v[14:15], v[20:21], -2
	v_mul_f64_e32 v[22:23], v[16:17], v[0:1]
	v_add_f64_e64 v[10:11], v[10:11], -v[18:19]
	s_delay_alu instid0(VALU_DEP_3) | instskip(NEXT) | instid1(VALU_DEP_3)
	v_cmp_neq_f64_e64 vcc_lo, 0x7ff00000, |v[14:15]|
	v_add_f64_e32 v[18:19], v[22:23], v[6:7]
	v_fma_f64 v[0:1], v[16:17], v[0:1], -v[22:23]
	s_delay_alu instid0(VALU_DEP_4) | instskip(SKIP_1) | instid1(VALU_DEP_1)
	v_add_f64_e32 v[4:5], v[4:5], v[10:11]
	v_fract_f64_e32 v[10:11], v[14:15]
	v_ldexp_f64 v[10:11], v[10:11], 2
	s_delay_alu instid0(VALU_DEP_1) | instskip(NEXT) | instid1(VALU_DEP_1)
	v_dual_add_f64 v[8:9], v[20:21], -v[8:9] :: v_dual_cndmask_b32 v11, 0, v11, vcc_lo
	v_dual_add_f64 v[8:9], v[12:13], -v[8:9] :: v_dual_cndmask_b32 v10, 0, v10, vcc_lo
	v_add_f64_e32 v[12:13], v[18:19], v[4:5]
	s_delay_alu instid0(VALU_DEP_1) | instskip(SKIP_1) | instid1(VALU_DEP_2)
	v_add_f64_e32 v[14:15], v[8:9], v[12:13]
	v_add_f64_e64 v[28:29], v[12:13], -v[18:19]
	v_add_f64_e32 v[20:21], v[14:15], v[10:11]
	s_delay_alu instid0(VALU_DEP_2) | instskip(SKIP_2) | instid1(VALU_DEP_4)
	v_add_f64_e64 v[34:35], v[12:13], -v[28:29]
	v_add_f64_e64 v[4:5], v[4:5], -v[28:29]
	;; [unrolled: 1-line block ×3, first 2 shown]
	v_cmp_gt_f64_e32 vcc_lo, 0, v[20:21]
	v_add_f64_e64 v[20:21], v[18:19], -v[22:23]
	v_cndmask_b32_e64 v27, 0, 0x40100000, vcc_lo
	s_delay_alu instid0(VALU_DEP_2) | instskip(SKIP_2) | instid1(VALU_DEP_4)
	v_add_f64_e64 v[32:33], v[18:19], -v[20:21]
	v_add_f64_e64 v[6:7], v[6:7], -v[20:21]
	v_add_f64_e64 v[18:19], v[18:19], -v[34:35]
	v_add_f64_e32 v[10:11], v[10:11], v[26:27]
	s_delay_alu instid0(VALU_DEP_4) | instskip(NEXT) | instid1(VALU_DEP_3)
	v_add_f64_e64 v[20:21], v[22:23], -v[32:33]
	v_add_f64_e32 v[4:5], v[4:5], v[18:19]
	s_delay_alu instid0(VALU_DEP_3) | instskip(NEXT) | instid1(VALU_DEP_3)
	v_add_f64_e32 v[30:31], v[14:15], v[10:11]
	v_add_f64_e32 v[6:7], v[6:7], v[20:21]
	s_delay_alu instid0(VALU_DEP_2) | instskip(NEXT) | instid1(VALU_DEP_2)
	v_cvt_i32_f64_e32 v25, v[30:31]
	v_add_f64_e32 v[4:5], v[6:7], v[4:5]
	v_add_f64_e64 v[6:7], v[12:13], -v[8:9]
	s_delay_alu instid0(VALU_DEP_3) | instskip(NEXT) | instid1(VALU_DEP_3)
	v_cvt_f64_i32_e32 v[28:29], v25
	v_add_f64_e32 v[0:1], v[0:1], v[4:5]
	s_delay_alu instid0(VALU_DEP_2) | instskip(NEXT) | instid1(VALU_DEP_2)
	v_add_f64_e64 v[10:11], v[10:11], -v[28:29]
	v_add_f64_e32 v[0:1], v[6:7], v[0:1]
	s_delay_alu instid0(VALU_DEP_2) | instskip(NEXT) | instid1(VALU_DEP_1)
	v_add_f64_e32 v[16:17], v[14:15], v[10:11]
	v_add_f64_e64 v[4:5], v[16:17], -v[10:11]
	v_cmp_le_f64_e32 vcc_lo, 0.5, v[16:17]
	s_delay_alu instid0(VALU_DEP_2) | instskip(SKIP_2) | instid1(VALU_DEP_3)
	v_add_f64_e64 v[4:5], v[14:15], -v[4:5]
	v_cndmask_b32_e64 v27, 0, 0x3ff00000, vcc_lo
	v_add_co_ci_u32_e64 v6, null, 0, v25, vcc_lo
	v_add_f64_e32 v[0:1], v[0:1], v[4:5]
	s_delay_alu instid0(VALU_DEP_3) | instskip(NEXT) | instid1(VALU_DEP_1)
	v_add_f64_e64 v[4:5], v[16:17], -v[26:27]
	v_add_f64_e32 v[8:9], v[4:5], v[0:1]
	s_delay_alu instid0(VALU_DEP_1) | instskip(SKIP_1) | instid1(VALU_DEP_2)
	v_mul_f64_e32 v[10:11], 0x3ff921fb54442d18, v[8:9]
	v_add_f64_e64 v[4:5], v[8:9], -v[4:5]
	v_fma_f64 v[12:13], v[8:9], s[20:21], -v[10:11]
	s_delay_alu instid0(VALU_DEP_2) | instskip(NEXT) | instid1(VALU_DEP_2)
	v_add_f64_e64 v[0:1], v[0:1], -v[4:5]
	v_fmamk_f64 v[4:5], v[8:9], 0x3c91a62633145c07, v[12:13]
	s_delay_alu instid0(VALU_DEP_1) | instskip(NEXT) | instid1(VALU_DEP_1)
	v_fmac_f64_e32 v[4:5], 0x3ff921fb54442d18, v[0:1]
	v_add_f64_e32 v[0:1], v[10:11], v[4:5]
	s_delay_alu instid0(VALU_DEP_1) | instskip(NEXT) | instid1(VALU_DEP_1)
	v_add_f64_e64 v[8:9], v[0:1], -v[10:11]
	v_add_f64_e64 v[4:5], v[4:5], -v[8:9]
.LBB6_659:
	s_and_not1_saveexec_b32 s0, s0
	s_cbranch_execz .LBB6_661
; %bb.660:
	s_mov_b64 s[20:21], 0x3fe45f306dc9c883
	s_delay_alu instid0(SALU_CYCLE_1) | instskip(SKIP_1) | instid1(VALU_DEP_1)
	v_mul_f64_e64 v[0:1], |v[2:3]|, s[20:21]
	s_mov_b64 s[20:21], 0xbff921fb54442d18
	v_rndne_f64_e32 v[6:7], v[0:1]
	s_delay_alu instid0(VALU_DEP_1) | instskip(SKIP_1) | instid1(VALU_DEP_2)
	v_fma_f64 v[0:1], v[6:7], s[20:21], |v[2:3]|
	v_mul_f64_e32 v[4:5], 0xbc91a62633145c00, v[6:7]
	v_fmamk_f64 v[12:13], v[6:7], 0xbc91a62633145c00, v[0:1]
	s_delay_alu instid0(VALU_DEP_2) | instskip(NEXT) | instid1(VALU_DEP_1)
	v_add_f64_e32 v[8:9], v[0:1], v[4:5]
	v_add_f64_e64 v[10:11], v[0:1], -v[8:9]
	s_delay_alu instid0(VALU_DEP_3) | instskip(NEXT) | instid1(VALU_DEP_2)
	v_add_f64_e64 v[0:1], v[8:9], -v[12:13]
	v_add_f64_e32 v[8:9], v[10:11], v[4:5]
	v_fmamk_f64 v[4:5], v[6:7], 0x3c91a62633145c00, v[4:5]
	s_delay_alu instid0(VALU_DEP_2) | instskip(NEXT) | instid1(VALU_DEP_1)
	v_add_f64_e32 v[0:1], v[0:1], v[8:9]
	v_add_f64_e64 v[0:1], v[0:1], -v[4:5]
	s_delay_alu instid0(VALU_DEP_1) | instskip(SKIP_1) | instid1(VALU_DEP_2)
	v_fmamk_f64 v[4:5], v[6:7], 0xb97b839a252049c0, v[0:1]
	v_cvt_i32_f64_e32 v6, v[6:7]
	v_add_f64_e32 v[0:1], v[12:13], v[4:5]
	s_delay_alu instid0(VALU_DEP_1) | instskip(NEXT) | instid1(VALU_DEP_1)
	v_add_f64_e64 v[8:9], v[0:1], -v[12:13]
	v_add_f64_e64 v[4:5], v[4:5], -v[8:9]
.LBB6_661:
	s_or_b32 exec_lo, exec_lo, s0
	s_delay_alu instid0(VALU_DEP_4)
	v_dual_mul_f64 v[8:9], v[0:1], v[0:1] :: v_dual_bitop2_b32 v7, 1, v6 bitop3:0x40
	v_cmp_class_f64_e64 s0, v[2:3], 0x1f8
	s_mov_b64 s[20:21], 0x3de5e0b2f9a43bb8
	s_mov_b32 s22, 0
	v_dual_mul_f64 v[16:17], 0.5, v[4:5] :: v_dual_lshlrev_b32 v2, 30, v6
	v_cmp_eq_u32_e32 vcc_lo, 0, v7
	s_delay_alu instid0(VALU_DEP_2) | instskip(SKIP_3) | instid1(VALU_DEP_3)
	v_dual_mul_f64 v[10:11], 0.5, v[8:9] :: v_dual_bitop2_b32 v2, v2, v3 bitop3:0x14
	v_mul_f64_e64 v[18:19], v[0:1], -v[8:9]
	v_fmaak_f64 v[20:21], s[20:21], v[8:9], 0xbe5ae600b42fdfa7
	s_mov_b64 s[20:21], 0xbda907db46cc5e42
	v_add_f64_e64 v[12:13], -v[10:11], 1.0
	s_delay_alu instid0(VALU_DEP_1) | instskip(NEXT) | instid1(VALU_DEP_1)
	v_add_f64_e64 v[14:15], -v[12:13], 1.0
	v_add_f64_e64 v[10:11], v[14:15], -v[10:11]
	s_delay_alu instid0(VALU_DEP_4) | instskip(SKIP_1) | instid1(VALU_DEP_2)
	v_fmaak_f64 v[14:15], v[8:9], v[20:21], 0x3ec71de3796cde01
	v_mul_f64_e32 v[20:21], v[8:9], v[8:9]
	v_fmaak_f64 v[14:15], v[8:9], v[14:15], 0xbf2a01a019e83e5c
	s_delay_alu instid0(VALU_DEP_1) | instskip(NEXT) | instid1(VALU_DEP_1)
	v_fmaak_f64 v[14:15], v[8:9], v[14:15], 0x3f81111111110bb3
	v_fmac_f64_e32 v[16:17], v[18:19], v[14:15]
	v_fmaak_f64 v[14:15], s[20:21], v[8:9], 0x3e21eeb69037ab78
	s_and_b32 s20, s8, 0xff
	s_mov_b32 s21, -1
	s_cmp_lt_i32 s20, 11
	s_delay_alu instid0(VALU_DEP_1) | instskip(SKIP_1) | instid1(VALU_DEP_2)
	v_fmaak_f64 v[14:15], v[8:9], v[14:15], 0xbe927e4fa17f65f6
	v_fma_f64 v[10:11], v[0:1], -v[4:5], v[10:11]
	v_fmaak_f64 v[14:15], v[8:9], v[14:15], 0x3efa01a019f4ec90
	s_delay_alu instid0(VALU_DEP_1) | instskip(SKIP_1) | instid1(VALU_DEP_2)
	v_fmaak_f64 v[14:15], v[8:9], v[14:15], 0xbf56c16c16c16967
	v_fma_f64 v[4:5], v[8:9], v[16:17], -v[4:5]
	v_fmaak_f64 v[8:9], v[8:9], v[14:15], 0x3fa5555555555555
	s_delay_alu instid0(VALU_DEP_1) | instskip(NEXT) | instid1(VALU_DEP_3)
	v_fmac_f64_e32 v[10:11], v[20:21], v[8:9]
	v_fmamk_f64 v[4:5], v[18:19], 0xbfc5555555555555, v[4:5]
	s_delay_alu instid0(VALU_DEP_1) | instskip(NEXT) | instid1(VALU_DEP_3)
	v_add_f64_e64 v[0:1], v[0:1], -v[4:5]
	v_add_f64_e32 v[4:5], v[12:13], v[10:11]
	s_delay_alu instid0(VALU_DEP_1) | instskip(SKIP_1) | instid1(VALU_DEP_3)
	v_cndmask_b32_e32 v7, v4, v0, vcc_lo
	v_mul_lo_u32 v0, v24, s2
	v_cndmask_b32_e32 v3, v5, v1, vcc_lo
	s_delay_alu instid0(VALU_DEP_1) | instskip(NEXT) | instid1(VALU_DEP_3)
	v_bitop3_b32 v2, v3, v2, 0x80000000 bitop3:0x78
	v_ashrrev_i32_e32 v1, 31, v0
	s_delay_alu instid0(VALU_DEP_1) | instskip(SKIP_1) | instid1(VALU_DEP_4)
	v_add_nc_u64_e32 v[4:5], s[4:5], v[0:1]
	v_cndmask_b32_e64 v0, 0, v7, s0
	v_cndmask_b32_e64 v1, 0x7ff80000, v2, s0
	s_mov_b32 s0, s16
	s_cbranch_scc1 .LBB6_669
; %bb.662:
	s_and_b32 s21, 0xffff, s20
	s_delay_alu instid0(SALU_CYCLE_1)
	s_cmp_gt_i32 s21, 25
	s_cbranch_scc0 .LBB6_710
; %bb.663:
	s_cmp_gt_i32 s21, 28
	s_cbranch_scc0 .LBB6_711
; %bb.664:
	;; [unrolled: 3-line block ×4, first 2 shown]
	s_mov_b32 s23, 0
	s_mov_b32 s0, -1
	s_cmp_eq_u32 s21, 46
	s_cbranch_scc0 .LBB6_714
; %bb.667:
	v_cvt_f32_f64_e32 v2, v[0:1]
	s_mov_b32 s22, -1
	s_mov_b32 s0, 0
	s_delay_alu instid0(VALU_DEP_1) | instskip(SKIP_1) | instid1(VALU_DEP_2)
	v_bfe_u32 v3, v2, 16, 1
	v_cmp_o_f32_e32 vcc_lo, v2, v2
	v_add3_u32 v3, v2, v3, 0x7fff
	s_delay_alu instid0(VALU_DEP_1) | instskip(NEXT) | instid1(VALU_DEP_1)
	v_lshrrev_b32_e32 v3, 16, v3
	v_cndmask_b32_e32 v2, 0x7fc0, v3, vcc_lo
	global_store_b32 v[4:5], v2, off
	s_branch .LBB6_714
.LBB6_668:
	s_mov_b32 s20, 0
	s_mov_b32 s0, s16
	s_branch .LBB6_709
.LBB6_669:
	s_and_b32 vcc_lo, exec_lo, s21
	s_cbranch_vccz .LBB6_783
; %bb.670:
	s_and_b32 s20, 0xffff, s20
	s_mov_b32 s21, -1
	s_cmp_lt_i32 s20, 5
	s_cbranch_scc1 .LBB6_691
; %bb.671:
	s_cmp_lt_i32 s20, 8
	s_cbranch_scc1 .LBB6_681
; %bb.672:
	;; [unrolled: 3-line block ×3, first 2 shown]
	s_cmp_gt_i32 s20, 9
	s_cbranch_scc0 .LBB6_675
; %bb.674:
	s_wait_xcnt 0x0
	v_mov_b64_e32 v[2:3], 0
	s_mov_b32 s21, 0
	global_store_b128 v[4:5], v[0:3], off
.LBB6_675:
	s_and_not1_b32 vcc_lo, exec_lo, s21
	s_cbranch_vccnz .LBB6_677
; %bb.676:
	s_wait_xcnt 0x0
	v_cvt_f32_f64_e32 v2, v[0:1]
	v_mov_b32_e32 v3, 0
	global_store_b64 v[4:5], v[2:3], off
.LBB6_677:
	s_mov_b32 s21, 0
.LBB6_678:
	s_delay_alu instid0(SALU_CYCLE_1)
	s_and_not1_b32 vcc_lo, exec_lo, s21
	s_cbranch_vccnz .LBB6_680
; %bb.679:
	s_wait_xcnt 0x0
	v_and_or_b32 v2, 0x1ff, v1, v0
	v_lshrrev_b32_e32 v3, 8, v1
	v_bfe_u32 v6, v1, 20, 11
	s_delay_alu instid0(VALU_DEP_3) | instskip(NEXT) | instid1(VALU_DEP_2)
	v_cmp_ne_u32_e32 vcc_lo, 0, v2
	v_sub_nc_u32_e32 v7, 0x3f1, v6
	v_cndmask_b32_e64 v2, 0, 1, vcc_lo
	s_delay_alu instid0(VALU_DEP_1) | instskip(NEXT) | instid1(VALU_DEP_3)
	v_and_or_b32 v2, 0xffe, v3, v2
	v_med3_i32 v3, v7, 0, 13
	s_delay_alu instid0(VALU_DEP_2) | instskip(NEXT) | instid1(VALU_DEP_1)
	v_or_b32_e32 v7, 0x1000, v2
	v_lshrrev_b32_e32 v8, v3, v7
	s_delay_alu instid0(VALU_DEP_1) | instskip(NEXT) | instid1(VALU_DEP_1)
	v_lshlrev_b32_e32 v3, v3, v8
	v_cmp_ne_u32_e32 vcc_lo, v3, v7
	v_cndmask_b32_e64 v3, 0, 1, vcc_lo
	s_delay_alu instid0(VALU_DEP_1) | instskip(SKIP_1) | instid1(VALU_DEP_1)
	v_or_b32_e32 v3, v8, v3
	v_add_nc_u32_e32 v6, 0xfffffc10, v6
	v_lshl_or_b32 v7, v6, 12, v2
	v_cmp_gt_i32_e32 vcc_lo, 1, v6
	s_delay_alu instid0(VALU_DEP_2) | instskip(NEXT) | instid1(VALU_DEP_1)
	v_cndmask_b32_e32 v3, v7, v3, vcc_lo
	v_dual_lshrrev_b32 v3, 2, v3 :: v_dual_bitop2_b32 v7, 7, v3 bitop3:0x40
	s_delay_alu instid0(VALU_DEP_1) | instskip(SKIP_4) | instid1(VALU_DEP_2)
	v_cmp_lt_i32_e32 vcc_lo, 5, v7
	v_cndmask_b32_e64 v8, 0, 1, vcc_lo
	v_cmp_eq_u32_e32 vcc_lo, 3, v7
	v_cndmask_b32_e64 v7, 0, 1, vcc_lo
	v_cmp_ne_u32_e32 vcc_lo, 0, v2
	v_or_b32_e32 v7, v7, v8
	s_delay_alu instid0(VALU_DEP_1) | instskip(NEXT) | instid1(VALU_DEP_1)
	v_dual_mov_b32 v8, 0x7e00 :: v_dual_add_nc_u32 v3, v3, v7
	v_cndmask_b32_e32 v2, 0x7c00, v8, vcc_lo
	v_cmp_gt_i32_e32 vcc_lo, 31, v6
	v_lshrrev_b32_e32 v7, 16, v1
	s_delay_alu instid0(VALU_DEP_4) | instskip(SKIP_1) | instid1(VALU_DEP_2)
	v_cndmask_b32_e32 v3, 0x7c00, v3, vcc_lo
	v_cmp_eq_u32_e32 vcc_lo, 0x40f, v6
	v_cndmask_b32_e32 v2, v3, v2, vcc_lo
	s_delay_alu instid0(VALU_DEP_4) | instskip(NEXT) | instid1(VALU_DEP_1)
	v_and_b32_e32 v3, 0x8000, v7
	v_bitop3_b32 v2, v3, 0xffff, v2 bitop3:0xc8
	global_store_b32 v[4:5], v2, off
.LBB6_680:
	s_mov_b32 s21, 0
.LBB6_681:
	s_delay_alu instid0(SALU_CYCLE_1)
	s_and_not1_b32 vcc_lo, exec_lo, s21
	s_cbranch_vccnz .LBB6_690
; %bb.682:
	s_cmp_lt_i32 s20, 6
	s_mov_b32 s21, -1
	s_cbranch_scc1 .LBB6_688
; %bb.683:
	s_cmp_gt_i32 s20, 6
	s_cbranch_scc0 .LBB6_685
; %bb.684:
	s_mov_b32 s21, 0
	global_store_b64 v[4:5], v[0:1], off
.LBB6_685:
	s_and_not1_b32 vcc_lo, exec_lo, s21
	s_cbranch_vccnz .LBB6_687
; %bb.686:
	s_wait_xcnt 0x0
	v_cvt_f32_f64_e32 v2, v[0:1]
	global_store_b32 v[4:5], v2, off
.LBB6_687:
	s_mov_b32 s21, 0
.LBB6_688:
	s_delay_alu instid0(SALU_CYCLE_1)
	s_and_not1_b32 vcc_lo, exec_lo, s21
	s_cbranch_vccnz .LBB6_690
; %bb.689:
	s_wait_xcnt 0x0
	v_and_or_b32 v2, 0x1ff, v1, v0
	v_lshrrev_b32_e32 v3, 8, v1
	v_bfe_u32 v6, v1, 20, 11
	s_delay_alu instid0(VALU_DEP_3) | instskip(NEXT) | instid1(VALU_DEP_2)
	v_cmp_ne_u32_e32 vcc_lo, 0, v2
	v_sub_nc_u32_e32 v7, 0x3f1, v6
	v_cndmask_b32_e64 v2, 0, 1, vcc_lo
	s_delay_alu instid0(VALU_DEP_1) | instskip(NEXT) | instid1(VALU_DEP_3)
	v_and_or_b32 v2, 0xffe, v3, v2
	v_med3_i32 v3, v7, 0, 13
	s_delay_alu instid0(VALU_DEP_2) | instskip(NEXT) | instid1(VALU_DEP_1)
	v_or_b32_e32 v7, 0x1000, v2
	v_lshrrev_b32_e32 v8, v3, v7
	s_delay_alu instid0(VALU_DEP_1) | instskip(NEXT) | instid1(VALU_DEP_1)
	v_lshlrev_b32_e32 v3, v3, v8
	v_cmp_ne_u32_e32 vcc_lo, v3, v7
	v_cndmask_b32_e64 v3, 0, 1, vcc_lo
	s_delay_alu instid0(VALU_DEP_1) | instskip(SKIP_1) | instid1(VALU_DEP_1)
	v_or_b32_e32 v3, v8, v3
	v_add_nc_u32_e32 v6, 0xfffffc10, v6
	v_lshl_or_b32 v7, v6, 12, v2
	v_cmp_gt_i32_e32 vcc_lo, 1, v6
	s_delay_alu instid0(VALU_DEP_2) | instskip(NEXT) | instid1(VALU_DEP_1)
	v_cndmask_b32_e32 v3, v7, v3, vcc_lo
	v_dual_lshrrev_b32 v3, 2, v3 :: v_dual_bitop2_b32 v7, 7, v3 bitop3:0x40
	s_delay_alu instid0(VALU_DEP_1) | instskip(SKIP_4) | instid1(VALU_DEP_2)
	v_cmp_lt_i32_e32 vcc_lo, 5, v7
	v_cndmask_b32_e64 v8, 0, 1, vcc_lo
	v_cmp_eq_u32_e32 vcc_lo, 3, v7
	v_cndmask_b32_e64 v7, 0, 1, vcc_lo
	v_cmp_ne_u32_e32 vcc_lo, 0, v2
	v_or_b32_e32 v7, v7, v8
	s_delay_alu instid0(VALU_DEP_1) | instskip(NEXT) | instid1(VALU_DEP_1)
	v_dual_mov_b32 v8, 0x7e00 :: v_dual_add_nc_u32 v3, v3, v7
	v_cndmask_b32_e32 v2, 0x7c00, v8, vcc_lo
	v_cmp_gt_i32_e32 vcc_lo, 31, v6
	s_delay_alu instid0(VALU_DEP_3) | instskip(SKIP_1) | instid1(VALU_DEP_2)
	v_cndmask_b32_e32 v3, 0x7c00, v3, vcc_lo
	v_cmp_eq_u32_e32 vcc_lo, 0x40f, v6
	v_dual_cndmask_b32 v2, v3, v2 :: v_dual_lshrrev_b32 v3, 16, v1
	s_delay_alu instid0(VALU_DEP_1)
	v_and_or_b32 v2, 0x8000, v3, v2
	global_store_b16 v[4:5], v2, off
.LBB6_690:
	s_mov_b32 s21, 0
.LBB6_691:
	s_delay_alu instid0(SALU_CYCLE_1)
	s_and_not1_b32 vcc_lo, exec_lo, s21
	s_cbranch_vccnz .LBB6_707
; %bb.692:
	s_cmp_lt_i32 s20, 2
	s_mov_b32 s21, -1
	s_cbranch_scc1 .LBB6_702
; %bb.693:
	s_cmp_lt_i32 s20, 3
	s_cbranch_scc1 .LBB6_699
; %bb.694:
	s_cmp_gt_i32 s20, 3
	s_cbranch_scc0 .LBB6_696
; %bb.695:
	s_wait_xcnt 0x0
	v_trunc_f64_e32 v[2:3], v[0:1]
	s_mov_b32 s21, 0
	s_delay_alu instid0(VALU_DEP_1) | instskip(NEXT) | instid1(VALU_DEP_1)
	v_ldexp_f64 v[6:7], v[2:3], 0xffffffe0
	v_floor_f64_e32 v[6:7], v[6:7]
	s_delay_alu instid0(VALU_DEP_1) | instskip(SKIP_1) | instid1(VALU_DEP_2)
	v_fmamk_f64 v[2:3], v[6:7], 0xc1f00000, v[2:3]
	v_cvt_i32_f64_e32 v7, v[6:7]
	v_cvt_u32_f64_e32 v6, v[2:3]
	global_store_b64 v[4:5], v[6:7], off
.LBB6_696:
	s_and_not1_b32 vcc_lo, exec_lo, s21
	s_cbranch_vccnz .LBB6_698
; %bb.697:
	s_wait_xcnt 0x0
	v_cvt_i32_f64_e32 v2, v[0:1]
	global_store_b32 v[4:5], v2, off
.LBB6_698:
	s_mov_b32 s21, 0
.LBB6_699:
	s_delay_alu instid0(SALU_CYCLE_1)
	s_and_not1_b32 vcc_lo, exec_lo, s21
	s_cbranch_vccnz .LBB6_701
; %bb.700:
	s_wait_xcnt 0x0
	v_cvt_i32_f64_e32 v2, v[0:1]
	global_store_b16 v[4:5], v2, off
.LBB6_701:
	s_mov_b32 s21, 0
.LBB6_702:
	s_delay_alu instid0(SALU_CYCLE_1)
	s_and_not1_b32 vcc_lo, exec_lo, s21
	s_cbranch_vccnz .LBB6_707
; %bb.703:
	s_cmp_gt_i32 s20, 0
	s_mov_b32 s20, -1
	s_cbranch_scc0 .LBB6_705
; %bb.704:
	s_wait_xcnt 0x0
	v_cvt_i32_f64_e32 v2, v[0:1]
	s_mov_b32 s20, 0
	global_store_b8 v[4:5], v2, off
.LBB6_705:
	s_and_not1_b32 vcc_lo, exec_lo, s20
	s_cbranch_vccnz .LBB6_707
; %bb.706:
	s_wait_xcnt 0x0
	v_trunc_f64_e32 v[0:1], v[0:1]
	s_delay_alu instid0(VALU_DEP_1) | instskip(NEXT) | instid1(VALU_DEP_1)
	v_ldexp_f64 v[2:3], v[0:1], 0xffffffe0
	v_floor_f64_e32 v[2:3], v[2:3]
	s_delay_alu instid0(VALU_DEP_1) | instskip(NEXT) | instid1(VALU_DEP_1)
	v_fmamk_f64 v[0:1], v[2:3], 0xc1f00000, v[0:1]
	v_cvt_u32_f64_e32 v0, v[0:1]
	global_store_b8 v[4:5], v0, off
.LBB6_707:
	s_branch .LBB6_784
.LBB6_708:
	s_mov_b32 s20, 0
.LBB6_709:
                                        ; implicit-def: $vgpr24
	s_branch .LBB6_785
.LBB6_710:
	s_mov_b32 s23, -1
	s_mov_b32 s0, s16
	s_branch .LBB6_741
.LBB6_711:
	s_mov_b32 s23, -1
	s_mov_b32 s0, s16
	s_branch .LBB6_724
.LBB6_712:
	s_mov_b32 s23, -1
	s_mov_b32 s0, s16
	s_branch .LBB6_720
.LBB6_713:
	s_mov_b32 s23, -1
	s_mov_b32 s0, s16
.LBB6_714:
	s_and_b32 vcc_lo, exec_lo, s23
	s_cbranch_vccz .LBB6_719
; %bb.715:
	s_cmp_eq_u32 s21, 44
	s_mov_b32 s0, -1
	s_cbranch_scc0 .LBB6_719
; %bb.716:
	s_wait_xcnt 0x0
	v_cvt_f32_f64_e32 v2, v[0:1]
	v_mov_b32_e32 v3, 0xff
	s_mov_b32 s22, exec_lo
	s_delay_alu instid0(VALU_DEP_2) | instskip(NEXT) | instid1(VALU_DEP_1)
	v_bfe_u32 v6, v2, 23, 8
	v_cmpx_ne_u32_e32 0xff, v6
	s_cbranch_execz .LBB6_718
; %bb.717:
	v_and_b32_e32 v3, 0x400000, v2
	v_and_or_b32 v6, 0x3fffff, v2, v6
	v_lshrrev_b32_e32 v2, 23, v2
	s_delay_alu instid0(VALU_DEP_3) | instskip(NEXT) | instid1(VALU_DEP_3)
	v_cmp_ne_u32_e32 vcc_lo, 0, v3
	v_cmp_ne_u32_e64 s0, 0, v6
	s_and_b32 s0, vcc_lo, s0
	s_delay_alu instid0(SALU_CYCLE_1) | instskip(NEXT) | instid1(VALU_DEP_1)
	v_cndmask_b32_e64 v3, 0, 1, s0
	v_add_nc_u32_e32 v3, v2, v3
.LBB6_718:
	s_or_b32 exec_lo, exec_lo, s22
	s_mov_b32 s22, -1
	s_mov_b32 s0, 0
	global_store_b8 v[4:5], v3, off
.LBB6_719:
	s_mov_b32 s23, 0
.LBB6_720:
	s_delay_alu instid0(SALU_CYCLE_1)
	s_and_b32 vcc_lo, exec_lo, s23
	s_cbranch_vccz .LBB6_723
; %bb.721:
	s_cmp_eq_u32 s21, 29
	s_mov_b32 s0, -1
	s_cbranch_scc0 .LBB6_723
; %bb.722:
	s_wait_xcnt 0x0
	v_trunc_f64_e32 v[2:3], v[0:1]
	s_mov_b32 s22, -1
	s_mov_b32 s0, 0
	s_mov_b32 s23, 0
	s_delay_alu instid0(VALU_DEP_1) | instskip(NEXT) | instid1(VALU_DEP_1)
	v_ldexp_f64 v[6:7], v[2:3], 0xffffffe0
	v_floor_f64_e32 v[6:7], v[6:7]
	s_delay_alu instid0(VALU_DEP_1) | instskip(SKIP_1) | instid1(VALU_DEP_2)
	v_fmamk_f64 v[2:3], v[6:7], 0xc1f00000, v[2:3]
	v_cvt_u32_f64_e32 v7, v[6:7]
	v_cvt_u32_f64_e32 v6, v[2:3]
	global_store_b64 v[4:5], v[6:7], off
	s_branch .LBB6_724
.LBB6_723:
	s_mov_b32 s23, 0
.LBB6_724:
	s_delay_alu instid0(SALU_CYCLE_1)
	s_and_b32 vcc_lo, exec_lo, s23
	s_cbranch_vccz .LBB6_740
; %bb.725:
	s_cmp_lt_i32 s21, 27
	s_mov_b32 s22, -1
	s_cbranch_scc1 .LBB6_731
; %bb.726:
	s_wait_xcnt 0x0
	v_cvt_u32_f64_e32 v2, v[0:1]
	s_cmp_gt_i32 s21, 27
	s_cbranch_scc0 .LBB6_728
; %bb.727:
	s_mov_b32 s22, 0
	global_store_b32 v[4:5], v2, off
.LBB6_728:
	s_and_not1_b32 vcc_lo, exec_lo, s22
	s_cbranch_vccnz .LBB6_730
; %bb.729:
	global_store_b16 v[4:5], v2, off
.LBB6_730:
	s_mov_b32 s22, 0
.LBB6_731:
	s_delay_alu instid0(SALU_CYCLE_1)
	s_and_not1_b32 vcc_lo, exec_lo, s22
	s_cbranch_vccnz .LBB6_739
; %bb.732:
	s_wait_xcnt 0x0
	v_cvt_f32_f64_e32 v2, v[0:1]
	v_mov_b32_e32 v6, 0x80
	s_mov_b32 s22, exec_lo
	s_delay_alu instid0(VALU_DEP_2) | instskip(NEXT) | instid1(VALU_DEP_1)
	v_and_b32_e32 v3, 0x7fffffff, v2
	v_cmpx_gt_u32_e32 0x43800000, v3
	s_cbranch_execz .LBB6_738
; %bb.733:
	v_cmp_lt_u32_e32 vcc_lo, 0x3bffffff, v3
	s_mov_b32 s23, 0
                                        ; implicit-def: $vgpr3
	s_and_saveexec_b32 s24, vcc_lo
	s_delay_alu instid0(SALU_CYCLE_1)
	s_xor_b32 s24, exec_lo, s24
	s_cbranch_execz .LBB6_799
; %bb.734:
	v_bfe_u32 v3, v2, 20, 1
	s_mov_b32 s23, exec_lo
	s_delay_alu instid0(VALU_DEP_1) | instskip(NEXT) | instid1(VALU_DEP_1)
	v_add3_u32 v3, v2, v3, 0x487ffff
	v_lshrrev_b32_e32 v3, 20, v3
	s_and_not1_saveexec_b32 s24, s24
	s_cbranch_execnz .LBB6_800
.LBB6_735:
	s_or_b32 exec_lo, exec_lo, s24
	v_mov_b32_e32 v6, 0
	s_and_saveexec_b32 s24, s23
.LBB6_736:
	v_lshrrev_b32_e32 v2, 24, v2
	s_delay_alu instid0(VALU_DEP_1)
	v_and_or_b32 v6, 0x80, v2, v3
.LBB6_737:
	s_or_b32 exec_lo, exec_lo, s24
.LBB6_738:
	s_delay_alu instid0(SALU_CYCLE_1)
	s_or_b32 exec_lo, exec_lo, s22
	global_store_b8 v[4:5], v6, off
.LBB6_739:
	s_mov_b32 s22, -1
.LBB6_740:
	s_mov_b32 s23, 0
.LBB6_741:
	s_delay_alu instid0(SALU_CYCLE_1)
	s_and_b32 vcc_lo, exec_lo, s23
	s_cbranch_vccz .LBB6_782
; %bb.742:
	s_cmp_gt_i32 s21, 22
	s_mov_b32 s23, -1
	s_cbranch_scc0 .LBB6_774
; %bb.743:
	s_cmp_lt_i32 s21, 24
	s_mov_b32 s22, -1
	s_cbranch_scc1 .LBB6_763
; %bb.744:
	s_cmp_gt_i32 s21, 24
	s_cbranch_scc0 .LBB6_752
; %bb.745:
	s_wait_xcnt 0x0
	v_cvt_f32_f64_e32 v2, v[0:1]
	v_mov_b32_e32 v6, 0x80
	s_mov_b32 s22, exec_lo
	s_delay_alu instid0(VALU_DEP_2) | instskip(NEXT) | instid1(VALU_DEP_1)
	v_and_b32_e32 v3, 0x7fffffff, v2
	v_cmpx_gt_u32_e32 0x47800000, v3
	s_cbranch_execz .LBB6_751
; %bb.746:
	v_cmp_lt_u32_e32 vcc_lo, 0x37ffffff, v3
	s_mov_b32 s23, 0
                                        ; implicit-def: $vgpr3
	s_and_saveexec_b32 s24, vcc_lo
	s_delay_alu instid0(SALU_CYCLE_1)
	s_xor_b32 s24, exec_lo, s24
	s_cbranch_execz .LBB6_802
; %bb.747:
	v_bfe_u32 v3, v2, 21, 1
	s_mov_b32 s23, exec_lo
	s_delay_alu instid0(VALU_DEP_1) | instskip(NEXT) | instid1(VALU_DEP_1)
	v_add3_u32 v3, v2, v3, 0x88fffff
	v_lshrrev_b32_e32 v3, 21, v3
	s_and_not1_saveexec_b32 s24, s24
	s_cbranch_execnz .LBB6_803
.LBB6_748:
	s_or_b32 exec_lo, exec_lo, s24
	v_mov_b32_e32 v6, 0
	s_and_saveexec_b32 s24, s23
.LBB6_749:
	v_lshrrev_b32_e32 v2, 24, v2
	s_delay_alu instid0(VALU_DEP_1)
	v_and_or_b32 v6, 0x80, v2, v3
.LBB6_750:
	s_or_b32 exec_lo, exec_lo, s24
.LBB6_751:
	s_delay_alu instid0(SALU_CYCLE_1)
	s_or_b32 exec_lo, exec_lo, s22
	s_mov_b32 s22, 0
	global_store_b8 v[4:5], v6, off
.LBB6_752:
	s_and_b32 vcc_lo, exec_lo, s22
	s_cbranch_vccz .LBB6_762
; %bb.753:
	s_wait_xcnt 0x0
	v_cvt_f32_f64_e32 v2, v[0:1]
	s_mov_b32 s22, exec_lo
                                        ; implicit-def: $vgpr3
	s_delay_alu instid0(VALU_DEP_1) | instskip(NEXT) | instid1(VALU_DEP_1)
	v_and_b32_e32 v6, 0x7fffffff, v2
	v_cmpx_gt_u32_e32 0x43f00000, v6
	s_xor_b32 s22, exec_lo, s22
	s_cbranch_execz .LBB6_759
; %bb.754:
	s_mov_b32 s23, exec_lo
                                        ; implicit-def: $vgpr3
	v_cmpx_lt_u32_e32 0x3c7fffff, v6
	s_xor_b32 s23, exec_lo, s23
; %bb.755:
	v_bfe_u32 v3, v2, 20, 1
	s_delay_alu instid0(VALU_DEP_1) | instskip(NEXT) | instid1(VALU_DEP_1)
	v_add3_u32 v3, v2, v3, 0x407ffff
	v_and_b32_e32 v6, 0xff00000, v3
	v_lshrrev_b32_e32 v3, 20, v3
	s_delay_alu instid0(VALU_DEP_2) | instskip(NEXT) | instid1(VALU_DEP_2)
	v_cmp_ne_u32_e32 vcc_lo, 0x7f00000, v6
	v_cndmask_b32_e32 v3, 0x7e, v3, vcc_lo
; %bb.756:
	s_and_not1_saveexec_b32 s23, s23
; %bb.757:
	v_add_f32_e64 v3, 0x46800000, |v2|
; %bb.758:
	s_or_b32 exec_lo, exec_lo, s23
                                        ; implicit-def: $vgpr6
.LBB6_759:
	s_and_not1_saveexec_b32 s22, s22
; %bb.760:
	v_mov_b32_e32 v3, 0x7f
	v_cmp_lt_u32_e32 vcc_lo, 0x7f800000, v6
	s_delay_alu instid0(VALU_DEP_2)
	v_cndmask_b32_e32 v3, 0x7e, v3, vcc_lo
; %bb.761:
	s_or_b32 exec_lo, exec_lo, s22
	v_lshrrev_b32_e32 v2, 24, v2
	s_delay_alu instid0(VALU_DEP_1)
	v_and_or_b32 v2, 0x80, v2, v3
	global_store_b8 v[4:5], v2, off
.LBB6_762:
	s_mov_b32 s22, 0
.LBB6_763:
	s_delay_alu instid0(SALU_CYCLE_1)
	s_and_not1_b32 vcc_lo, exec_lo, s22
	s_cbranch_vccnz .LBB6_773
; %bb.764:
	s_wait_xcnt 0x0
	v_cvt_f32_f64_e32 v2, v[0:1]
	s_mov_b32 s22, exec_lo
                                        ; implicit-def: $vgpr3
	s_delay_alu instid0(VALU_DEP_1) | instskip(NEXT) | instid1(VALU_DEP_1)
	v_and_b32_e32 v6, 0x7fffffff, v2
	v_cmpx_gt_u32_e32 0x47800000, v6
	s_xor_b32 s22, exec_lo, s22
	s_cbranch_execz .LBB6_770
; %bb.765:
	s_mov_b32 s23, exec_lo
                                        ; implicit-def: $vgpr3
	v_cmpx_lt_u32_e32 0x387fffff, v6
	s_xor_b32 s23, exec_lo, s23
; %bb.766:
	v_bfe_u32 v3, v2, 21, 1
	s_delay_alu instid0(VALU_DEP_1) | instskip(NEXT) | instid1(VALU_DEP_1)
	v_add3_u32 v3, v2, v3, 0x80fffff
	v_lshrrev_b32_e32 v3, 21, v3
; %bb.767:
	s_and_not1_saveexec_b32 s23, s23
; %bb.768:
	v_add_f32_e64 v3, 0x43000000, |v2|
; %bb.769:
	s_or_b32 exec_lo, exec_lo, s23
                                        ; implicit-def: $vgpr6
.LBB6_770:
	s_and_not1_saveexec_b32 s22, s22
; %bb.771:
	v_mov_b32_e32 v3, 0x7f
	v_cmp_lt_u32_e32 vcc_lo, 0x7f800000, v6
	s_delay_alu instid0(VALU_DEP_2)
	v_cndmask_b32_e32 v3, 0x7c, v3, vcc_lo
; %bb.772:
	s_or_b32 exec_lo, exec_lo, s22
	v_lshrrev_b32_e32 v2, 24, v2
	s_delay_alu instid0(VALU_DEP_1)
	v_and_or_b32 v2, 0x80, v2, v3
	global_store_b8 v[4:5], v2, off
.LBB6_773:
	s_mov_b32 s23, 0
	s_mov_b32 s22, -1
.LBB6_774:
	s_and_not1_b32 vcc_lo, exec_lo, s23
	s_cbranch_vccnz .LBB6_782
; %bb.775:
	s_cmp_gt_i32 s21, 14
	s_mov_b32 s23, -1
	s_cbranch_scc0 .LBB6_779
; %bb.776:
	s_cmp_eq_u32 s21, 15
	s_mov_b32 s0, -1
	s_cbranch_scc0 .LBB6_778
; %bb.777:
	s_wait_xcnt 0x0
	v_cvt_f32_f64_e32 v2, v[0:1]
	s_mov_b32 s22, -1
	s_mov_b32 s0, 0
	s_delay_alu instid0(VALU_DEP_1) | instskip(SKIP_1) | instid1(VALU_DEP_2)
	v_bfe_u32 v3, v2, 16, 1
	v_cmp_o_f32_e32 vcc_lo, v2, v2
	v_add3_u32 v3, v2, v3, 0x7fff
	s_delay_alu instid0(VALU_DEP_1) | instskip(NEXT) | instid1(VALU_DEP_1)
	v_lshrrev_b32_e32 v3, 16, v3
	v_cndmask_b32_e32 v2, 0x7fc0, v3, vcc_lo
	global_store_b16 v[4:5], v2, off
.LBB6_778:
	s_mov_b32 s23, 0
.LBB6_779:
	s_delay_alu instid0(SALU_CYCLE_1)
	s_and_b32 vcc_lo, exec_lo, s23
	s_cbranch_vccz .LBB6_782
; %bb.780:
	s_cmp_eq_u32 s21, 11
	s_mov_b32 s0, -1
	s_cbranch_scc0 .LBB6_782
; %bb.781:
	v_cmp_neq_f64_e32 vcc_lo, 0, v[0:1]
	s_mov_b32 s22, -1
	s_mov_b32 s0, 0
	s_wait_xcnt 0x0
	v_cndmask_b32_e64 v2, 0, 1, vcc_lo
	global_store_b8 v[4:5], v2, off
.LBB6_782:
.LBB6_783:
	s_and_not1_b32 vcc_lo, exec_lo, s22
	s_cbranch_vccnz .LBB6_708
.LBB6_784:
	v_add_nc_u32_e32 v24, 0x80, v24
	s_mov_b32 s20, -1
.LBB6_785:
	s_and_not1_b32 s21, s16, exec_lo
	s_and_b32 s0, s0, exec_lo
	s_and_not1_b32 s22, s15, exec_lo
	s_and_b32 s23, s19, exec_lo
	s_or_b32 s19, s21, s0
	s_or_b32 s0, s22, s23
	s_or_not1_b32 s20, s20, exec_lo
.LBB6_786:
	s_wait_xcnt 0x0
	s_or_b32 exec_lo, exec_lo, s18
	s_mov_b32 s21, 0
	s_mov_b32 s22, 0
	;; [unrolled: 1-line block ×3, first 2 shown]
                                        ; implicit-def: $vgpr0_vgpr1
                                        ; implicit-def: $vgpr2_vgpr3
	s_and_saveexec_b32 s18, s20
	s_cbranch_execz .LBB6_871
; %bb.787:
	v_cmp_gt_i32_e32 vcc_lo, s12, v24
	s_mov_b32 s20, 0
	s_mov_b32 s21, s0
	;; [unrolled: 1-line block ×3, first 2 shown]
                                        ; implicit-def: $vgpr0_vgpr1
                                        ; implicit-def: $vgpr2_vgpr3
	s_and_saveexec_b32 s12, vcc_lo
	s_cbranch_execz .LBB6_870
; %bb.788:
	v_mul_lo_u32 v0, v24, s3
	s_and_b32 s20, 0xffff, s9
	s_delay_alu instid0(SALU_CYCLE_1) | instskip(NEXT) | instid1(VALU_DEP_1)
	s_cmp_lt_i32 s20, 11
	v_ashrrev_i32_e32 v1, 31, v0
	s_delay_alu instid0(VALU_DEP_1)
	v_add_nc_u64_e32 v[0:1], s[6:7], v[0:1]
	s_cbranch_scc1 .LBB6_795
; %bb.789:
	s_cmp_gt_i32 s20, 25
	s_cbranch_scc0 .LBB6_796
; %bb.790:
	s_cmp_gt_i32 s20, 28
	s_cbranch_scc0 .LBB6_797
	;; [unrolled: 3-line block ×4, first 2 shown]
; %bb.793:
	s_cmp_eq_u32 s20, 46
	s_cbranch_scc0 .LBB6_804
; %bb.794:
	s_wait_loadcnt 0x0
	global_load_b32 v2, v[0:1], off
	s_mov_b32 s21, 0
	s_mov_b32 s23, -1
	s_wait_loadcnt 0x0
	v_lshlrev_b32_e32 v2, 16, v2
	s_delay_alu instid0(VALU_DEP_1)
	v_cvt_f64_f32_e32 v[2:3], v2
	s_branch .LBB6_806
.LBB6_795:
	s_mov_b32 s20, -1
	s_mov_b32 s21, s0
                                        ; implicit-def: $vgpr2_vgpr3
	s_branch .LBB6_869
.LBB6_796:
	s_mov_b32 s24, -1
	s_mov_b32 s21, s0
                                        ; implicit-def: $vgpr2_vgpr3
	s_branch .LBB6_835
.LBB6_797:
	s_mov_b32 s24, -1
	s_mov_b32 s21, s0
                                        ; implicit-def: $vgpr2_vgpr3
	s_branch .LBB6_816
.LBB6_798:
	s_mov_b32 s24, -1
	s_mov_b32 s21, s0
                                        ; implicit-def: $vgpr2_vgpr3
	s_branch .LBB6_811
.LBB6_799:
	s_and_not1_saveexec_b32 s24, s24
	s_cbranch_execz .LBB6_735
.LBB6_800:
	v_add_f32_e64 v3, 0x46000000, |v2|
	s_and_not1_b32 s23, s23, exec_lo
	s_delay_alu instid0(VALU_DEP_1) | instskip(NEXT) | instid1(VALU_DEP_1)
	v_and_b32_e32 v3, 0xff, v3
	v_cmp_ne_u32_e32 vcc_lo, 0, v3
	s_and_b32 s25, vcc_lo, exec_lo
	s_delay_alu instid0(SALU_CYCLE_1)
	s_or_b32 s23, s23, s25
	s_or_b32 exec_lo, exec_lo, s24
	v_mov_b32_e32 v6, 0
	s_and_saveexec_b32 s24, s23
	s_cbranch_execnz .LBB6_736
	s_branch .LBB6_737
.LBB6_801:
	s_mov_b32 s24, -1
	s_mov_b32 s21, s0
	s_branch .LBB6_805
.LBB6_802:
	s_and_not1_saveexec_b32 s24, s24
	s_cbranch_execz .LBB6_748
.LBB6_803:
	v_add_f32_e64 v3, 0x42800000, |v2|
	s_and_not1_b32 s23, s23, exec_lo
	s_delay_alu instid0(VALU_DEP_1) | instskip(NEXT) | instid1(VALU_DEP_1)
	v_and_b32_e32 v3, 0xff, v3
	v_cmp_ne_u32_e32 vcc_lo, 0, v3
	s_and_b32 s25, vcc_lo, exec_lo
	s_delay_alu instid0(SALU_CYCLE_1)
	s_or_b32 s23, s23, s25
	s_or_b32 exec_lo, exec_lo, s24
	v_mov_b32_e32 v6, 0
	s_and_saveexec_b32 s24, s23
	s_cbranch_execnz .LBB6_749
	s_branch .LBB6_750
.LBB6_804:
	s_mov_b32 s21, -1
.LBB6_805:
                                        ; implicit-def: $vgpr2_vgpr3
.LBB6_806:
	s_and_b32 vcc_lo, exec_lo, s24
	s_cbranch_vccz .LBB6_810
; %bb.807:
	s_cmp_eq_u32 s20, 44
	s_cbranch_scc0 .LBB6_809
; %bb.808:
	global_load_u8 v4, v[0:1], off
	s_mov_b32 s21, 0
	s_mov_b32 s23, -1
	s_wait_loadcnt 0x0
	v_cmp_ne_u32_e32 vcc_lo, 0xff, v4
	v_lshlrev_b32_e32 v2, 23, v4
	s_delay_alu instid0(VALU_DEP_1) | instskip(NEXT) | instid1(VALU_DEP_1)
	v_cvt_f64_f32_e32 v[2:3], v2
	v_cndmask_b32_e32 v2, 0x20000000, v2, vcc_lo
	s_delay_alu instid0(VALU_DEP_2) | instskip(SKIP_1) | instid1(VALU_DEP_2)
	v_cndmask_b32_e32 v3, 0x7ff80000, v3, vcc_lo
	v_cmp_ne_u32_e32 vcc_lo, 0, v4
	v_cndmask_b32_e32 v3, 0x38000000, v3, vcc_lo
	s_delay_alu instid0(VALU_DEP_4)
	v_cndmask_b32_e32 v2, 0, v2, vcc_lo
	s_branch .LBB6_810
.LBB6_809:
	s_mov_b32 s21, -1
                                        ; implicit-def: $vgpr2_vgpr3
.LBB6_810:
	s_mov_b32 s24, 0
.LBB6_811:
	s_delay_alu instid0(SALU_CYCLE_1)
	s_and_b32 vcc_lo, exec_lo, s24
	s_cbranch_vccz .LBB6_815
; %bb.812:
	s_cmp_eq_u32 s20, 29
	s_cbranch_scc0 .LBB6_814
; %bb.813:
	s_wait_loadcnt 0x0
	global_load_b64 v[2:3], v[0:1], off
	s_mov_b32 s21, 0
	s_mov_b32 s23, -1
	s_mov_b32 s24, 0
	s_wait_loadcnt 0x0
	v_cvt_f64_u32_e32 v[4:5], v3
	v_cvt_f64_u32_e32 v[2:3], v2
	s_delay_alu instid0(VALU_DEP_2) | instskip(NEXT) | instid1(VALU_DEP_1)
	v_ldexp_f64 v[4:5], v[4:5], 32
	v_add_f64_e32 v[2:3], v[4:5], v[2:3]
	s_branch .LBB6_816
.LBB6_814:
	s_mov_b32 s21, -1
                                        ; implicit-def: $vgpr2_vgpr3
.LBB6_815:
	s_mov_b32 s24, 0
.LBB6_816:
	s_delay_alu instid0(SALU_CYCLE_1)
	s_and_b32 vcc_lo, exec_lo, s24
	s_cbranch_vccz .LBB6_834
; %bb.817:
	s_cmp_lt_i32 s20, 27
	s_cbranch_scc1 .LBB6_820
; %bb.818:
	s_cmp_gt_i32 s20, 27
	s_cbranch_scc0 .LBB6_821
; %bb.819:
	s_wait_loadcnt 0x0
	global_load_b32 v2, v[0:1], off
	s_mov_b32 s23, 0
	s_wait_loadcnt 0x0
	v_cvt_f64_u32_e32 v[2:3], v2
	s_branch .LBB6_822
.LBB6_820:
	s_mov_b32 s23, -1
                                        ; implicit-def: $vgpr2_vgpr3
	s_branch .LBB6_825
.LBB6_821:
	s_mov_b32 s23, -1
                                        ; implicit-def: $vgpr2_vgpr3
.LBB6_822:
	s_delay_alu instid0(SALU_CYCLE_1)
	s_and_not1_b32 vcc_lo, exec_lo, s23
	s_cbranch_vccnz .LBB6_824
; %bb.823:
	s_wait_loadcnt 0x0
	global_load_u16 v2, v[0:1], off
	s_wait_loadcnt 0x0
	v_cvt_f64_u32_e32 v[2:3], v2
.LBB6_824:
	s_mov_b32 s23, 0
.LBB6_825:
	s_delay_alu instid0(SALU_CYCLE_1)
	s_and_not1_b32 vcc_lo, exec_lo, s23
	s_cbranch_vccnz .LBB6_833
; %bb.826:
	global_load_u8 v4, v[0:1], off
	s_mov_b32 s23, 0
	s_mov_b32 s24, exec_lo
	s_wait_loadcnt 0x0
	v_cmpx_lt_i16_e32 0x7f, v4
	s_xor_b32 s24, exec_lo, s24
	s_cbranch_execz .LBB6_847
; %bb.827:
	s_mov_b32 s23, -1
	s_mov_b32 s25, exec_lo
	v_cmpx_eq_u16_e32 0x80, v4
; %bb.828:
	s_xor_b32 s23, exec_lo, -1
; %bb.829:
	s_or_b32 exec_lo, exec_lo, s25
	s_delay_alu instid0(SALU_CYCLE_1)
	s_and_b32 s23, s23, exec_lo
	s_or_saveexec_b32 s24, s24
	v_mov_b64_e32 v[2:3], 0x7ff8000020000000
	s_xor_b32 exec_lo, exec_lo, s24
	s_cbranch_execnz .LBB6_848
.LBB6_830:
	s_or_b32 exec_lo, exec_lo, s24
	s_and_saveexec_b32 s24, s23
	s_cbranch_execz .LBB6_832
.LBB6_831:
	v_and_b32_e32 v2, 0xffff, v4
	s_delay_alu instid0(VALU_DEP_1) | instskip(SKIP_1) | instid1(VALU_DEP_2)
	v_and_b32_e32 v3, 7, v2
	v_bfe_u32 v7, v2, 3, 4
	v_clz_i32_u32_e32 v5, v3
	s_delay_alu instid0(VALU_DEP_2) | instskip(NEXT) | instid1(VALU_DEP_2)
	v_cmp_eq_u32_e32 vcc_lo, 0, v7
	v_min_u32_e32 v5, 32, v5
	s_delay_alu instid0(VALU_DEP_1) | instskip(NEXT) | instid1(VALU_DEP_1)
	v_subrev_nc_u32_e32 v6, 28, v5
	v_dual_lshlrev_b32 v2, v6, v2 :: v_dual_sub_nc_u32 v5, 29, v5
	s_delay_alu instid0(VALU_DEP_1) | instskip(NEXT) | instid1(VALU_DEP_2)
	v_dual_lshlrev_b32 v4, 24, v4 :: v_dual_bitop2_b32 v2, 7, v2 bitop3:0x40
	v_cndmask_b32_e32 v5, v7, v5, vcc_lo
	s_delay_alu instid0(VALU_DEP_2) | instskip(NEXT) | instid1(VALU_DEP_3)
	v_cndmask_b32_e32 v2, v3, v2, vcc_lo
	v_and_b32_e32 v3, 0x80000000, v4
	s_delay_alu instid0(VALU_DEP_3) | instskip(NEXT) | instid1(VALU_DEP_3)
	v_lshl_add_u32 v4, v5, 23, 0x3b800000
	v_lshlrev_b32_e32 v2, 20, v2
	s_delay_alu instid0(VALU_DEP_1) | instskip(NEXT) | instid1(VALU_DEP_1)
	v_or3_b32 v2, v3, v4, v2
	v_cvt_f64_f32_e32 v[2:3], v2
.LBB6_832:
	s_or_b32 exec_lo, exec_lo, s24
.LBB6_833:
	s_mov_b32 s23, -1
.LBB6_834:
	s_mov_b32 s24, 0
.LBB6_835:
	s_delay_alu instid0(SALU_CYCLE_1)
	s_and_b32 vcc_lo, exec_lo, s24
	s_cbranch_vccz .LBB6_868
; %bb.836:
	s_cmp_gt_i32 s20, 22
	s_cbranch_scc0 .LBB6_846
; %bb.837:
	s_cmp_lt_i32 s20, 24
	s_cbranch_scc1 .LBB6_849
; %bb.838:
	s_cmp_gt_i32 s20, 24
	s_cbranch_scc0 .LBB6_850
; %bb.839:
	global_load_u8 v4, v[0:1], off
	s_mov_b32 s23, exec_lo
	s_wait_loadcnt 0x0
	v_cmpx_lt_i16_e32 0x7f, v4
	s_xor_b32 s23, exec_lo, s23
	s_cbranch_execz .LBB6_862
; %bb.840:
	s_mov_b32 s22, -1
	s_mov_b32 s24, exec_lo
	v_cmpx_eq_u16_e32 0x80, v4
; %bb.841:
	s_xor_b32 s22, exec_lo, -1
; %bb.842:
	s_or_b32 exec_lo, exec_lo, s24
	s_delay_alu instid0(SALU_CYCLE_1)
	s_and_b32 s22, s22, exec_lo
	s_or_saveexec_b32 s23, s23
	v_mov_b64_e32 v[2:3], 0x7ff8000020000000
	s_xor_b32 exec_lo, exec_lo, s23
	s_cbranch_execnz .LBB6_863
.LBB6_843:
	s_or_b32 exec_lo, exec_lo, s23
	s_and_saveexec_b32 s23, s22
	s_cbranch_execz .LBB6_845
.LBB6_844:
	v_and_b32_e32 v2, 0xffff, v4
	s_delay_alu instid0(VALU_DEP_1) | instskip(SKIP_1) | instid1(VALU_DEP_2)
	v_and_b32_e32 v3, 3, v2
	v_bfe_u32 v7, v2, 2, 5
	v_clz_i32_u32_e32 v5, v3
	s_delay_alu instid0(VALU_DEP_2) | instskip(NEXT) | instid1(VALU_DEP_2)
	v_cmp_eq_u32_e32 vcc_lo, 0, v7
	v_min_u32_e32 v5, 32, v5
	s_delay_alu instid0(VALU_DEP_1) | instskip(NEXT) | instid1(VALU_DEP_1)
	v_subrev_nc_u32_e32 v6, 29, v5
	v_dual_lshlrev_b32 v2, v6, v2 :: v_dual_sub_nc_u32 v5, 30, v5
	s_delay_alu instid0(VALU_DEP_1) | instskip(NEXT) | instid1(VALU_DEP_2)
	v_dual_lshlrev_b32 v4, 24, v4 :: v_dual_bitop2_b32 v2, 3, v2 bitop3:0x40
	v_cndmask_b32_e32 v5, v7, v5, vcc_lo
	s_delay_alu instid0(VALU_DEP_2) | instskip(NEXT) | instid1(VALU_DEP_3)
	v_cndmask_b32_e32 v2, v3, v2, vcc_lo
	v_and_b32_e32 v3, 0x80000000, v4
	s_delay_alu instid0(VALU_DEP_3) | instskip(NEXT) | instid1(VALU_DEP_3)
	v_lshl_add_u32 v4, v5, 23, 0x37800000
	v_lshlrev_b32_e32 v2, 21, v2
	s_delay_alu instid0(VALU_DEP_1) | instskip(NEXT) | instid1(VALU_DEP_1)
	v_or3_b32 v2, v3, v4, v2
	v_cvt_f64_f32_e32 v[2:3], v2
.LBB6_845:
	s_or_b32 exec_lo, exec_lo, s23
	s_mov_b32 s22, 0
	s_branch .LBB6_851
.LBB6_846:
	s_mov_b32 s22, -1
                                        ; implicit-def: $vgpr2_vgpr3
	s_branch .LBB6_857
.LBB6_847:
	s_or_saveexec_b32 s24, s24
	v_mov_b64_e32 v[2:3], 0x7ff8000020000000
	s_xor_b32 exec_lo, exec_lo, s24
	s_cbranch_execz .LBB6_830
.LBB6_848:
	v_cmp_ne_u16_e32 vcc_lo, 0, v4
	v_mov_b64_e32 v[2:3], 0
	s_and_not1_b32 s23, s23, exec_lo
	s_and_b32 s25, vcc_lo, exec_lo
	s_delay_alu instid0(SALU_CYCLE_1)
	s_or_b32 s23, s23, s25
	s_or_b32 exec_lo, exec_lo, s24
	s_and_saveexec_b32 s24, s23
	s_cbranch_execnz .LBB6_831
	s_branch .LBB6_832
.LBB6_849:
	s_mov_b32 s22, -1
                                        ; implicit-def: $vgpr2_vgpr3
	s_branch .LBB6_854
.LBB6_850:
	s_mov_b32 s22, -1
                                        ; implicit-def: $vgpr2_vgpr3
.LBB6_851:
	s_delay_alu instid0(SALU_CYCLE_1)
	s_and_b32 vcc_lo, exec_lo, s22
	s_cbranch_vccz .LBB6_853
; %bb.852:
	s_wait_loadcnt 0x0
	global_load_u8 v2, v[0:1], off
	s_wait_loadcnt 0x0
	v_lshlrev_b32_e32 v2, 24, v2
	s_delay_alu instid0(VALU_DEP_1) | instskip(NEXT) | instid1(VALU_DEP_1)
	v_and_b32_e32 v3, 0x7f000000, v2
	v_clz_i32_u32_e32 v4, v3
	v_cmp_ne_u32_e32 vcc_lo, 0, v3
	v_add_nc_u32_e32 v6, 0x1000000, v3
	s_delay_alu instid0(VALU_DEP_3) | instskip(NEXT) | instid1(VALU_DEP_1)
	v_min_u32_e32 v4, 32, v4
	v_sub_nc_u32_e64 v4, v4, 4 clamp
	s_delay_alu instid0(VALU_DEP_1) | instskip(NEXT) | instid1(VALU_DEP_1)
	v_dual_lshlrev_b32 v5, v4, v3 :: v_dual_lshlrev_b32 v4, 23, v4
	v_lshrrev_b32_e32 v5, 4, v5
	s_delay_alu instid0(VALU_DEP_1) | instskip(NEXT) | instid1(VALU_DEP_1)
	v_dual_sub_nc_u32 v4, v5, v4 :: v_dual_ashrrev_i32 v5, 8, v6
	v_add_nc_u32_e32 v4, 0x3c000000, v4
	s_delay_alu instid0(VALU_DEP_1) | instskip(NEXT) | instid1(VALU_DEP_1)
	v_and_or_b32 v4, 0x7f800000, v5, v4
	v_cndmask_b32_e32 v3, 0, v4, vcc_lo
	s_delay_alu instid0(VALU_DEP_1) | instskip(NEXT) | instid1(VALU_DEP_1)
	v_and_or_b32 v2, 0x80000000, v2, v3
	v_cvt_f64_f32_e32 v[2:3], v2
.LBB6_853:
	s_mov_b32 s22, 0
.LBB6_854:
	s_delay_alu instid0(SALU_CYCLE_1)
	s_and_not1_b32 vcc_lo, exec_lo, s22
	s_cbranch_vccnz .LBB6_856
; %bb.855:
	s_wait_loadcnt 0x0
	global_load_u8 v2, v[0:1], off
	s_wait_loadcnt 0x0
	v_lshlrev_b32_e32 v3, 25, v2
	v_lshlrev_b16 v2, 8, v2
	s_delay_alu instid0(VALU_DEP_1) | instskip(SKIP_1) | instid1(VALU_DEP_2)
	v_and_or_b32 v5, 0x7f00, v2, 0.5
	v_bfe_i32 v2, v2, 0, 16
	v_dual_add_f32 v5, -0.5, v5 :: v_dual_lshrrev_b32 v4, 4, v3
	v_cmp_gt_u32_e32 vcc_lo, 0x8000000, v3
	s_delay_alu instid0(VALU_DEP_2) | instskip(NEXT) | instid1(VALU_DEP_1)
	v_or_b32_e32 v4, 0x70000000, v4
	v_mul_f32_e32 v4, 0x7800000, v4
	s_delay_alu instid0(VALU_DEP_1) | instskip(NEXT) | instid1(VALU_DEP_1)
	v_cndmask_b32_e32 v3, v4, v5, vcc_lo
	v_and_or_b32 v2, 0x80000000, v2, v3
	s_delay_alu instid0(VALU_DEP_1)
	v_cvt_f64_f32_e32 v[2:3], v2
.LBB6_856:
	s_mov_b32 s22, 0
	s_mov_b32 s23, -1
.LBB6_857:
	s_and_not1_b32 vcc_lo, exec_lo, s22
	s_mov_b32 s22, 0
	s_cbranch_vccnz .LBB6_868
; %bb.858:
	s_cmp_gt_i32 s20, 14
	s_cbranch_scc0 .LBB6_861
; %bb.859:
	s_cmp_eq_u32 s20, 15
	s_cbranch_scc0 .LBB6_864
; %bb.860:
	s_wait_loadcnt 0x0
	global_load_u16 v2, v[0:1], off
	s_mov_b32 s21, 0
	s_mov_b32 s23, -1
	s_wait_loadcnt 0x0
	v_lshlrev_b32_e32 v2, 16, v2
	s_delay_alu instid0(VALU_DEP_1)
	v_cvt_f64_f32_e32 v[2:3], v2
	s_branch .LBB6_866
.LBB6_861:
	s_mov_b32 s22, -1
	s_branch .LBB6_865
.LBB6_862:
	s_or_saveexec_b32 s23, s23
	v_mov_b64_e32 v[2:3], 0x7ff8000020000000
	s_xor_b32 exec_lo, exec_lo, s23
	s_cbranch_execz .LBB6_843
.LBB6_863:
	v_cmp_ne_u16_e32 vcc_lo, 0, v4
	v_mov_b64_e32 v[2:3], 0
	s_and_not1_b32 s22, s22, exec_lo
	s_and_b32 s24, vcc_lo, exec_lo
	s_delay_alu instid0(SALU_CYCLE_1)
	s_or_b32 s22, s22, s24
	s_or_b32 exec_lo, exec_lo, s23
	s_and_saveexec_b32 s23, s22
	s_cbranch_execnz .LBB6_844
	s_branch .LBB6_845
.LBB6_864:
	s_mov_b32 s21, -1
.LBB6_865:
                                        ; implicit-def: $vgpr2_vgpr3
.LBB6_866:
	s_and_b32 vcc_lo, exec_lo, s22
	s_mov_b32 s22, 0
	s_cbranch_vccz .LBB6_868
; %bb.867:
	s_cmp_lg_u32 s20, 11
	s_mov_b32 s22, -1
	s_cselect_b32 s20, -1, 0
	s_and_not1_b32 s21, s21, exec_lo
	s_and_b32 s20, s20, exec_lo
	s_delay_alu instid0(SALU_CYCLE_1)
	s_or_b32 s21, s21, s20
.LBB6_868:
	s_mov_b32 s20, 0
.LBB6_869:
	s_and_not1_b32 s25, s0, exec_lo
	s_and_b32 s21, s21, exec_lo
	s_and_b32 s23, s23, exec_lo
	;; [unrolled: 1-line block ×4, first 2 shown]
	s_or_b32 s21, s25, s21
.LBB6_870:
	s_wait_xcnt 0x0
	s_or_b32 exec_lo, exec_lo, s12
	s_delay_alu instid0(SALU_CYCLE_1)
	s_and_not1_b32 s0, s0, exec_lo
	s_and_b32 s12, s21, exec_lo
	s_and_b32 s23, s23, exec_lo
	;; [unrolled: 1-line block ×4, first 2 shown]
	s_or_b32 s0, s0, s12
.LBB6_871:
	s_or_b32 exec_lo, exec_lo, s18
	s_delay_alu instid0(SALU_CYCLE_1)
	s_and_not1_b32 s12, s16, exec_lo
	s_and_b32 s16, s19, exec_lo
	s_and_b32 s0, s0, exec_lo
	s_or_b32 s16, s12, s16
	s_and_not1_b32 s12, s15, exec_lo
	s_and_b32 s20, s23, exec_lo
	s_and_b32 s19, s22, exec_lo
	s_and_b32 s18, s21, exec_lo
	s_or_b32 s15, s12, s0
.LBB6_872:
	s_or_b32 exec_lo, exec_lo, s17
	s_delay_alu instid0(SALU_CYCLE_1)
	s_and_not1_b32 s0, s11, exec_lo
	s_and_b32 s11, s16, exec_lo
	s_and_not1_b32 s12, s13, exec_lo
	s_and_b32 s13, s15, exec_lo
	s_or_b32 s11, s0, s11
	s_and_b32 s0, s20, exec_lo
	s_and_b32 s16, s19, exec_lo
	;; [unrolled: 1-line block ×3, first 2 shown]
	s_or_b32 s13, s12, s13
	s_or_b32 exec_lo, exec_lo, s14
	s_mov_b32 s12, 0
	s_and_saveexec_b32 s14, s13
	s_cbranch_execz .LBB6_266
.LBB6_873:
	s_mov_b32 s12, exec_lo
	s_and_not1_b32 s15, s15, exec_lo
	s_trap 2
	s_or_b32 exec_lo, exec_lo, s14
	s_and_saveexec_b32 s13, s15
	s_delay_alu instid0(SALU_CYCLE_1)
	s_xor_b32 s13, exec_lo, s13
	s_cbranch_execnz .LBB6_267
.LBB6_874:
	s_or_b32 exec_lo, exec_lo, s13
	s_and_saveexec_b32 s13, s16
	s_cbranch_execz .LBB6_920
.LBB6_875:
	s_sext_i32_i16 s14, s9
	s_delay_alu instid0(SALU_CYCLE_1)
	s_cmp_lt_i32 s14, 5
	s_cbranch_scc1 .LBB6_880
; %bb.876:
	s_cmp_lt_i32 s14, 8
	s_cbranch_scc1 .LBB6_881
; %bb.877:
	;; [unrolled: 3-line block ×3, first 2 shown]
	s_cmp_gt_i32 s14, 9
	s_cbranch_scc0 .LBB6_883
; %bb.879:
	s_wait_loadcnt 0x0
	global_load_b64 v[2:3], v[0:1], off
	s_mov_b32 s14, 0
	s_branch .LBB6_884
.LBB6_880:
                                        ; implicit-def: $vgpr2_vgpr3
	s_branch .LBB6_901
.LBB6_881:
                                        ; implicit-def: $vgpr2_vgpr3
	s_branch .LBB6_890
.LBB6_882:
	s_mov_b32 s14, -1
                                        ; implicit-def: $vgpr2_vgpr3
	s_branch .LBB6_887
.LBB6_883:
	s_mov_b32 s14, -1
                                        ; implicit-def: $vgpr2_vgpr3
.LBB6_884:
	s_delay_alu instid0(SALU_CYCLE_1)
	s_and_not1_b32 vcc_lo, exec_lo, s14
	s_cbranch_vccnz .LBB6_886
; %bb.885:
	s_wait_loadcnt 0x0
	global_load_b32 v2, v[0:1], off
	s_wait_loadcnt 0x0
	v_cvt_f64_f32_e32 v[2:3], v2
.LBB6_886:
	s_mov_b32 s14, 0
.LBB6_887:
	s_delay_alu instid0(SALU_CYCLE_1)
	s_and_not1_b32 vcc_lo, exec_lo, s14
	s_cbranch_vccnz .LBB6_889
; %bb.888:
	s_wait_loadcnt 0x0
	global_load_b32 v2, v[0:1], off
	s_wait_loadcnt 0x0
	v_cvt_f32_f16_e32 v2, v2
	s_delay_alu instid0(VALU_DEP_1)
	v_cvt_f64_f32_e32 v[2:3], v2
.LBB6_889:
	s_cbranch_execnz .LBB6_900
.LBB6_890:
	s_sext_i32_i16 s14, s9
	s_delay_alu instid0(SALU_CYCLE_1)
	s_cmp_lt_i32 s14, 6
	s_cbranch_scc1 .LBB6_893
; %bb.891:
	s_cmp_gt_i32 s14, 6
	s_cbranch_scc0 .LBB6_894
; %bb.892:
	s_wait_loadcnt 0x0
	global_load_b64 v[2:3], v[0:1], off
	s_mov_b32 s14, 0
	s_branch .LBB6_895
.LBB6_893:
	s_mov_b32 s14, -1
                                        ; implicit-def: $vgpr2_vgpr3
	s_branch .LBB6_898
.LBB6_894:
	s_mov_b32 s14, -1
                                        ; implicit-def: $vgpr2_vgpr3
.LBB6_895:
	s_delay_alu instid0(SALU_CYCLE_1)
	s_and_not1_b32 vcc_lo, exec_lo, s14
	s_cbranch_vccnz .LBB6_897
; %bb.896:
	s_wait_loadcnt 0x0
	global_load_b32 v2, v[0:1], off
	s_wait_loadcnt 0x0
	v_cvt_f64_f32_e32 v[2:3], v2
.LBB6_897:
	s_mov_b32 s14, 0
.LBB6_898:
	s_delay_alu instid0(SALU_CYCLE_1)
	s_and_not1_b32 vcc_lo, exec_lo, s14
	s_cbranch_vccnz .LBB6_900
; %bb.899:
	s_wait_loadcnt 0x0
	global_load_u16 v2, v[0:1], off
	s_wait_loadcnt 0x0
	v_cvt_f32_f16_e32 v2, v2
	s_delay_alu instid0(VALU_DEP_1)
	v_cvt_f64_f32_e32 v[2:3], v2
.LBB6_900:
	s_cbranch_execnz .LBB6_919
.LBB6_901:
	s_sext_i32_i16 s14, s9
	s_delay_alu instid0(SALU_CYCLE_1)
	s_cmp_lt_i32 s14, 2
	s_cbranch_scc1 .LBB6_905
; %bb.902:
	s_cmp_lt_i32 s14, 3
	s_cbranch_scc1 .LBB6_906
; %bb.903:
	s_cmp_gt_i32 s14, 3
	s_cbranch_scc0 .LBB6_907
; %bb.904:
	s_wait_loadcnt 0x0
	global_load_b64 v[2:3], v[0:1], off
	s_mov_b32 s14, 0
	s_wait_loadcnt 0x0
	v_cvt_f64_i32_e32 v[4:5], v3
	v_cvt_f64_u32_e32 v[2:3], v2
	s_delay_alu instid0(VALU_DEP_2) | instskip(NEXT) | instid1(VALU_DEP_1)
	v_ldexp_f64 v[4:5], v[4:5], 32
	v_add_f64_e32 v[2:3], v[4:5], v[2:3]
	s_branch .LBB6_908
.LBB6_905:
                                        ; implicit-def: $vgpr2_vgpr3
	s_branch .LBB6_914
.LBB6_906:
	s_mov_b32 s14, -1
                                        ; implicit-def: $vgpr2_vgpr3
	s_branch .LBB6_911
.LBB6_907:
	s_mov_b32 s14, -1
                                        ; implicit-def: $vgpr2_vgpr3
.LBB6_908:
	s_delay_alu instid0(SALU_CYCLE_1)
	s_and_not1_b32 vcc_lo, exec_lo, s14
	s_cbranch_vccnz .LBB6_910
; %bb.909:
	s_wait_loadcnt 0x0
	global_load_b32 v2, v[0:1], off
	s_wait_loadcnt 0x0
	v_cvt_f64_i32_e32 v[2:3], v2
.LBB6_910:
	s_mov_b32 s14, 0
.LBB6_911:
	s_delay_alu instid0(SALU_CYCLE_1)
	s_and_not1_b32 vcc_lo, exec_lo, s14
	s_cbranch_vccnz .LBB6_913
; %bb.912:
	s_wait_loadcnt 0x0
	global_load_i16 v2, v[0:1], off
	s_wait_loadcnt 0x0
	v_cvt_f64_i32_e32 v[2:3], v2
.LBB6_913:
	s_cbranch_execnz .LBB6_919
.LBB6_914:
	s_sext_i32_i16 s14, s9
	s_delay_alu instid0(SALU_CYCLE_1)
	s_cmp_gt_i32 s14, 0
	s_mov_b32 s14, 0
	s_cbranch_scc0 .LBB6_916
; %bb.915:
	s_wait_loadcnt 0x0
	global_load_i8 v2, v[0:1], off
	s_wait_loadcnt 0x0
	v_cvt_f64_i32_e32 v[2:3], v2
	s_branch .LBB6_917
.LBB6_916:
	s_mov_b32 s14, -1
                                        ; implicit-def: $vgpr2_vgpr3
.LBB6_917:
	s_delay_alu instid0(SALU_CYCLE_1)
	s_and_not1_b32 vcc_lo, exec_lo, s14
	s_cbranch_vccnz .LBB6_919
; %bb.918:
	global_load_u8 v0, v[0:1], off
	s_wait_loadcnt 0x0
	v_cvt_f64_u32_e32 v[2:3], v0
.LBB6_919:
	s_or_b32 s0, s0, exec_lo
.LBB6_920:
	s_wait_xcnt 0x0
	s_or_b32 exec_lo, exec_lo, s13
	s_mov_b32 s16, 0
	s_mov_b32 s15, 0
                                        ; implicit-def: $sgpr13
                                        ; implicit-def: $vgpr4_vgpr5
                                        ; implicit-def: $vgpr0_vgpr1
	s_and_saveexec_b32 s14, s0
	s_cbranch_execz .LBB6_999
; %bb.921:
	s_wait_loadcnt 0x0
	s_delay_alu instid0(VALU_DEP_1) | instskip(SKIP_1) | instid1(SALU_CYCLE_1)
	v_cmp_ngt_f64_e64 s0, 0x41d00000, |v[2:3]|
                                        ; implicit-def: $vgpr6
                                        ; implicit-def: $vgpr0_vgpr1
                                        ; implicit-def: $vgpr4_vgpr5
	s_and_saveexec_b32 s13, s0
	s_xor_b32 s0, exec_lo, s13
	s_cbranch_execz .LBB6_923
; %bb.922:
	v_ldexp_f64 v[0:1], |v[2:3]|, 0xffffff80
	v_cmp_le_f64_e64 vcc_lo, 0x7b000000, |v[2:3]|
	v_trig_preop_f64 v[4:5], |v[2:3]|, 0
	v_and_b32_e32 v6, 0x7fffffff, v3
	v_trig_preop_f64 v[16:17], |v[2:3]|, 2
	s_mov_b64 s[16:17], 0x3ff921fb54442d18
	s_delay_alu instid0(VALU_DEP_2) | instskip(SKIP_2) | instid1(VALU_DEP_2)
	v_dual_mov_b32 v26, 0 :: v_dual_cndmask_b32 v1, v6, v1
	v_cndmask_b32_e32 v0, v2, v0, vcc_lo
	v_trig_preop_f64 v[6:7], |v[2:3]|, 1
	v_mul_f64_e32 v[8:9], v[4:5], v[0:1]
	s_delay_alu instid0(VALU_DEP_2) | instskip(NEXT) | instid1(VALU_DEP_2)
	v_mul_f64_e32 v[10:11], v[6:7], v[0:1]
	v_fma_f64 v[4:5], v[4:5], v[0:1], -v[8:9]
	s_delay_alu instid0(VALU_DEP_1) | instskip(NEXT) | instid1(VALU_DEP_1)
	v_add_f64_e32 v[12:13], v[10:11], v[4:5]
	v_add_f64_e64 v[14:15], v[12:13], -v[10:11]
	v_add_f64_e32 v[20:21], v[8:9], v[12:13]
	s_delay_alu instid0(VALU_DEP_2) | instskip(SKIP_2) | instid1(VALU_DEP_4)
	v_add_f64_e64 v[18:19], v[12:13], -v[14:15]
	v_fma_f64 v[6:7], v[6:7], v[0:1], -v[10:11]
	v_add_f64_e64 v[4:5], v[4:5], -v[14:15]
	v_ldexp_f64 v[14:15], v[20:21], -2
	v_mul_f64_e32 v[22:23], v[16:17], v[0:1]
	v_add_f64_e64 v[10:11], v[10:11], -v[18:19]
	s_delay_alu instid0(VALU_DEP_3) | instskip(NEXT) | instid1(VALU_DEP_3)
	v_cmp_neq_f64_e64 vcc_lo, 0x7ff00000, |v[14:15]|
	v_add_f64_e32 v[18:19], v[22:23], v[6:7]
	v_fma_f64 v[0:1], v[16:17], v[0:1], -v[22:23]
	s_delay_alu instid0(VALU_DEP_4) | instskip(SKIP_1) | instid1(VALU_DEP_1)
	v_add_f64_e32 v[4:5], v[4:5], v[10:11]
	v_fract_f64_e32 v[10:11], v[14:15]
	v_ldexp_f64 v[10:11], v[10:11], 2
	s_delay_alu instid0(VALU_DEP_1) | instskip(NEXT) | instid1(VALU_DEP_1)
	v_dual_add_f64 v[8:9], v[20:21], -v[8:9] :: v_dual_cndmask_b32 v11, 0, v11, vcc_lo
	v_dual_add_f64 v[8:9], v[12:13], -v[8:9] :: v_dual_cndmask_b32 v10, 0, v10, vcc_lo
	v_add_f64_e32 v[12:13], v[18:19], v[4:5]
	s_delay_alu instid0(VALU_DEP_1) | instskip(SKIP_1) | instid1(VALU_DEP_2)
	v_add_f64_e32 v[14:15], v[8:9], v[12:13]
	v_add_f64_e64 v[28:29], v[12:13], -v[18:19]
	v_add_f64_e32 v[20:21], v[14:15], v[10:11]
	s_delay_alu instid0(VALU_DEP_2) | instskip(SKIP_2) | instid1(VALU_DEP_4)
	v_add_f64_e64 v[34:35], v[12:13], -v[28:29]
	v_add_f64_e64 v[4:5], v[4:5], -v[28:29]
	;; [unrolled: 1-line block ×3, first 2 shown]
	v_cmp_gt_f64_e32 vcc_lo, 0, v[20:21]
	v_add_f64_e64 v[20:21], v[18:19], -v[22:23]
	v_cndmask_b32_e64 v27, 0, 0x40100000, vcc_lo
	s_delay_alu instid0(VALU_DEP_2) | instskip(SKIP_2) | instid1(VALU_DEP_4)
	v_add_f64_e64 v[32:33], v[18:19], -v[20:21]
	v_add_f64_e64 v[6:7], v[6:7], -v[20:21]
	;; [unrolled: 1-line block ×3, first 2 shown]
	v_add_f64_e32 v[10:11], v[10:11], v[26:27]
	s_delay_alu instid0(VALU_DEP_4) | instskip(NEXT) | instid1(VALU_DEP_3)
	v_add_f64_e64 v[20:21], v[22:23], -v[32:33]
	v_add_f64_e32 v[4:5], v[4:5], v[18:19]
	s_delay_alu instid0(VALU_DEP_3) | instskip(NEXT) | instid1(VALU_DEP_3)
	v_add_f64_e32 v[30:31], v[14:15], v[10:11]
	v_add_f64_e32 v[6:7], v[6:7], v[20:21]
	s_delay_alu instid0(VALU_DEP_2) | instskip(NEXT) | instid1(VALU_DEP_2)
	v_cvt_i32_f64_e32 v25, v[30:31]
	v_add_f64_e32 v[4:5], v[6:7], v[4:5]
	v_add_f64_e64 v[6:7], v[12:13], -v[8:9]
	s_delay_alu instid0(VALU_DEP_3) | instskip(NEXT) | instid1(VALU_DEP_3)
	v_cvt_f64_i32_e32 v[28:29], v25
	v_add_f64_e32 v[0:1], v[0:1], v[4:5]
	s_delay_alu instid0(VALU_DEP_2) | instskip(NEXT) | instid1(VALU_DEP_2)
	v_add_f64_e64 v[10:11], v[10:11], -v[28:29]
	v_add_f64_e32 v[0:1], v[6:7], v[0:1]
	s_delay_alu instid0(VALU_DEP_2) | instskip(NEXT) | instid1(VALU_DEP_1)
	v_add_f64_e32 v[16:17], v[14:15], v[10:11]
	v_add_f64_e64 v[4:5], v[16:17], -v[10:11]
	v_cmp_le_f64_e32 vcc_lo, 0.5, v[16:17]
	s_delay_alu instid0(VALU_DEP_2) | instskip(SKIP_2) | instid1(VALU_DEP_3)
	v_add_f64_e64 v[4:5], v[14:15], -v[4:5]
	v_cndmask_b32_e64 v27, 0, 0x3ff00000, vcc_lo
	v_add_co_ci_u32_e64 v6, null, 0, v25, vcc_lo
	v_add_f64_e32 v[0:1], v[0:1], v[4:5]
	s_delay_alu instid0(VALU_DEP_3) | instskip(NEXT) | instid1(VALU_DEP_1)
	v_add_f64_e64 v[4:5], v[16:17], -v[26:27]
	v_add_f64_e32 v[8:9], v[4:5], v[0:1]
	s_delay_alu instid0(VALU_DEP_1) | instskip(SKIP_1) | instid1(VALU_DEP_2)
	v_mul_f64_e32 v[10:11], 0x3ff921fb54442d18, v[8:9]
	v_add_f64_e64 v[4:5], v[8:9], -v[4:5]
	v_fma_f64 v[12:13], v[8:9], s[16:17], -v[10:11]
	s_delay_alu instid0(VALU_DEP_2) | instskip(NEXT) | instid1(VALU_DEP_2)
	v_add_f64_e64 v[0:1], v[0:1], -v[4:5]
	v_fmamk_f64 v[4:5], v[8:9], 0x3c91a62633145c07, v[12:13]
	s_delay_alu instid0(VALU_DEP_1) | instskip(NEXT) | instid1(VALU_DEP_1)
	v_fmac_f64_e32 v[4:5], 0x3ff921fb54442d18, v[0:1]
	v_add_f64_e32 v[0:1], v[10:11], v[4:5]
	s_delay_alu instid0(VALU_DEP_1) | instskip(NEXT) | instid1(VALU_DEP_1)
	v_add_f64_e64 v[8:9], v[0:1], -v[10:11]
	v_add_f64_e64 v[4:5], v[4:5], -v[8:9]
.LBB6_923:
	s_and_not1_saveexec_b32 s0, s0
	s_cbranch_execz .LBB6_925
; %bb.924:
	s_mov_b64 s[16:17], 0x3fe45f306dc9c883
	s_delay_alu instid0(SALU_CYCLE_1) | instskip(SKIP_1) | instid1(VALU_DEP_1)
	v_mul_f64_e64 v[0:1], |v[2:3]|, s[16:17]
	s_mov_b64 s[16:17], 0xbff921fb54442d18
	v_rndne_f64_e32 v[6:7], v[0:1]
	s_delay_alu instid0(VALU_DEP_1) | instskip(SKIP_1) | instid1(VALU_DEP_2)
	v_fma_f64 v[0:1], v[6:7], s[16:17], |v[2:3]|
	v_mul_f64_e32 v[4:5], 0xbc91a62633145c00, v[6:7]
	v_fmamk_f64 v[12:13], v[6:7], 0xbc91a62633145c00, v[0:1]
	s_delay_alu instid0(VALU_DEP_2) | instskip(NEXT) | instid1(VALU_DEP_1)
	v_add_f64_e32 v[8:9], v[0:1], v[4:5]
	v_add_f64_e64 v[10:11], v[0:1], -v[8:9]
	s_delay_alu instid0(VALU_DEP_3) | instskip(NEXT) | instid1(VALU_DEP_2)
	v_add_f64_e64 v[0:1], v[8:9], -v[12:13]
	v_add_f64_e32 v[8:9], v[10:11], v[4:5]
	v_fmamk_f64 v[4:5], v[6:7], 0x3c91a62633145c00, v[4:5]
	s_delay_alu instid0(VALU_DEP_2) | instskip(NEXT) | instid1(VALU_DEP_1)
	v_add_f64_e32 v[0:1], v[0:1], v[8:9]
	v_add_f64_e64 v[0:1], v[0:1], -v[4:5]
	s_delay_alu instid0(VALU_DEP_1) | instskip(SKIP_1) | instid1(VALU_DEP_2)
	v_fmamk_f64 v[4:5], v[6:7], 0xb97b839a252049c0, v[0:1]
	v_cvt_i32_f64_e32 v6, v[6:7]
	v_add_f64_e32 v[0:1], v[12:13], v[4:5]
	s_delay_alu instid0(VALU_DEP_1) | instskip(NEXT) | instid1(VALU_DEP_1)
	v_add_f64_e64 v[8:9], v[0:1], -v[12:13]
	v_add_f64_e64 v[4:5], v[4:5], -v[8:9]
.LBB6_925:
	s_or_b32 exec_lo, exec_lo, s0
	s_delay_alu instid0(VALU_DEP_4)
	v_dual_mul_f64 v[8:9], v[0:1], v[0:1] :: v_dual_bitop2_b32 v7, 1, v6 bitop3:0x40
	v_cmp_class_f64_e64 s0, v[2:3], 0x1f8
	s_mov_b64 s[16:17], 0x3de5e0b2f9a43bb8
	s_and_b32 s13, s8, 0xff
	v_dual_mul_f64 v[16:17], 0.5, v[4:5] :: v_dual_lshlrev_b32 v2, 30, v6
	v_cmp_eq_u32_e32 vcc_lo, 0, v7
	s_cmp_lt_i32 s13, 11
	s_delay_alu instid0(VALU_DEP_2) | instskip(SKIP_3) | instid1(VALU_DEP_3)
	v_dual_mul_f64 v[10:11], 0.5, v[8:9] :: v_dual_bitop2_b32 v2, v2, v3 bitop3:0x14
	v_mul_f64_e64 v[18:19], v[0:1], -v[8:9]
	v_fmaak_f64 v[20:21], s[16:17], v[8:9], 0xbe5ae600b42fdfa7
	s_mov_b64 s[16:17], 0xbda907db46cc5e42
	v_add_f64_e64 v[12:13], -v[10:11], 1.0
	s_delay_alu instid0(VALU_DEP_1) | instskip(NEXT) | instid1(VALU_DEP_1)
	v_add_f64_e64 v[14:15], -v[12:13], 1.0
	v_add_f64_e64 v[10:11], v[14:15], -v[10:11]
	s_delay_alu instid0(VALU_DEP_4) | instskip(SKIP_1) | instid1(VALU_DEP_2)
	v_fmaak_f64 v[14:15], v[8:9], v[20:21], 0x3ec71de3796cde01
	v_mul_f64_e32 v[20:21], v[8:9], v[8:9]
	v_fmaak_f64 v[14:15], v[8:9], v[14:15], 0xbf2a01a019e83e5c
	s_delay_alu instid0(VALU_DEP_1) | instskip(NEXT) | instid1(VALU_DEP_1)
	v_fmaak_f64 v[14:15], v[8:9], v[14:15], 0x3f81111111110bb3
	v_fmac_f64_e32 v[16:17], v[18:19], v[14:15]
	v_fmaak_f64 v[14:15], s[16:17], v[8:9], 0x3e21eeb69037ab78
	s_mov_b32 s17, 0
	s_mov_b32 s16, -1
	s_delay_alu instid0(VALU_DEP_1) | instskip(SKIP_1) | instid1(VALU_DEP_2)
	v_fmaak_f64 v[14:15], v[8:9], v[14:15], 0xbe927e4fa17f65f6
	v_fma_f64 v[10:11], v[0:1], -v[4:5], v[10:11]
	v_fmaak_f64 v[14:15], v[8:9], v[14:15], 0x3efa01a019f4ec90
	s_delay_alu instid0(VALU_DEP_1) | instskip(SKIP_1) | instid1(VALU_DEP_2)
	v_fmaak_f64 v[14:15], v[8:9], v[14:15], 0xbf56c16c16c16967
	v_fma_f64 v[4:5], v[8:9], v[16:17], -v[4:5]
	v_fmaak_f64 v[8:9], v[8:9], v[14:15], 0x3fa5555555555555
	s_delay_alu instid0(VALU_DEP_1) | instskip(NEXT) | instid1(VALU_DEP_3)
	v_fmac_f64_e32 v[10:11], v[20:21], v[8:9]
	v_fmamk_f64 v[4:5], v[18:19], 0xbfc5555555555555, v[4:5]
	s_delay_alu instid0(VALU_DEP_1) | instskip(NEXT) | instid1(VALU_DEP_3)
	v_add_f64_e64 v[0:1], v[0:1], -v[4:5]
	v_add_f64_e32 v[4:5], v[12:13], v[10:11]
	s_delay_alu instid0(VALU_DEP_1) | instskip(SKIP_1) | instid1(VALU_DEP_3)
	v_cndmask_b32_e32 v7, v4, v0, vcc_lo
	v_mul_lo_u32 v0, v24, s2
	v_cndmask_b32_e32 v3, v5, v1, vcc_lo
	s_delay_alu instid0(VALU_DEP_1) | instskip(NEXT) | instid1(VALU_DEP_3)
	v_bitop3_b32 v2, v3, v2, 0x80000000 bitop3:0x78
	v_ashrrev_i32_e32 v1, 31, v0
	s_delay_alu instid0(VALU_DEP_1) | instskip(SKIP_1) | instid1(VALU_DEP_4)
	v_add_nc_u64_e32 v[4:5], s[4:5], v[0:1]
	v_cndmask_b32_e64 v0, 0, v7, s0
	v_cndmask_b32_e64 v1, 0x7ff80000, v2, s0
	s_mov_b32 s0, s11
	s_cbranch_scc1 .LBB6_1003
; %bb.926:
	s_and_b32 s15, 0xffff, s13
	s_mov_b32 s0, s11
	s_cmp_gt_i32 s15, 25
	s_cbranch_scc0 .LBB6_959
; %bb.927:
	s_cmp_gt_i32 s15, 28
	s_mov_b32 s0, s11
	s_cbranch_scc0 .LBB6_943
; %bb.928:
	s_cmp_gt_i32 s15, 43
	s_mov_b32 s0, s11
	;; [unrolled: 4-line block ×3, first 2 shown]
	s_cbranch_scc0 .LBB6_933
; %bb.930:
	s_cmp_eq_u32 s15, 46
	s_mov_b32 s0, -1
	s_cbranch_scc0 .LBB6_932
; %bb.931:
	v_cvt_f32_f64_e32 v2, v[0:1]
	s_mov_b32 s0, 0
	s_delay_alu instid0(VALU_DEP_1) | instskip(SKIP_1) | instid1(VALU_DEP_2)
	v_bfe_u32 v3, v2, 16, 1
	v_cmp_o_f32_e32 vcc_lo, v2, v2
	v_add3_u32 v3, v2, v3, 0x7fff
	s_delay_alu instid0(VALU_DEP_1) | instskip(NEXT) | instid1(VALU_DEP_1)
	v_lshrrev_b32_e32 v3, 16, v3
	v_cndmask_b32_e32 v2, 0x7fc0, v3, vcc_lo
	global_store_b32 v[4:5], v2, off
.LBB6_932:
	s_mov_b32 s16, 0
.LBB6_933:
	s_delay_alu instid0(SALU_CYCLE_1)
	s_and_b32 vcc_lo, exec_lo, s16
	s_cbranch_vccz .LBB6_938
; %bb.934:
	s_cmp_eq_u32 s15, 44
	s_mov_b32 s0, -1
	s_cbranch_scc0 .LBB6_938
; %bb.935:
	s_wait_xcnt 0x0
	v_cvt_f32_f64_e32 v2, v[0:1]
	v_mov_b32_e32 v3, 0xff
	s_mov_b32 s16, exec_lo
	s_delay_alu instid0(VALU_DEP_2) | instskip(NEXT) | instid1(VALU_DEP_1)
	v_bfe_u32 v6, v2, 23, 8
	v_cmpx_ne_u32_e32 0xff, v6
	s_cbranch_execz .LBB6_937
; %bb.936:
	v_and_b32_e32 v3, 0x400000, v2
	v_and_or_b32 v6, 0x3fffff, v2, v6
	v_lshrrev_b32_e32 v2, 23, v2
	s_delay_alu instid0(VALU_DEP_3) | instskip(NEXT) | instid1(VALU_DEP_3)
	v_cmp_ne_u32_e32 vcc_lo, 0, v3
	v_cmp_ne_u32_e64 s0, 0, v6
	s_and_b32 s0, vcc_lo, s0
	s_delay_alu instid0(SALU_CYCLE_1) | instskip(NEXT) | instid1(VALU_DEP_1)
	v_cndmask_b32_e64 v3, 0, 1, s0
	v_add_nc_u32_e32 v3, v2, v3
.LBB6_937:
	s_or_b32 exec_lo, exec_lo, s16
	s_mov_b32 s0, 0
	global_store_b8 v[4:5], v3, off
.LBB6_938:
	s_mov_b32 s16, 0
.LBB6_939:
	s_delay_alu instid0(SALU_CYCLE_1)
	s_and_b32 vcc_lo, exec_lo, s16
	s_cbranch_vccz .LBB6_942
; %bb.940:
	s_cmp_eq_u32 s15, 29
	s_mov_b32 s0, -1
	s_cbranch_scc0 .LBB6_942
; %bb.941:
	s_wait_xcnt 0x0
	v_trunc_f64_e32 v[2:3], v[0:1]
	s_mov_b32 s0, 0
	s_delay_alu instid0(VALU_DEP_1) | instskip(NEXT) | instid1(VALU_DEP_1)
	v_ldexp_f64 v[6:7], v[2:3], 0xffffffe0
	v_floor_f64_e32 v[6:7], v[6:7]
	s_delay_alu instid0(VALU_DEP_1) | instskip(SKIP_1) | instid1(VALU_DEP_2)
	v_fmamk_f64 v[2:3], v[6:7], 0xc1f00000, v[2:3]
	v_cvt_u32_f64_e32 v7, v[6:7]
	v_cvt_u32_f64_e32 v6, v[2:3]
	global_store_b64 v[4:5], v[6:7], off
.LBB6_942:
	s_mov_b32 s16, 0
.LBB6_943:
	s_delay_alu instid0(SALU_CYCLE_1)
	s_and_b32 vcc_lo, exec_lo, s16
	s_cbranch_vccz .LBB6_958
; %bb.944:
	s_cmp_lt_i32 s15, 27
	s_mov_b32 s16, -1
	s_cbranch_scc1 .LBB6_950
; %bb.945:
	s_wait_xcnt 0x0
	v_cvt_u32_f64_e32 v2, v[0:1]
	s_cmp_gt_i32 s15, 27
	s_cbranch_scc0 .LBB6_947
; %bb.946:
	s_mov_b32 s16, 0
	global_store_b32 v[4:5], v2, off
.LBB6_947:
	s_and_not1_b32 vcc_lo, exec_lo, s16
	s_cbranch_vccnz .LBB6_949
; %bb.948:
	global_store_b16 v[4:5], v2, off
.LBB6_949:
	s_mov_b32 s16, 0
.LBB6_950:
	s_delay_alu instid0(SALU_CYCLE_1)
	s_and_not1_b32 vcc_lo, exec_lo, s16
	s_cbranch_vccnz .LBB6_958
; %bb.951:
	s_wait_xcnt 0x0
	v_cvt_f32_f64_e32 v2, v[0:1]
	v_mov_b32_e32 v6, 0x80
	s_mov_b32 s16, exec_lo
	s_delay_alu instid0(VALU_DEP_2) | instskip(NEXT) | instid1(VALU_DEP_1)
	v_and_b32_e32 v3, 0x7fffffff, v2
	v_cmpx_gt_u32_e32 0x43800000, v3
	s_cbranch_execz .LBB6_957
; %bb.952:
	v_cmp_lt_u32_e32 vcc_lo, 0x3bffffff, v3
                                        ; implicit-def: $vgpr3
	s_and_saveexec_b32 s18, vcc_lo
	s_delay_alu instid0(SALU_CYCLE_1)
	s_xor_b32 s18, exec_lo, s18
	s_cbranch_execz .LBB6_1058
; %bb.953:
	v_bfe_u32 v3, v2, 20, 1
	s_mov_b32 s17, exec_lo
	s_delay_alu instid0(VALU_DEP_1) | instskip(NEXT) | instid1(VALU_DEP_1)
	v_add3_u32 v3, v2, v3, 0x487ffff
	v_lshrrev_b32_e32 v3, 20, v3
	s_and_not1_saveexec_b32 s18, s18
	s_cbranch_execnz .LBB6_1059
.LBB6_954:
	s_or_b32 exec_lo, exec_lo, s18
	v_mov_b32_e32 v6, 0
	s_and_saveexec_b32 s18, s17
.LBB6_955:
	v_lshrrev_b32_e32 v2, 24, v2
	s_delay_alu instid0(VALU_DEP_1)
	v_and_or_b32 v6, 0x80, v2, v3
.LBB6_956:
	s_or_b32 exec_lo, exec_lo, s18
.LBB6_957:
	s_delay_alu instid0(SALU_CYCLE_1)
	s_or_b32 exec_lo, exec_lo, s16
	global_store_b8 v[4:5], v6, off
.LBB6_958:
	s_mov_b32 s16, 0
.LBB6_959:
	s_delay_alu instid0(SALU_CYCLE_1)
	s_and_b32 vcc_lo, exec_lo, s16
	s_mov_b32 s16, 0
	s_cbranch_vccz .LBB6_1002
; %bb.960:
	s_cmp_gt_i32 s15, 22
	s_mov_b32 s17, -1
	s_cbranch_scc0 .LBB6_992
; %bb.961:
	s_cmp_lt_i32 s15, 24
	s_cbranch_scc1 .LBB6_981
; %bb.962:
	s_cmp_gt_i32 s15, 24
	s_cbranch_scc0 .LBB6_970
; %bb.963:
	s_wait_xcnt 0x0
	v_cvt_f32_f64_e32 v2, v[0:1]
	v_mov_b32_e32 v6, 0x80
	s_mov_b32 s17, exec_lo
	s_delay_alu instid0(VALU_DEP_2) | instskip(NEXT) | instid1(VALU_DEP_1)
	v_and_b32_e32 v3, 0x7fffffff, v2
	v_cmpx_gt_u32_e32 0x47800000, v3
	s_cbranch_execz .LBB6_969
; %bb.964:
	v_cmp_lt_u32_e32 vcc_lo, 0x37ffffff, v3
	s_mov_b32 s18, 0
                                        ; implicit-def: $vgpr3
	s_and_saveexec_b32 s19, vcc_lo
	s_delay_alu instid0(SALU_CYCLE_1)
	s_xor_b32 s19, exec_lo, s19
	s_cbranch_execz .LBB6_1188
; %bb.965:
	v_bfe_u32 v3, v2, 21, 1
	s_mov_b32 s18, exec_lo
	s_delay_alu instid0(VALU_DEP_1) | instskip(NEXT) | instid1(VALU_DEP_1)
	v_add3_u32 v3, v2, v3, 0x88fffff
	v_lshrrev_b32_e32 v3, 21, v3
	s_and_not1_saveexec_b32 s19, s19
	s_cbranch_execnz .LBB6_1189
.LBB6_966:
	s_or_b32 exec_lo, exec_lo, s19
	v_mov_b32_e32 v6, 0
	s_and_saveexec_b32 s19, s18
.LBB6_967:
	v_lshrrev_b32_e32 v2, 24, v2
	s_delay_alu instid0(VALU_DEP_1)
	v_and_or_b32 v6, 0x80, v2, v3
.LBB6_968:
	s_or_b32 exec_lo, exec_lo, s19
.LBB6_969:
	s_delay_alu instid0(SALU_CYCLE_1)
	s_or_b32 exec_lo, exec_lo, s17
	s_mov_b32 s17, 0
	global_store_b8 v[4:5], v6, off
.LBB6_970:
	s_and_b32 vcc_lo, exec_lo, s17
	s_cbranch_vccz .LBB6_980
; %bb.971:
	s_wait_xcnt 0x0
	v_cvt_f32_f64_e32 v2, v[0:1]
	s_mov_b32 s17, exec_lo
                                        ; implicit-def: $vgpr3
	s_delay_alu instid0(VALU_DEP_1) | instskip(NEXT) | instid1(VALU_DEP_1)
	v_and_b32_e32 v6, 0x7fffffff, v2
	v_cmpx_gt_u32_e32 0x43f00000, v6
	s_xor_b32 s17, exec_lo, s17
	s_cbranch_execz .LBB6_977
; %bb.972:
	s_mov_b32 s18, exec_lo
                                        ; implicit-def: $vgpr3
	v_cmpx_lt_u32_e32 0x3c7fffff, v6
	s_xor_b32 s18, exec_lo, s18
; %bb.973:
	v_bfe_u32 v3, v2, 20, 1
	s_delay_alu instid0(VALU_DEP_1) | instskip(NEXT) | instid1(VALU_DEP_1)
	v_add3_u32 v3, v2, v3, 0x407ffff
	v_and_b32_e32 v6, 0xff00000, v3
	v_lshrrev_b32_e32 v3, 20, v3
	s_delay_alu instid0(VALU_DEP_2) | instskip(NEXT) | instid1(VALU_DEP_2)
	v_cmp_ne_u32_e32 vcc_lo, 0x7f00000, v6
	v_cndmask_b32_e32 v3, 0x7e, v3, vcc_lo
; %bb.974:
	s_and_not1_saveexec_b32 s18, s18
; %bb.975:
	v_add_f32_e64 v3, 0x46800000, |v2|
; %bb.976:
	s_or_b32 exec_lo, exec_lo, s18
                                        ; implicit-def: $vgpr6
.LBB6_977:
	s_and_not1_saveexec_b32 s17, s17
; %bb.978:
	v_mov_b32_e32 v3, 0x7f
	v_cmp_lt_u32_e32 vcc_lo, 0x7f800000, v6
	s_delay_alu instid0(VALU_DEP_2)
	v_cndmask_b32_e32 v3, 0x7e, v3, vcc_lo
; %bb.979:
	s_or_b32 exec_lo, exec_lo, s17
	v_lshrrev_b32_e32 v2, 24, v2
	s_delay_alu instid0(VALU_DEP_1)
	v_and_or_b32 v2, 0x80, v2, v3
	global_store_b8 v[4:5], v2, off
.LBB6_980:
	s_mov_b32 s17, 0
.LBB6_981:
	s_delay_alu instid0(SALU_CYCLE_1)
	s_and_not1_b32 vcc_lo, exec_lo, s17
	s_cbranch_vccnz .LBB6_991
; %bb.982:
	s_wait_xcnt 0x0
	v_cvt_f32_f64_e32 v2, v[0:1]
	s_mov_b32 s17, exec_lo
                                        ; implicit-def: $vgpr3
	s_delay_alu instid0(VALU_DEP_1) | instskip(NEXT) | instid1(VALU_DEP_1)
	v_and_b32_e32 v6, 0x7fffffff, v2
	v_cmpx_gt_u32_e32 0x47800000, v6
	s_xor_b32 s17, exec_lo, s17
	s_cbranch_execz .LBB6_988
; %bb.983:
	s_mov_b32 s18, exec_lo
                                        ; implicit-def: $vgpr3
	v_cmpx_lt_u32_e32 0x387fffff, v6
	s_xor_b32 s18, exec_lo, s18
; %bb.984:
	v_bfe_u32 v3, v2, 21, 1
	s_delay_alu instid0(VALU_DEP_1) | instskip(NEXT) | instid1(VALU_DEP_1)
	v_add3_u32 v3, v2, v3, 0x80fffff
	v_lshrrev_b32_e32 v3, 21, v3
; %bb.985:
	s_and_not1_saveexec_b32 s18, s18
; %bb.986:
	v_add_f32_e64 v3, 0x43000000, |v2|
; %bb.987:
	s_or_b32 exec_lo, exec_lo, s18
                                        ; implicit-def: $vgpr6
.LBB6_988:
	s_and_not1_saveexec_b32 s17, s17
; %bb.989:
	v_mov_b32_e32 v3, 0x7f
	v_cmp_lt_u32_e32 vcc_lo, 0x7f800000, v6
	s_delay_alu instid0(VALU_DEP_2)
	v_cndmask_b32_e32 v3, 0x7c, v3, vcc_lo
; %bb.990:
	s_or_b32 exec_lo, exec_lo, s17
	v_lshrrev_b32_e32 v2, 24, v2
	s_delay_alu instid0(VALU_DEP_1)
	v_and_or_b32 v2, 0x80, v2, v3
	global_store_b8 v[4:5], v2, off
.LBB6_991:
	s_mov_b32 s17, 0
.LBB6_992:
	s_delay_alu instid0(SALU_CYCLE_1)
	s_and_not1_b32 vcc_lo, exec_lo, s17
	s_mov_b32 s17, 0
	s_cbranch_vccnz .LBB6_1003
; %bb.993:
	s_cmp_gt_i32 s15, 14
	s_mov_b32 s17, -1
	s_cbranch_scc0 .LBB6_997
; %bb.994:
	s_cmp_eq_u32 s15, 15
	s_mov_b32 s0, -1
	s_cbranch_scc0 .LBB6_996
; %bb.995:
	s_wait_xcnt 0x0
	v_cvt_f32_f64_e32 v2, v[0:1]
	s_mov_b32 s0, 0
	s_delay_alu instid0(VALU_DEP_1) | instskip(SKIP_1) | instid1(VALU_DEP_2)
	v_bfe_u32 v3, v2, 16, 1
	v_cmp_o_f32_e32 vcc_lo, v2, v2
	v_add3_u32 v3, v2, v3, 0x7fff
	s_delay_alu instid0(VALU_DEP_1) | instskip(NEXT) | instid1(VALU_DEP_1)
	v_lshrrev_b32_e32 v3, 16, v3
	v_cndmask_b32_e32 v2, 0x7fc0, v3, vcc_lo
	global_store_b16 v[4:5], v2, off
.LBB6_996:
	s_mov_b32 s17, 0
.LBB6_997:
	s_delay_alu instid0(SALU_CYCLE_1)
	s_and_b32 vcc_lo, exec_lo, s17
	s_mov_b32 s17, 0
	s_cbranch_vccz .LBB6_1003
; %bb.998:
	s_cmp_lg_u32 s15, 11
	s_mov_b32 s17, -1
	s_cselect_b32 s15, -1, 0
	s_and_not1_b32 s0, s0, exec_lo
	s_and_b32 s15, s15, exec_lo
	s_delay_alu instid0(SALU_CYCLE_1)
	s_or_b32 s0, s0, s15
	s_branch .LBB6_1003
.LBB6_999:
	s_or_b32 exec_lo, exec_lo, s14
	s_and_saveexec_b32 s0, s11
	s_cbranch_execnz .LBB6_1004
.LBB6_1000:
	s_or_b32 exec_lo, exec_lo, s0
	s_and_saveexec_b32 s0, s16
	s_delay_alu instid0(SALU_CYCLE_1)
	s_xor_b32 s0, exec_lo, s0
	s_cbranch_execz .LBB6_1005
.LBB6_1001:
	v_cmp_neq_f64_e32 vcc_lo, 0, v[0:1]
	s_wait_loadcnt 0x0
	v_cndmask_b32_e64 v2, 0, 1, vcc_lo
	global_store_b8 v[4:5], v2, off
	s_wait_xcnt 0x0
	s_or_b32 exec_lo, exec_lo, s0
	s_and_saveexec_b32 s0, s15
	s_delay_alu instid0(SALU_CYCLE_1)
	s_xor_b32 s0, exec_lo, s0
	s_cbranch_execz .LBB6_1043
	s_branch .LBB6_1006
.LBB6_1002:
	s_mov_b32 s17, 0
.LBB6_1003:
	s_and_not1_b32 s11, s11, exec_lo
	s_and_b32 s0, s0, exec_lo
	s_and_b32 s15, s16, exec_lo
	;; [unrolled: 1-line block ×3, first 2 shown]
	s_or_b32 s11, s11, s0
	s_wait_xcnt 0x0
	s_or_b32 exec_lo, exec_lo, s14
	s_and_saveexec_b32 s0, s11
	s_cbranch_execz .LBB6_1000
.LBB6_1004:
	s_or_b32 s12, s12, exec_lo
	s_and_not1_b32 s16, s16, exec_lo
	s_trap 2
	s_or_b32 exec_lo, exec_lo, s0
	s_and_saveexec_b32 s0, s16
	s_delay_alu instid0(SALU_CYCLE_1)
	s_xor_b32 s0, exec_lo, s0
	s_cbranch_execnz .LBB6_1001
.LBB6_1005:
	s_or_b32 exec_lo, exec_lo, s0
	s_and_saveexec_b32 s0, s15
	s_delay_alu instid0(SALU_CYCLE_1)
	s_xor_b32 s0, exec_lo, s0
	s_cbranch_execz .LBB6_1043
.LBB6_1006:
	s_sext_i32_i16 s14, s13
	s_mov_b32 s11, -1
	s_cmp_lt_i32 s14, 5
	s_cbranch_scc1 .LBB6_1027
; %bb.1007:
	s_cmp_lt_i32 s14, 8
	s_cbranch_scc1 .LBB6_1017
; %bb.1008:
	;; [unrolled: 3-line block ×3, first 2 shown]
	s_cmp_gt_i32 s14, 9
	s_cbranch_scc0 .LBB6_1011
; %bb.1010:
	s_wait_loadcnt 0x0
	v_mov_b64_e32 v[2:3], 0
	s_mov_b32 s11, 0
	global_store_b128 v[4:5], v[0:3], off
.LBB6_1011:
	s_and_not1_b32 vcc_lo, exec_lo, s11
	s_cbranch_vccnz .LBB6_1013
; %bb.1012:
	s_wait_loadcnt 0x0
	v_cvt_f32_f64_e32 v2, v[0:1]
	v_mov_b32_e32 v3, 0
	global_store_b64 v[4:5], v[2:3], off
.LBB6_1013:
	s_mov_b32 s11, 0
.LBB6_1014:
	s_delay_alu instid0(SALU_CYCLE_1)
	s_and_not1_b32 vcc_lo, exec_lo, s11
	s_cbranch_vccnz .LBB6_1016
; %bb.1015:
	s_wait_loadcnt 0x0
	v_and_or_b32 v2, 0x1ff, v1, v0
	v_lshrrev_b32_e32 v3, 8, v1
	v_bfe_u32 v6, v1, 20, 11
	s_delay_alu instid0(VALU_DEP_3) | instskip(NEXT) | instid1(VALU_DEP_2)
	v_cmp_ne_u32_e32 vcc_lo, 0, v2
	v_sub_nc_u32_e32 v7, 0x3f1, v6
	v_cndmask_b32_e64 v2, 0, 1, vcc_lo
	s_delay_alu instid0(VALU_DEP_1) | instskip(NEXT) | instid1(VALU_DEP_3)
	v_and_or_b32 v2, 0xffe, v3, v2
	v_med3_i32 v3, v7, 0, 13
	s_delay_alu instid0(VALU_DEP_2) | instskip(NEXT) | instid1(VALU_DEP_1)
	v_or_b32_e32 v7, 0x1000, v2
	v_lshrrev_b32_e32 v8, v3, v7
	s_delay_alu instid0(VALU_DEP_1) | instskip(NEXT) | instid1(VALU_DEP_1)
	v_lshlrev_b32_e32 v3, v3, v8
	v_cmp_ne_u32_e32 vcc_lo, v3, v7
	v_cndmask_b32_e64 v3, 0, 1, vcc_lo
	s_delay_alu instid0(VALU_DEP_1) | instskip(SKIP_1) | instid1(VALU_DEP_1)
	v_or_b32_e32 v3, v8, v3
	v_add_nc_u32_e32 v6, 0xfffffc10, v6
	v_lshl_or_b32 v7, v6, 12, v2
	v_cmp_gt_i32_e32 vcc_lo, 1, v6
	s_delay_alu instid0(VALU_DEP_2) | instskip(NEXT) | instid1(VALU_DEP_1)
	v_cndmask_b32_e32 v3, v7, v3, vcc_lo
	v_dual_lshrrev_b32 v3, 2, v3 :: v_dual_bitop2_b32 v7, 7, v3 bitop3:0x40
	s_delay_alu instid0(VALU_DEP_1) | instskip(SKIP_4) | instid1(VALU_DEP_2)
	v_cmp_lt_i32_e32 vcc_lo, 5, v7
	v_cndmask_b32_e64 v8, 0, 1, vcc_lo
	v_cmp_eq_u32_e32 vcc_lo, 3, v7
	v_cndmask_b32_e64 v7, 0, 1, vcc_lo
	v_cmp_ne_u32_e32 vcc_lo, 0, v2
	v_or_b32_e32 v7, v7, v8
	s_delay_alu instid0(VALU_DEP_1) | instskip(NEXT) | instid1(VALU_DEP_1)
	v_dual_mov_b32 v8, 0x7e00 :: v_dual_add_nc_u32 v3, v3, v7
	v_cndmask_b32_e32 v2, 0x7c00, v8, vcc_lo
	v_cmp_gt_i32_e32 vcc_lo, 31, v6
	v_lshrrev_b32_e32 v7, 16, v1
	s_delay_alu instid0(VALU_DEP_4) | instskip(SKIP_1) | instid1(VALU_DEP_2)
	v_cndmask_b32_e32 v3, 0x7c00, v3, vcc_lo
	v_cmp_eq_u32_e32 vcc_lo, 0x40f, v6
	v_cndmask_b32_e32 v2, v3, v2, vcc_lo
	s_delay_alu instid0(VALU_DEP_4) | instskip(NEXT) | instid1(VALU_DEP_1)
	v_and_b32_e32 v3, 0x8000, v7
	v_bitop3_b32 v2, v3, 0xffff, v2 bitop3:0xc8
	global_store_b32 v[4:5], v2, off
.LBB6_1016:
	s_mov_b32 s11, 0
.LBB6_1017:
	s_delay_alu instid0(SALU_CYCLE_1)
	s_and_not1_b32 vcc_lo, exec_lo, s11
	s_cbranch_vccnz .LBB6_1026
; %bb.1018:
	s_sext_i32_i16 s14, s13
	s_mov_b32 s11, -1
	s_cmp_lt_i32 s14, 6
	s_cbranch_scc1 .LBB6_1024
; %bb.1019:
	s_cmp_gt_i32 s14, 6
	s_cbranch_scc0 .LBB6_1021
; %bb.1020:
	s_mov_b32 s11, 0
	global_store_b64 v[4:5], v[0:1], off
.LBB6_1021:
	s_and_not1_b32 vcc_lo, exec_lo, s11
	s_cbranch_vccnz .LBB6_1023
; %bb.1022:
	s_wait_loadcnt 0x0
	v_cvt_f32_f64_e32 v2, v[0:1]
	global_store_b32 v[4:5], v2, off
.LBB6_1023:
	s_mov_b32 s11, 0
.LBB6_1024:
	s_delay_alu instid0(SALU_CYCLE_1)
	s_and_not1_b32 vcc_lo, exec_lo, s11
	s_cbranch_vccnz .LBB6_1026
; %bb.1025:
	s_wait_loadcnt 0x0
	v_and_or_b32 v2, 0x1ff, v1, v0
	v_lshrrev_b32_e32 v3, 8, v1
	v_bfe_u32 v6, v1, 20, 11
	s_delay_alu instid0(VALU_DEP_3) | instskip(NEXT) | instid1(VALU_DEP_2)
	v_cmp_ne_u32_e32 vcc_lo, 0, v2
	v_sub_nc_u32_e32 v7, 0x3f1, v6
	v_cndmask_b32_e64 v2, 0, 1, vcc_lo
	s_delay_alu instid0(VALU_DEP_1) | instskip(NEXT) | instid1(VALU_DEP_3)
	v_and_or_b32 v2, 0xffe, v3, v2
	v_med3_i32 v3, v7, 0, 13
	s_delay_alu instid0(VALU_DEP_2) | instskip(NEXT) | instid1(VALU_DEP_1)
	v_or_b32_e32 v7, 0x1000, v2
	v_lshrrev_b32_e32 v8, v3, v7
	s_delay_alu instid0(VALU_DEP_1) | instskip(NEXT) | instid1(VALU_DEP_1)
	v_lshlrev_b32_e32 v3, v3, v8
	v_cmp_ne_u32_e32 vcc_lo, v3, v7
	v_cndmask_b32_e64 v3, 0, 1, vcc_lo
	s_delay_alu instid0(VALU_DEP_1) | instskip(SKIP_1) | instid1(VALU_DEP_1)
	v_or_b32_e32 v3, v8, v3
	v_add_nc_u32_e32 v6, 0xfffffc10, v6
	v_lshl_or_b32 v7, v6, 12, v2
	v_cmp_gt_i32_e32 vcc_lo, 1, v6
	s_delay_alu instid0(VALU_DEP_2) | instskip(NEXT) | instid1(VALU_DEP_1)
	v_cndmask_b32_e32 v3, v7, v3, vcc_lo
	v_dual_lshrrev_b32 v3, 2, v3 :: v_dual_bitop2_b32 v7, 7, v3 bitop3:0x40
	s_delay_alu instid0(VALU_DEP_1) | instskip(SKIP_4) | instid1(VALU_DEP_2)
	v_cmp_lt_i32_e32 vcc_lo, 5, v7
	v_cndmask_b32_e64 v8, 0, 1, vcc_lo
	v_cmp_eq_u32_e32 vcc_lo, 3, v7
	v_cndmask_b32_e64 v7, 0, 1, vcc_lo
	v_cmp_ne_u32_e32 vcc_lo, 0, v2
	v_or_b32_e32 v7, v7, v8
	s_delay_alu instid0(VALU_DEP_1) | instskip(NEXT) | instid1(VALU_DEP_1)
	v_dual_mov_b32 v8, 0x7e00 :: v_dual_add_nc_u32 v3, v3, v7
	v_cndmask_b32_e32 v2, 0x7c00, v8, vcc_lo
	v_cmp_gt_i32_e32 vcc_lo, 31, v6
	s_delay_alu instid0(VALU_DEP_3) | instskip(SKIP_1) | instid1(VALU_DEP_2)
	v_cndmask_b32_e32 v3, 0x7c00, v3, vcc_lo
	v_cmp_eq_u32_e32 vcc_lo, 0x40f, v6
	v_dual_cndmask_b32 v2, v3, v2 :: v_dual_lshrrev_b32 v3, 16, v1
	s_delay_alu instid0(VALU_DEP_1)
	v_and_or_b32 v2, 0x8000, v3, v2
	global_store_b16 v[4:5], v2, off
.LBB6_1026:
	s_mov_b32 s11, 0
.LBB6_1027:
	s_delay_alu instid0(SALU_CYCLE_1)
	s_and_not1_b32 vcc_lo, exec_lo, s11
	s_cbranch_vccnz .LBB6_1043
; %bb.1028:
	s_sext_i32_i16 s14, s13
	s_mov_b32 s11, -1
	s_cmp_lt_i32 s14, 2
	s_cbranch_scc1 .LBB6_1038
; %bb.1029:
	s_cmp_lt_i32 s14, 3
	s_cbranch_scc1 .LBB6_1035
; %bb.1030:
	s_cmp_gt_i32 s14, 3
	s_cbranch_scc0 .LBB6_1032
; %bb.1031:
	s_wait_loadcnt 0x0
	v_trunc_f64_e32 v[2:3], v[0:1]
	s_mov_b32 s11, 0
	s_delay_alu instid0(VALU_DEP_1) | instskip(NEXT) | instid1(VALU_DEP_1)
	v_ldexp_f64 v[6:7], v[2:3], 0xffffffe0
	v_floor_f64_e32 v[6:7], v[6:7]
	s_delay_alu instid0(VALU_DEP_1) | instskip(SKIP_1) | instid1(VALU_DEP_2)
	v_fmamk_f64 v[2:3], v[6:7], 0xc1f00000, v[2:3]
	v_cvt_i32_f64_e32 v7, v[6:7]
	v_cvt_u32_f64_e32 v6, v[2:3]
	global_store_b64 v[4:5], v[6:7], off
.LBB6_1032:
	s_and_not1_b32 vcc_lo, exec_lo, s11
	s_cbranch_vccnz .LBB6_1034
; %bb.1033:
	s_wait_loadcnt 0x0
	v_cvt_i32_f64_e32 v2, v[0:1]
	global_store_b32 v[4:5], v2, off
.LBB6_1034:
	s_mov_b32 s11, 0
.LBB6_1035:
	s_delay_alu instid0(SALU_CYCLE_1)
	s_and_not1_b32 vcc_lo, exec_lo, s11
	s_cbranch_vccnz .LBB6_1037
; %bb.1036:
	s_wait_loadcnt 0x0
	v_cvt_i32_f64_e32 v2, v[0:1]
	global_store_b16 v[4:5], v2, off
.LBB6_1037:
	s_mov_b32 s11, 0
.LBB6_1038:
	s_delay_alu instid0(SALU_CYCLE_1)
	s_and_not1_b32 vcc_lo, exec_lo, s11
	s_cbranch_vccnz .LBB6_1043
; %bb.1039:
	s_sext_i32_i16 s11, s13
	s_delay_alu instid0(SALU_CYCLE_1)
	s_cmp_gt_i32 s11, 0
	s_mov_b32 s11, -1
	s_cbranch_scc0 .LBB6_1041
; %bb.1040:
	s_wait_loadcnt 0x0
	v_cvt_i32_f64_e32 v2, v[0:1]
	s_mov_b32 s11, 0
	global_store_b8 v[4:5], v2, off
.LBB6_1041:
	s_and_not1_b32 vcc_lo, exec_lo, s11
	s_cbranch_vccnz .LBB6_1043
; %bb.1042:
	s_wait_xcnt 0x0
	v_trunc_f64_e32 v[0:1], v[0:1]
	s_wait_loadcnt 0x0
	s_delay_alu instid0(VALU_DEP_1) | instskip(NEXT) | instid1(VALU_DEP_1)
	v_ldexp_f64 v[2:3], v[0:1], 0xffffffe0
	v_floor_f64_e32 v[2:3], v[2:3]
	s_delay_alu instid0(VALU_DEP_1) | instskip(NEXT) | instid1(VALU_DEP_1)
	v_fmamk_f64 v[0:1], v[2:3], 0xc1f00000, v[0:1]
	v_cvt_u32_f64_e32 v0, v[0:1]
	global_store_b8 v[4:5], v0, off
.LBB6_1043:
	s_wait_xcnt 0x0
	s_or_b32 exec_lo, exec_lo, s0
	s_delay_alu instid0(SALU_CYCLE_1)
	s_and_b32 s11, s12, exec_lo
                                        ; implicit-def: $vgpr24
.LBB6_1044:
	s_or_saveexec_b32 s10, s10
	s_mov_b32 s0, 0
                                        ; implicit-def: $sgpr12
                                        ; implicit-def: $vgpr4_vgpr5
                                        ; implicit-def: $vgpr0_vgpr1
	s_xor_b32 exec_lo, exec_lo, s10
	s_cbranch_execz .LBB6_2009
; %bb.1045:
	v_mul_lo_u32 v4, s3, v24
	s_and_b32 s0, 0xffff, s9
	s_delay_alu instid0(SALU_CYCLE_1) | instskip(NEXT) | instid1(VALU_DEP_1)
	s_cmp_lt_i32 s0, 11
	v_ashrrev_i32_e32 v5, 31, v4
	s_wait_loadcnt 0x0
	s_delay_alu instid0(VALU_DEP_1)
	v_add_nc_u64_e32 v[2:3], s[6:7], v[4:5]
	s_cbranch_scc1 .LBB6_1052
; %bb.1046:
	s_cmp_gt_i32 s0, 25
	s_mov_b32 s9, 0
	s_cbranch_scc0 .LBB6_1054
; %bb.1047:
	s_cmp_gt_i32 s0, 28
	s_cbranch_scc0 .LBB6_1055
; %bb.1048:
	s_cmp_gt_i32 s0, 43
	;; [unrolled: 3-line block ×3, first 2 shown]
	s_cbranch_scc0 .LBB6_1057
; %bb.1050:
	s_cmp_eq_u32 s0, 46
	s_mov_b32 s13, 0
	s_cbranch_scc0 .LBB6_1060
; %bb.1051:
	global_load_b32 v0, v[2:3], off
	s_mov_b32 s12, -1
	s_wait_loadcnt 0x0
	v_lshlrev_b32_e32 v0, 16, v0
	s_delay_alu instid0(VALU_DEP_1)
	v_cvt_f64_f32_e32 v[0:1], v0
	s_branch .LBB6_1062
.LBB6_1052:
	s_mov_b32 s12, 0
	s_mov_b32 s1, s11
                                        ; implicit-def: $vgpr0_vgpr1
	s_cbranch_execnz .LBB6_1125
.LBB6_1053:
	s_and_not1_b32 vcc_lo, exec_lo, s12
                                        ; implicit-def: $vgpr2_vgpr3
	s_cbranch_vccz .LBB6_1170
	s_branch .LBB6_2007
.LBB6_1054:
	s_mov_b32 s12, 0
                                        ; implicit-def: $vgpr0_vgpr1
	s_cbranch_execnz .LBB6_1090
	s_branch .LBB6_1121
.LBB6_1055:
	s_mov_b32 s13, -1
	s_mov_b32 s12, 0
                                        ; implicit-def: $vgpr0_vgpr1
	s_branch .LBB6_1071
.LBB6_1056:
	s_mov_b32 s12, 0
                                        ; implicit-def: $vgpr0_vgpr1
	s_cbranch_execnz .LBB6_1067
	s_branch .LBB6_1070
.LBB6_1057:
	s_mov_b32 s13, -1
	s_branch .LBB6_1061
.LBB6_1058:
	s_and_not1_saveexec_b32 s18, s18
	s_cbranch_execz .LBB6_954
.LBB6_1059:
	v_add_f32_e64 v3, 0x46000000, |v2|
	s_and_not1_b32 s17, s17, exec_lo
	s_delay_alu instid0(VALU_DEP_1) | instskip(NEXT) | instid1(VALU_DEP_1)
	v_and_b32_e32 v3, 0xff, v3
	v_cmp_ne_u32_e32 vcc_lo, 0, v3
	s_and_b32 s19, vcc_lo, exec_lo
	s_delay_alu instid0(SALU_CYCLE_1)
	s_or_b32 s17, s17, s19
	s_or_b32 exec_lo, exec_lo, s18
	v_mov_b32_e32 v6, 0
	s_and_saveexec_b32 s18, s17
	s_cbranch_execnz .LBB6_955
	s_branch .LBB6_956
.LBB6_1060:
	s_mov_b32 s1, -1
.LBB6_1061:
	s_mov_b32 s12, 0
                                        ; implicit-def: $vgpr0_vgpr1
.LBB6_1062:
	s_and_b32 vcc_lo, exec_lo, s13
	s_cbranch_vccz .LBB6_1065
; %bb.1063:
	s_cmp_eq_u32 s0, 44
	s_cbranch_scc0 .LBB6_1066
; %bb.1064:
	global_load_u8 v5, v[2:3], off
	s_mov_b32 s1, 0
	s_mov_b32 s12, -1
	s_wait_loadcnt 0x0
	v_lshlrev_b32_e32 v0, 23, v5
	v_cmp_ne_u32_e32 vcc_lo, 0xff, v5
	s_delay_alu instid0(VALU_DEP_2) | instskip(NEXT) | instid1(VALU_DEP_1)
	v_cvt_f64_f32_e32 v[0:1], v0
	v_cndmask_b32_e32 v0, 0x20000000, v0, vcc_lo
	s_delay_alu instid0(VALU_DEP_2) | instskip(SKIP_1) | instid1(VALU_DEP_2)
	v_cndmask_b32_e32 v1, 0x7ff80000, v1, vcc_lo
	v_cmp_ne_u32_e32 vcc_lo, 0, v5
	v_cndmask_b32_e32 v1, 0x38000000, v1, vcc_lo
	s_delay_alu instid0(VALU_DEP_4)
	v_cndmask_b32_e32 v0, 0, v0, vcc_lo
.LBB6_1065:
	s_branch .LBB6_1070
.LBB6_1066:
	s_mov_b32 s1, -1
                                        ; implicit-def: $vgpr0_vgpr1
	s_branch .LBB6_1070
.LBB6_1067:
	s_cmp_eq_u32 s0, 29
	s_cbranch_scc0 .LBB6_1069
; %bb.1068:
	global_load_b64 v[0:1], v[2:3], off
	s_mov_b32 s1, 0
	s_mov_b32 s12, -1
	s_mov_b32 s13, 0
	s_wait_loadcnt 0x0
	v_cvt_f64_u32_e32 v[6:7], v1
	v_cvt_f64_u32_e32 v[0:1], v0
	s_delay_alu instid0(VALU_DEP_2) | instskip(NEXT) | instid1(VALU_DEP_1)
	v_ldexp_f64 v[6:7], v[6:7], 32
	v_add_f64_e32 v[0:1], v[6:7], v[0:1]
	s_branch .LBB6_1071
.LBB6_1069:
	s_mov_b32 s1, -1
                                        ; implicit-def: $vgpr0_vgpr1
.LBB6_1070:
	s_mov_b32 s13, 0
.LBB6_1071:
	s_delay_alu instid0(SALU_CYCLE_1)
	s_and_b32 vcc_lo, exec_lo, s13
	s_cbranch_vccz .LBB6_1089
; %bb.1072:
	s_cmp_lt_i32 s0, 27
	s_cbranch_scc1 .LBB6_1075
; %bb.1073:
	s_cmp_gt_i32 s0, 27
	s_cbranch_scc0 .LBB6_1076
; %bb.1074:
	global_load_b32 v0, v[2:3], off
	s_mov_b32 s12, 0
	s_wait_loadcnt 0x0
	v_cvt_f64_u32_e32 v[0:1], v0
	s_branch .LBB6_1077
.LBB6_1075:
	s_mov_b32 s12, -1
                                        ; implicit-def: $vgpr0_vgpr1
	s_branch .LBB6_1080
.LBB6_1076:
	s_mov_b32 s12, -1
                                        ; implicit-def: $vgpr0_vgpr1
.LBB6_1077:
	s_delay_alu instid0(SALU_CYCLE_1)
	s_and_not1_b32 vcc_lo, exec_lo, s12
	s_cbranch_vccnz .LBB6_1079
; %bb.1078:
	global_load_u16 v0, v[2:3], off
	s_wait_loadcnt 0x0
	v_cvt_f64_u32_e32 v[0:1], v0
.LBB6_1079:
	s_mov_b32 s12, 0
.LBB6_1080:
	s_delay_alu instid0(SALU_CYCLE_1)
	s_and_not1_b32 vcc_lo, exec_lo, s12
	s_cbranch_vccnz .LBB6_1088
; %bb.1081:
	global_load_u8 v5, v[2:3], off
	s_mov_b32 s12, 0
	s_mov_b32 s13, exec_lo
	s_wait_loadcnt 0x0
	v_cmpx_lt_i16_e32 0x7f, v5
	s_xor_b32 s13, exec_lo, s13
	s_cbranch_execz .LBB6_1101
; %bb.1082:
	s_mov_b32 s12, -1
	s_mov_b32 s14, exec_lo
	v_cmpx_eq_u16_e32 0x80, v5
; %bb.1083:
	s_xor_b32 s12, exec_lo, -1
; %bb.1084:
	s_or_b32 exec_lo, exec_lo, s14
	s_delay_alu instid0(SALU_CYCLE_1)
	s_and_b32 s12, s12, exec_lo
	s_or_saveexec_b32 s13, s13
	v_mov_b64_e32 v[0:1], 0x7ff8000020000000
	s_xor_b32 exec_lo, exec_lo, s13
	s_cbranch_execnz .LBB6_1102
.LBB6_1085:
	s_or_b32 exec_lo, exec_lo, s13
	s_and_saveexec_b32 s13, s12
	s_cbranch_execz .LBB6_1087
.LBB6_1086:
	v_and_b32_e32 v0, 0xffff, v5
	s_delay_alu instid0(VALU_DEP_1) | instskip(SKIP_1) | instid1(VALU_DEP_2)
	v_and_b32_e32 v1, 7, v0
	v_bfe_u32 v8, v0, 3, 4
	v_clz_i32_u32_e32 v6, v1
	s_delay_alu instid0(VALU_DEP_2) | instskip(NEXT) | instid1(VALU_DEP_2)
	v_cmp_eq_u32_e32 vcc_lo, 0, v8
	v_min_u32_e32 v6, 32, v6
	s_delay_alu instid0(VALU_DEP_1) | instskip(NEXT) | instid1(VALU_DEP_1)
	v_subrev_nc_u32_e32 v7, 28, v6
	v_dual_lshlrev_b32 v0, v7, v0 :: v_dual_sub_nc_u32 v6, 29, v6
	s_delay_alu instid0(VALU_DEP_1) | instskip(NEXT) | instid1(VALU_DEP_1)
	v_dual_lshlrev_b32 v5, 24, v5 :: v_dual_bitop2_b32 v0, 7, v0 bitop3:0x40
	v_dual_cndmask_b32 v6, v8, v6, vcc_lo :: v_dual_cndmask_b32 v0, v1, v0, vcc_lo
	s_delay_alu instid0(VALU_DEP_2) | instskip(NEXT) | instid1(VALU_DEP_2)
	v_and_b32_e32 v1, 0x80000000, v5
	v_lshl_add_u32 v5, v6, 23, 0x3b800000
	s_delay_alu instid0(VALU_DEP_3) | instskip(NEXT) | instid1(VALU_DEP_1)
	v_lshlrev_b32_e32 v0, 20, v0
	v_or3_b32 v0, v1, v5, v0
	s_delay_alu instid0(VALU_DEP_1)
	v_cvt_f64_f32_e32 v[0:1], v0
.LBB6_1087:
	s_or_b32 exec_lo, exec_lo, s13
.LBB6_1088:
	s_mov_b32 s12, -1
.LBB6_1089:
	s_branch .LBB6_1121
.LBB6_1090:
	s_cmp_gt_i32 s0, 22
	s_cbranch_scc0 .LBB6_1100
; %bb.1091:
	s_cmp_lt_i32 s0, 24
	s_cbranch_scc1 .LBB6_1103
; %bb.1092:
	s_cmp_gt_i32 s0, 24
	s_cbranch_scc0 .LBB6_1104
; %bb.1093:
	global_load_u8 v5, v[2:3], off
	s_mov_b32 s12, exec_lo
	s_wait_loadcnt 0x0
	v_cmpx_lt_i16_e32 0x7f, v5
	s_xor_b32 s12, exec_lo, s12
	s_cbranch_execz .LBB6_1115
; %bb.1094:
	s_mov_b32 s9, -1
	s_mov_b32 s13, exec_lo
	v_cmpx_eq_u16_e32 0x80, v5
; %bb.1095:
	s_xor_b32 s9, exec_lo, -1
; %bb.1096:
	s_or_b32 exec_lo, exec_lo, s13
	s_delay_alu instid0(SALU_CYCLE_1)
	s_and_b32 s9, s9, exec_lo
	s_or_saveexec_b32 s12, s12
	v_mov_b64_e32 v[0:1], 0x7ff8000020000000
	s_xor_b32 exec_lo, exec_lo, s12
	s_cbranch_execnz .LBB6_1116
.LBB6_1097:
	s_or_b32 exec_lo, exec_lo, s12
	s_and_saveexec_b32 s12, s9
	s_cbranch_execz .LBB6_1099
.LBB6_1098:
	v_and_b32_e32 v0, 0xffff, v5
	s_delay_alu instid0(VALU_DEP_1) | instskip(SKIP_1) | instid1(VALU_DEP_2)
	v_and_b32_e32 v1, 3, v0
	v_bfe_u32 v8, v0, 2, 5
	v_clz_i32_u32_e32 v6, v1
	s_delay_alu instid0(VALU_DEP_2) | instskip(NEXT) | instid1(VALU_DEP_2)
	v_cmp_eq_u32_e32 vcc_lo, 0, v8
	v_min_u32_e32 v6, 32, v6
	s_delay_alu instid0(VALU_DEP_1) | instskip(NEXT) | instid1(VALU_DEP_1)
	v_subrev_nc_u32_e32 v7, 29, v6
	v_dual_lshlrev_b32 v0, v7, v0 :: v_dual_sub_nc_u32 v6, 30, v6
	s_delay_alu instid0(VALU_DEP_1) | instskip(NEXT) | instid1(VALU_DEP_1)
	v_dual_lshlrev_b32 v5, 24, v5 :: v_dual_bitop2_b32 v0, 3, v0 bitop3:0x40
	v_dual_cndmask_b32 v6, v8, v6, vcc_lo :: v_dual_cndmask_b32 v0, v1, v0, vcc_lo
	s_delay_alu instid0(VALU_DEP_2) | instskip(NEXT) | instid1(VALU_DEP_2)
	v_and_b32_e32 v1, 0x80000000, v5
	v_lshl_add_u32 v5, v6, 23, 0x37800000
	s_delay_alu instid0(VALU_DEP_3) | instskip(NEXT) | instid1(VALU_DEP_1)
	v_lshlrev_b32_e32 v0, 21, v0
	v_or3_b32 v0, v1, v5, v0
	s_delay_alu instid0(VALU_DEP_1)
	v_cvt_f64_f32_e32 v[0:1], v0
.LBB6_1099:
	s_or_b32 exec_lo, exec_lo, s12
	s_mov_b32 s9, 0
	s_branch .LBB6_1105
.LBB6_1100:
                                        ; implicit-def: $vgpr0_vgpr1
	s_mov_b32 s9, 0
	s_branch .LBB6_1111
.LBB6_1101:
	s_or_saveexec_b32 s13, s13
	v_mov_b64_e32 v[0:1], 0x7ff8000020000000
	s_xor_b32 exec_lo, exec_lo, s13
	s_cbranch_execz .LBB6_1085
.LBB6_1102:
	v_cmp_ne_u16_e32 vcc_lo, 0, v5
	v_mov_b64_e32 v[0:1], 0
	s_and_not1_b32 s12, s12, exec_lo
	s_and_b32 s14, vcc_lo, exec_lo
	s_delay_alu instid0(SALU_CYCLE_1)
	s_or_b32 s12, s12, s14
	s_or_b32 exec_lo, exec_lo, s13
	s_and_saveexec_b32 s13, s12
	s_cbranch_execnz .LBB6_1086
	s_branch .LBB6_1087
.LBB6_1103:
	s_mov_b32 s9, -1
                                        ; implicit-def: $vgpr0_vgpr1
	s_branch .LBB6_1108
.LBB6_1104:
	s_mov_b32 s9, -1
                                        ; implicit-def: $vgpr0_vgpr1
.LBB6_1105:
	s_delay_alu instid0(SALU_CYCLE_1)
	s_and_b32 vcc_lo, exec_lo, s9
	s_cbranch_vccz .LBB6_1107
; %bb.1106:
	global_load_u8 v0, v[2:3], off
	s_wait_loadcnt 0x0
	v_lshlrev_b32_e32 v0, 24, v0
	s_delay_alu instid0(VALU_DEP_1) | instskip(NEXT) | instid1(VALU_DEP_1)
	v_and_b32_e32 v1, 0x7f000000, v0
	v_clz_i32_u32_e32 v5, v1
	v_add_nc_u32_e32 v7, 0x1000000, v1
	v_cmp_ne_u32_e32 vcc_lo, 0, v1
	s_delay_alu instid0(VALU_DEP_3) | instskip(NEXT) | instid1(VALU_DEP_1)
	v_min_u32_e32 v5, 32, v5
	v_sub_nc_u32_e64 v5, v5, 4 clamp
	s_delay_alu instid0(VALU_DEP_1) | instskip(NEXT) | instid1(VALU_DEP_1)
	v_lshlrev_b32_e32 v6, v5, v1
	v_dual_lshlrev_b32 v5, 23, v5 :: v_dual_lshrrev_b32 v6, 4, v6
	s_delay_alu instid0(VALU_DEP_1) | instskip(NEXT) | instid1(VALU_DEP_1)
	v_dual_sub_nc_u32 v5, v6, v5 :: v_dual_ashrrev_i32 v6, 8, v7
	v_add_nc_u32_e32 v5, 0x3c000000, v5
	s_delay_alu instid0(VALU_DEP_1) | instskip(NEXT) | instid1(VALU_DEP_1)
	v_and_or_b32 v5, 0x7f800000, v6, v5
	v_cndmask_b32_e32 v1, 0, v5, vcc_lo
	s_delay_alu instid0(VALU_DEP_1) | instskip(NEXT) | instid1(VALU_DEP_1)
	v_and_or_b32 v0, 0x80000000, v0, v1
	v_cvt_f64_f32_e32 v[0:1], v0
.LBB6_1107:
	s_mov_b32 s9, 0
.LBB6_1108:
	s_delay_alu instid0(SALU_CYCLE_1)
	s_and_not1_b32 vcc_lo, exec_lo, s9
	s_cbranch_vccnz .LBB6_1110
; %bb.1109:
	global_load_u8 v0, v[2:3], off
	s_wait_loadcnt 0x0
	v_lshlrev_b32_e32 v1, 25, v0
	v_lshlrev_b16 v0, 8, v0
	s_delay_alu instid0(VALU_DEP_1) | instskip(SKIP_1) | instid1(VALU_DEP_2)
	v_and_or_b32 v6, 0x7f00, v0, 0.5
	v_bfe_i32 v0, v0, 0, 16
	v_dual_add_f32 v6, -0.5, v6 :: v_dual_lshrrev_b32 v5, 4, v1
	v_cmp_gt_u32_e32 vcc_lo, 0x8000000, v1
	s_delay_alu instid0(VALU_DEP_2) | instskip(NEXT) | instid1(VALU_DEP_1)
	v_or_b32_e32 v5, 0x70000000, v5
	v_mul_f32_e32 v5, 0x7800000, v5
	s_delay_alu instid0(VALU_DEP_1) | instskip(NEXT) | instid1(VALU_DEP_1)
	v_cndmask_b32_e32 v1, v5, v6, vcc_lo
	v_and_or_b32 v0, 0x80000000, v0, v1
	s_delay_alu instid0(VALU_DEP_1)
	v_cvt_f64_f32_e32 v[0:1], v0
.LBB6_1110:
	s_mov_b32 s12, -1
	s_mov_b32 s9, 0
	s_cbranch_execnz .LBB6_1121
.LBB6_1111:
	s_cmp_gt_i32 s0, 14
	s_cbranch_scc0 .LBB6_1114
; %bb.1112:
	s_cmp_eq_u32 s0, 15
	s_cbranch_scc0 .LBB6_1117
; %bb.1113:
	global_load_u16 v0, v[2:3], off
	s_mov_b32 s1, 0
	s_mov_b32 s12, -1
	s_wait_loadcnt 0x0
	v_lshlrev_b32_e32 v0, 16, v0
	s_delay_alu instid0(VALU_DEP_1)
	v_cvt_f64_f32_e32 v[0:1], v0
	s_branch .LBB6_1119
.LBB6_1114:
	s_mov_b32 s9, -1
	s_branch .LBB6_1118
.LBB6_1115:
	s_or_saveexec_b32 s12, s12
	v_mov_b64_e32 v[0:1], 0x7ff8000020000000
	s_xor_b32 exec_lo, exec_lo, s12
	s_cbranch_execz .LBB6_1097
.LBB6_1116:
	v_cmp_ne_u16_e32 vcc_lo, 0, v5
	v_mov_b64_e32 v[0:1], 0
	s_and_not1_b32 s9, s9, exec_lo
	s_and_b32 s13, vcc_lo, exec_lo
	s_delay_alu instid0(SALU_CYCLE_1)
	s_or_b32 s9, s9, s13
	s_or_b32 exec_lo, exec_lo, s12
	s_and_saveexec_b32 s12, s9
	s_cbranch_execnz .LBB6_1098
	s_branch .LBB6_1099
.LBB6_1117:
	s_mov_b32 s1, -1
.LBB6_1118:
                                        ; implicit-def: $vgpr0_vgpr1
.LBB6_1119:
	s_and_b32 vcc_lo, exec_lo, s9
	s_mov_b32 s9, 0
	s_cbranch_vccz .LBB6_1121
; %bb.1120:
	s_cmp_lg_u32 s0, 11
	s_mov_b32 s9, -1
	s_cselect_b32 s1, -1, 0
.LBB6_1121:
	s_delay_alu instid0(SALU_CYCLE_1)
	s_and_b32 vcc_lo, exec_lo, s1
	s_mov_b32 s1, s11
	s_cbranch_vccnz .LBB6_1186
; %bb.1122:
	s_and_not1_b32 vcc_lo, exec_lo, s9
	s_cbranch_vccnz .LBB6_1124
.LBB6_1123:
	global_load_u8 v0, v[2:3], off
	s_mov_b32 s12, -1
	s_wait_loadcnt 0x0
	v_cmp_ne_u16_e32 vcc_lo, 0, v0
	v_mov_b32_e32 v0, 0
	v_cndmask_b32_e64 v1, 0, 0x3ff00000, vcc_lo
.LBB6_1124:
	s_branch .LBB6_1053
.LBB6_1125:
	s_cmp_lt_i32 s0, 5
	s_cbranch_scc1 .LBB6_1130
; %bb.1126:
	s_cmp_lt_i32 s0, 8
	s_cbranch_scc1 .LBB6_1131
; %bb.1127:
	;; [unrolled: 3-line block ×3, first 2 shown]
	s_cmp_gt_i32 s0, 9
	s_cbranch_scc0 .LBB6_1133
; %bb.1129:
	global_load_b64 v[0:1], v[2:3], off
	s_mov_b32 s9, 0
	s_branch .LBB6_1134
.LBB6_1130:
                                        ; implicit-def: $vgpr0_vgpr1
	s_branch .LBB6_1151
.LBB6_1131:
                                        ; implicit-def: $vgpr0_vgpr1
	s_branch .LBB6_1140
.LBB6_1132:
	s_mov_b32 s9, -1
                                        ; implicit-def: $vgpr0_vgpr1
	s_branch .LBB6_1137
.LBB6_1133:
	s_mov_b32 s9, -1
                                        ; implicit-def: $vgpr0_vgpr1
.LBB6_1134:
	s_delay_alu instid0(SALU_CYCLE_1)
	s_and_not1_b32 vcc_lo, exec_lo, s9
	s_cbranch_vccnz .LBB6_1136
; %bb.1135:
	s_wait_loadcnt 0x0
	global_load_b32 v0, v[2:3], off
	s_wait_loadcnt 0x0
	v_cvt_f64_f32_e32 v[0:1], v0
.LBB6_1136:
	s_mov_b32 s9, 0
.LBB6_1137:
	s_delay_alu instid0(SALU_CYCLE_1)
	s_and_not1_b32 vcc_lo, exec_lo, s9
	s_cbranch_vccnz .LBB6_1139
; %bb.1138:
	s_wait_loadcnt 0x0
	global_load_b32 v0, v[2:3], off
	s_wait_loadcnt 0x0
	v_cvt_f32_f16_e32 v0, v0
	s_delay_alu instid0(VALU_DEP_1)
	v_cvt_f64_f32_e32 v[0:1], v0
.LBB6_1139:
	s_cbranch_execnz .LBB6_1150
.LBB6_1140:
	s_cmp_lt_i32 s0, 6
	s_cbranch_scc1 .LBB6_1143
; %bb.1141:
	s_cmp_gt_i32 s0, 6
	s_cbranch_scc0 .LBB6_1144
; %bb.1142:
	s_wait_loadcnt 0x0
	global_load_b64 v[0:1], v[2:3], off
	s_mov_b32 s9, 0
	s_branch .LBB6_1145
.LBB6_1143:
	s_mov_b32 s9, -1
                                        ; implicit-def: $vgpr0_vgpr1
	s_branch .LBB6_1148
.LBB6_1144:
	s_mov_b32 s9, -1
                                        ; implicit-def: $vgpr0_vgpr1
.LBB6_1145:
	s_delay_alu instid0(SALU_CYCLE_1)
	s_and_not1_b32 vcc_lo, exec_lo, s9
	s_cbranch_vccnz .LBB6_1147
; %bb.1146:
	s_wait_loadcnt 0x0
	global_load_b32 v0, v[2:3], off
	s_wait_loadcnt 0x0
	v_cvt_f64_f32_e32 v[0:1], v0
.LBB6_1147:
	s_mov_b32 s9, 0
.LBB6_1148:
	s_delay_alu instid0(SALU_CYCLE_1)
	s_and_not1_b32 vcc_lo, exec_lo, s9
	s_cbranch_vccnz .LBB6_1150
; %bb.1149:
	s_wait_loadcnt 0x0
	global_load_u16 v0, v[2:3], off
	s_wait_loadcnt 0x0
	v_cvt_f32_f16_e32 v0, v0
	s_delay_alu instid0(VALU_DEP_1)
	v_cvt_f64_f32_e32 v[0:1], v0
.LBB6_1150:
	s_cbranch_execnz .LBB6_1169
.LBB6_1151:
	s_cmp_lt_i32 s0, 2
	s_cbranch_scc1 .LBB6_1155
; %bb.1152:
	s_cmp_lt_i32 s0, 3
	s_cbranch_scc1 .LBB6_1156
; %bb.1153:
	s_cmp_gt_i32 s0, 3
	s_cbranch_scc0 .LBB6_1157
; %bb.1154:
	s_wait_loadcnt 0x0
	global_load_b64 v[0:1], v[2:3], off
	s_mov_b32 s9, 0
	s_wait_loadcnt 0x0
	v_cvt_f64_i32_e32 v[6:7], v1
	v_cvt_f64_u32_e32 v[0:1], v0
	s_delay_alu instid0(VALU_DEP_2) | instskip(NEXT) | instid1(VALU_DEP_1)
	v_ldexp_f64 v[6:7], v[6:7], 32
	v_add_f64_e32 v[0:1], v[6:7], v[0:1]
	s_branch .LBB6_1158
.LBB6_1155:
                                        ; implicit-def: $vgpr0_vgpr1
	s_branch .LBB6_1164
.LBB6_1156:
	s_mov_b32 s9, -1
                                        ; implicit-def: $vgpr0_vgpr1
	s_branch .LBB6_1161
.LBB6_1157:
	s_mov_b32 s9, -1
                                        ; implicit-def: $vgpr0_vgpr1
.LBB6_1158:
	s_delay_alu instid0(SALU_CYCLE_1)
	s_and_not1_b32 vcc_lo, exec_lo, s9
	s_cbranch_vccnz .LBB6_1160
; %bb.1159:
	s_wait_loadcnt 0x0
	global_load_b32 v0, v[2:3], off
	s_wait_loadcnt 0x0
	v_cvt_f64_i32_e32 v[0:1], v0
.LBB6_1160:
	s_mov_b32 s9, 0
.LBB6_1161:
	s_delay_alu instid0(SALU_CYCLE_1)
	s_and_not1_b32 vcc_lo, exec_lo, s9
	s_cbranch_vccnz .LBB6_1163
; %bb.1162:
	s_wait_loadcnt 0x0
	global_load_i16 v0, v[2:3], off
	s_wait_loadcnt 0x0
	v_cvt_f64_i32_e32 v[0:1], v0
.LBB6_1163:
	s_cbranch_execnz .LBB6_1169
.LBB6_1164:
	s_cmp_gt_i32 s0, 0
	s_mov_b32 s9, 0
	s_cbranch_scc0 .LBB6_1166
; %bb.1165:
	s_wait_loadcnt 0x0
	global_load_i8 v0, v[2:3], off
	s_wait_loadcnt 0x0
	v_cvt_f64_i32_e32 v[0:1], v0
	s_branch .LBB6_1167
.LBB6_1166:
	s_mov_b32 s9, -1
                                        ; implicit-def: $vgpr0_vgpr1
.LBB6_1167:
	s_delay_alu instid0(SALU_CYCLE_1)
	s_and_not1_b32 vcc_lo, exec_lo, s9
	s_cbranch_vccnz .LBB6_1169
; %bb.1168:
	s_wait_loadcnt 0x0
	global_load_u8 v0, v[2:3], off
	s_wait_loadcnt 0x0
	v_cvt_f64_u32_e32 v[0:1], v0
.LBB6_1169:
                                        ; implicit-def: $vgpr2_vgpr3
.LBB6_1170:
	s_wait_loadcnt 0x0
	s_delay_alu instid0(VALU_DEP_1) | instskip(SKIP_2) | instid1(SALU_CYCLE_1)
	v_cmp_ngt_f64_e64 s9, 0x41d00000, |v[0:1]|
                                        ; implicit-def: $vgpr25
                                        ; implicit-def: $vgpr2_vgpr3
                                        ; implicit-def: $vgpr10_vgpr11
	s_wait_xcnt 0x0
	s_and_saveexec_b32 s12, s9
	s_xor_b32 s9, exec_lo, s12
	s_cbranch_execz .LBB6_1172
; %bb.1171:
	v_ldexp_f64 v[2:3], |v[0:1]|, 0xffffff80
	v_cmp_le_f64_e64 vcc_lo, 0x7b000000, |v[0:1]|
	v_trig_preop_f64 v[6:7], |v[0:1]|, 0
	v_and_b32_e32 v5, 0x7fffffff, v1
	v_trig_preop_f64 v[8:9], |v[0:1]|, 1
	v_trig_preop_f64 v[18:19], |v[0:1]|, 2
	s_mov_b64 s[12:13], 0x3ff921fb54442d18
	s_delay_alu instid0(VALU_DEP_3) | instskip(SKIP_1) | instid1(VALU_DEP_1)
	v_dual_mov_b32 v28, 0 :: v_dual_cndmask_b32 v3, v5, v3
	v_cndmask_b32_e32 v2, v0, v2, vcc_lo
	v_mul_f64_e32 v[10:11], v[6:7], v[2:3]
	v_mul_f64_e32 v[12:13], v[8:9], v[2:3]
	;; [unrolled: 1-line block ×3, first 2 shown]
	s_delay_alu instid0(VALU_DEP_3) | instskip(NEXT) | instid1(VALU_DEP_3)
	v_fma_f64 v[6:7], v[6:7], v[2:3], -v[10:11]
	v_fma_f64 v[8:9], v[8:9], v[2:3], -v[12:13]
	s_delay_alu instid0(VALU_DEP_3) | instskip(NEXT) | instid1(VALU_DEP_3)
	v_fma_f64 v[2:3], v[18:19], v[2:3], -v[26:27]
	v_add_f64_e32 v[14:15], v[12:13], v[6:7]
	s_delay_alu instid0(VALU_DEP_1) | instskip(SKIP_1) | instid1(VALU_DEP_2)
	v_add_f64_e64 v[16:17], v[14:15], -v[12:13]
	v_add_f64_e32 v[22:23], v[10:11], v[14:15]
	v_add_f64_e64 v[20:21], v[14:15], -v[16:17]
	v_add_f64_e64 v[6:7], v[6:7], -v[16:17]
	s_delay_alu instid0(VALU_DEP_3) | instskip(NEXT) | instid1(VALU_DEP_3)
	v_ldexp_f64 v[16:17], v[22:23], -2
	v_add_f64_e64 v[12:13], v[12:13], -v[20:21]
	v_add_f64_e32 v[20:21], v[26:27], v[8:9]
	s_delay_alu instid0(VALU_DEP_3) | instskip(NEXT) | instid1(VALU_DEP_3)
	v_cmp_neq_f64_e64 vcc_lo, 0x7ff00000, |v[16:17]|
	v_add_f64_e32 v[6:7], v[6:7], v[12:13]
	v_fract_f64_e32 v[12:13], v[16:17]
	s_delay_alu instid0(VALU_DEP_1) | instskip(NEXT) | instid1(VALU_DEP_1)
	v_ldexp_f64 v[12:13], v[12:13], 2
	v_dual_add_f64 v[10:11], v[22:23], -v[10:11] :: v_dual_cndmask_b32 v13, 0, v13, vcc_lo
	s_delay_alu instid0(VALU_DEP_1) | instskip(SKIP_1) | instid1(VALU_DEP_1)
	v_dual_add_f64 v[10:11], v[14:15], -v[10:11] :: v_dual_cndmask_b32 v12, 0, v12, vcc_lo
	v_add_f64_e32 v[14:15], v[20:21], v[6:7]
	v_add_f64_e32 v[16:17], v[10:11], v[14:15]
	v_add_f64_e64 v[30:31], v[14:15], -v[20:21]
	s_delay_alu instid0(VALU_DEP_2) | instskip(NEXT) | instid1(VALU_DEP_2)
	v_add_f64_e32 v[22:23], v[16:17], v[12:13]
	v_add_f64_e64 v[36:37], v[14:15], -v[30:31]
	v_add_f64_e64 v[6:7], v[6:7], -v[30:31]
	;; [unrolled: 1-line block ×3, first 2 shown]
	s_delay_alu instid0(VALU_DEP_4) | instskip(SKIP_1) | instid1(VALU_DEP_3)
	v_cmp_gt_f64_e32 vcc_lo, 0, v[22:23]
	v_add_f64_e64 v[22:23], v[20:21], -v[26:27]
	v_add_f64_e64 v[10:11], v[14:15], -v[10:11]
	v_cndmask_b32_e64 v29, 0, 0x40100000, vcc_lo
	s_delay_alu instid0(VALU_DEP_3) | instskip(SKIP_2) | instid1(VALU_DEP_4)
	v_add_f64_e64 v[34:35], v[20:21], -v[22:23]
	v_add_f64_e64 v[8:9], v[8:9], -v[22:23]
	;; [unrolled: 1-line block ×3, first 2 shown]
	v_add_f64_e32 v[12:13], v[12:13], v[28:29]
	s_delay_alu instid0(VALU_DEP_4) | instskip(NEXT) | instid1(VALU_DEP_3)
	v_add_f64_e64 v[22:23], v[26:27], -v[34:35]
	v_add_f64_e32 v[6:7], v[6:7], v[20:21]
	s_delay_alu instid0(VALU_DEP_3) | instskip(NEXT) | instid1(VALU_DEP_3)
	v_add_f64_e32 v[32:33], v[16:17], v[12:13]
	v_add_f64_e32 v[8:9], v[8:9], v[22:23]
	s_delay_alu instid0(VALU_DEP_2) | instskip(NEXT) | instid1(VALU_DEP_2)
	v_cvt_i32_f64_e32 v5, v[32:33]
	v_add_f64_e32 v[6:7], v[8:9], v[6:7]
	s_delay_alu instid0(VALU_DEP_2) | instskip(NEXT) | instid1(VALU_DEP_2)
	v_cvt_f64_i32_e32 v[30:31], v5
	v_add_f64_e32 v[2:3], v[2:3], v[6:7]
	s_delay_alu instid0(VALU_DEP_2) | instskip(NEXT) | instid1(VALU_DEP_2)
	v_add_f64_e64 v[12:13], v[12:13], -v[30:31]
	v_add_f64_e32 v[2:3], v[10:11], v[2:3]
	s_delay_alu instid0(VALU_DEP_2) | instskip(NEXT) | instid1(VALU_DEP_1)
	v_add_f64_e32 v[8:9], v[16:17], v[12:13]
	v_add_f64_e64 v[6:7], v[8:9], -v[12:13]
	v_cmp_le_f64_e32 vcc_lo, 0.5, v[8:9]
	s_delay_alu instid0(VALU_DEP_2) | instskip(SKIP_2) | instid1(VALU_DEP_3)
	v_add_f64_e64 v[6:7], v[16:17], -v[6:7]
	v_cndmask_b32_e64 v29, 0, 0x3ff00000, vcc_lo
	v_add_co_ci_u32_e64 v25, null, 0, v5, vcc_lo
	v_add_f64_e32 v[2:3], v[2:3], v[6:7]
	s_delay_alu instid0(VALU_DEP_3) | instskip(NEXT) | instid1(VALU_DEP_1)
	v_add_f64_e64 v[6:7], v[8:9], -v[28:29]
	v_add_f64_e32 v[8:9], v[6:7], v[2:3]
	s_delay_alu instid0(VALU_DEP_1) | instskip(SKIP_1) | instid1(VALU_DEP_2)
	v_mul_f64_e32 v[10:11], 0x3ff921fb54442d18, v[8:9]
	v_add_f64_e64 v[6:7], v[8:9], -v[6:7]
	v_fma_f64 v[12:13], v[8:9], s[12:13], -v[10:11]
	s_delay_alu instid0(VALU_DEP_2) | instskip(NEXT) | instid1(VALU_DEP_2)
	v_add_f64_e64 v[2:3], v[2:3], -v[6:7]
	v_fmamk_f64 v[6:7], v[8:9], 0x3c91a62633145c07, v[12:13]
	s_delay_alu instid0(VALU_DEP_1) | instskip(NEXT) | instid1(VALU_DEP_1)
	v_fmac_f64_e32 v[6:7], 0x3ff921fb54442d18, v[2:3]
	v_add_f64_e32 v[2:3], v[10:11], v[6:7]
	s_delay_alu instid0(VALU_DEP_1) | instskip(NEXT) | instid1(VALU_DEP_1)
	v_add_f64_e64 v[8:9], v[2:3], -v[10:11]
	v_add_f64_e64 v[10:11], v[6:7], -v[8:9]
.LBB6_1172:
	s_and_not1_saveexec_b32 s9, s9
	s_cbranch_execz .LBB6_1174
; %bb.1173:
	s_mov_b64 s[12:13], 0x3fe45f306dc9c883
	s_delay_alu instid0(SALU_CYCLE_1) | instskip(SKIP_1) | instid1(VALU_DEP_1)
	v_mul_f64_e64 v[2:3], |v[0:1]|, s[12:13]
	s_mov_b64 s[12:13], 0xbff921fb54442d18
	v_rndne_f64_e32 v[6:7], v[2:3]
	s_delay_alu instid0(VALU_DEP_1) | instskip(SKIP_2) | instid1(VALU_DEP_3)
	v_fma_f64 v[2:3], v[6:7], s[12:13], |v[0:1]|
	v_mul_f64_e32 v[8:9], 0xbc91a62633145c00, v[6:7]
	v_cvt_i32_f64_e32 v25, v[6:7]
	v_fmamk_f64 v[14:15], v[6:7], 0xbc91a62633145c00, v[2:3]
	s_delay_alu instid0(VALU_DEP_3) | instskip(NEXT) | instid1(VALU_DEP_1)
	v_add_f64_e32 v[10:11], v[2:3], v[8:9]
	v_add_f64_e64 v[12:13], v[2:3], -v[10:11]
	s_delay_alu instid0(VALU_DEP_3) | instskip(NEXT) | instid1(VALU_DEP_2)
	v_add_f64_e64 v[2:3], v[10:11], -v[14:15]
	v_add_f64_e32 v[10:11], v[12:13], v[8:9]
	v_fmamk_f64 v[8:9], v[6:7], 0x3c91a62633145c00, v[8:9]
	s_delay_alu instid0(VALU_DEP_2) | instskip(NEXT) | instid1(VALU_DEP_1)
	v_add_f64_e32 v[2:3], v[2:3], v[10:11]
	v_add_f64_e64 v[2:3], v[2:3], -v[8:9]
	s_delay_alu instid0(VALU_DEP_1) | instskip(NEXT) | instid1(VALU_DEP_1)
	v_fmamk_f64 v[8:9], v[6:7], 0xb97b839a252049c0, v[2:3]
	v_add_f64_e32 v[2:3], v[14:15], v[8:9]
	s_delay_alu instid0(VALU_DEP_1) | instskip(NEXT) | instid1(VALU_DEP_1)
	v_add_f64_e64 v[10:11], v[2:3], -v[14:15]
	v_add_f64_e64 v[10:11], v[8:9], -v[10:11]
.LBB6_1174:
	s_or_b32 exec_lo, exec_lo, s9
	s_lshl_b32 s3, s3, 7
	s_cmp_lt_i32 s0, 11
	v_add_nc_u32_e32 v6, s3, v4
	s_delay_alu instid0(VALU_DEP_1) | instskip(NEXT) | instid1(VALU_DEP_1)
	v_ashrrev_i32_e32 v7, 31, v6
	v_add_nc_u64_e32 v[8:9], s[6:7], v[6:7]
	s_cbranch_scc1 .LBB6_1181
; %bb.1175:
	s_cmp_gt_i32 s0, 25
	s_mov_b32 s12, 0
	s_cbranch_scc0 .LBB6_1183
; %bb.1176:
	s_cmp_gt_i32 s0, 28
	s_cbranch_scc0 .LBB6_1184
; %bb.1177:
	s_cmp_gt_i32 s0, 43
	;; [unrolled: 3-line block ×3, first 2 shown]
	s_cbranch_scc0 .LBB6_1187
; %bb.1179:
	s_cmp_eq_u32 s0, 46
	s_mov_b32 s14, 0
	s_cbranch_scc0 .LBB6_1190
; %bb.1180:
	global_load_b32 v4, v[8:9], off
	s_mov_b32 s9, 0
	s_mov_b32 s13, -1
	s_wait_loadcnt 0x0
	v_lshlrev_b32_e32 v4, 16, v4
	s_delay_alu instid0(VALU_DEP_1)
	v_cvt_f64_f32_e32 v[4:5], v4
	s_branch .LBB6_1192
.LBB6_1181:
	s_mov_b32 s13, 0
                                        ; implicit-def: $vgpr4_vgpr5
	s_cbranch_execnz .LBB6_1257
.LBB6_1182:
	s_and_not1_b32 vcc_lo, exec_lo, s13
	s_cbranch_vccz .LBB6_1304
	s_branch .LBB6_2007
.LBB6_1183:
	s_mov_b32 s13, 0
	s_mov_b32 s9, 0
                                        ; implicit-def: $vgpr4_vgpr5
	s_cbranch_execnz .LBB6_1221
	s_branch .LBB6_1253
.LBB6_1184:
	s_mov_b32 s14, -1
	s_mov_b32 s13, 0
	s_mov_b32 s9, 0
                                        ; implicit-def: $vgpr4_vgpr5
	s_branch .LBB6_1202
.LBB6_1185:
	s_mov_b32 s14, -1
	s_mov_b32 s13, 0
	s_mov_b32 s9, 0
                                        ; implicit-def: $vgpr4_vgpr5
	s_branch .LBB6_1197
.LBB6_1186:
	s_or_b32 s1, s11, exec_lo
	s_trap 2
	s_cbranch_execz .LBB6_1123
	s_branch .LBB6_1124
.LBB6_1187:
	s_mov_b32 s14, -1
	s_mov_b32 s13, 0
	s_mov_b32 s9, 0
	s_branch .LBB6_1191
.LBB6_1188:
	s_and_not1_saveexec_b32 s19, s19
	s_cbranch_execz .LBB6_966
.LBB6_1189:
	v_add_f32_e64 v3, 0x42800000, |v2|
	s_and_not1_b32 s18, s18, exec_lo
	s_delay_alu instid0(VALU_DEP_1) | instskip(NEXT) | instid1(VALU_DEP_1)
	v_and_b32_e32 v3, 0xff, v3
	v_cmp_ne_u32_e32 vcc_lo, 0, v3
	s_and_b32 s20, vcc_lo, exec_lo
	s_delay_alu instid0(SALU_CYCLE_1)
	s_or_b32 s18, s18, s20
	s_or_b32 exec_lo, exec_lo, s19
	v_mov_b32_e32 v6, 0
	s_and_saveexec_b32 s19, s18
	s_cbranch_execnz .LBB6_967
	s_branch .LBB6_968
.LBB6_1190:
	s_mov_b32 s9, -1
	s_mov_b32 s13, 0
.LBB6_1191:
                                        ; implicit-def: $vgpr4_vgpr5
.LBB6_1192:
	s_and_b32 vcc_lo, exec_lo, s14
	s_cbranch_vccz .LBB6_1196
; %bb.1193:
	s_cmp_eq_u32 s0, 44
	s_cbranch_scc0 .LBB6_1195
; %bb.1194:
	global_load_u8 v7, v[8:9], off
	s_mov_b32 s9, 0
	s_mov_b32 s13, -1
	s_wait_loadcnt 0x0
	v_cmp_ne_u32_e32 vcc_lo, 0xff, v7
	v_lshlrev_b32_e32 v4, 23, v7
	s_delay_alu instid0(VALU_DEP_1) | instskip(NEXT) | instid1(VALU_DEP_1)
	v_cvt_f64_f32_e32 v[4:5], v4
	v_cndmask_b32_e32 v4, 0x20000000, v4, vcc_lo
	s_delay_alu instid0(VALU_DEP_2) | instskip(SKIP_1) | instid1(VALU_DEP_2)
	v_cndmask_b32_e32 v5, 0x7ff80000, v5, vcc_lo
	v_cmp_ne_u32_e32 vcc_lo, 0, v7
	v_cndmask_b32_e32 v5, 0x38000000, v5, vcc_lo
	s_delay_alu instid0(VALU_DEP_4)
	v_cndmask_b32_e32 v4, 0, v4, vcc_lo
	s_branch .LBB6_1196
.LBB6_1195:
	s_mov_b32 s9, -1
                                        ; implicit-def: $vgpr4_vgpr5
.LBB6_1196:
	s_mov_b32 s14, 0
.LBB6_1197:
	s_delay_alu instid0(SALU_CYCLE_1)
	s_and_b32 vcc_lo, exec_lo, s14
	s_cbranch_vccz .LBB6_1201
; %bb.1198:
	s_cmp_eq_u32 s0, 29
	s_cbranch_scc0 .LBB6_1200
; %bb.1199:
	global_load_b64 v[4:5], v[8:9], off
	s_mov_b32 s9, 0
	s_mov_b32 s13, -1
	s_mov_b32 s14, 0
	s_wait_loadcnt 0x0
	v_cvt_f64_u32_e32 v[12:13], v5
	v_cvt_f64_u32_e32 v[4:5], v4
	s_delay_alu instid0(VALU_DEP_2) | instskip(NEXT) | instid1(VALU_DEP_1)
	v_ldexp_f64 v[12:13], v[12:13], 32
	v_add_f64_e32 v[4:5], v[12:13], v[4:5]
	s_branch .LBB6_1202
.LBB6_1200:
	s_mov_b32 s9, -1
                                        ; implicit-def: $vgpr4_vgpr5
.LBB6_1201:
	s_mov_b32 s14, 0
.LBB6_1202:
	s_delay_alu instid0(SALU_CYCLE_1)
	s_and_b32 vcc_lo, exec_lo, s14
	s_cbranch_vccz .LBB6_1220
; %bb.1203:
	s_cmp_lt_i32 s0, 27
	s_cbranch_scc1 .LBB6_1206
; %bb.1204:
	s_cmp_gt_i32 s0, 27
	s_cbranch_scc0 .LBB6_1207
; %bb.1205:
	global_load_b32 v4, v[8:9], off
	s_mov_b32 s13, 0
	s_wait_loadcnt 0x0
	v_cvt_f64_u32_e32 v[4:5], v4
	s_branch .LBB6_1208
.LBB6_1206:
	s_mov_b32 s13, -1
                                        ; implicit-def: $vgpr4_vgpr5
	s_branch .LBB6_1211
.LBB6_1207:
	s_mov_b32 s13, -1
                                        ; implicit-def: $vgpr4_vgpr5
.LBB6_1208:
	s_delay_alu instid0(SALU_CYCLE_1)
	s_and_not1_b32 vcc_lo, exec_lo, s13
	s_cbranch_vccnz .LBB6_1210
; %bb.1209:
	global_load_u16 v4, v[8:9], off
	s_wait_loadcnt 0x0
	v_cvt_f64_u32_e32 v[4:5], v4
.LBB6_1210:
	s_mov_b32 s13, 0
.LBB6_1211:
	s_delay_alu instid0(SALU_CYCLE_1)
	s_and_not1_b32 vcc_lo, exec_lo, s13
	s_cbranch_vccnz .LBB6_1219
; %bb.1212:
	global_load_u8 v7, v[8:9], off
	s_mov_b32 s13, 0
	s_mov_b32 s14, exec_lo
	s_wait_loadcnt 0x0
	v_cmpx_lt_i16_e32 0x7f, v7
	s_xor_b32 s14, exec_lo, s14
	s_cbranch_execz .LBB6_1232
; %bb.1213:
	s_mov_b32 s13, -1
	s_mov_b32 s15, exec_lo
	v_cmpx_eq_u16_e32 0x80, v7
; %bb.1214:
	s_xor_b32 s13, exec_lo, -1
; %bb.1215:
	s_or_b32 exec_lo, exec_lo, s15
	s_delay_alu instid0(SALU_CYCLE_1)
	s_and_b32 s13, s13, exec_lo
	s_or_saveexec_b32 s14, s14
	v_mov_b64_e32 v[4:5], 0x7ff8000020000000
	s_xor_b32 exec_lo, exec_lo, s14
	s_cbranch_execnz .LBB6_1233
.LBB6_1216:
	s_or_b32 exec_lo, exec_lo, s14
	s_and_saveexec_b32 s14, s13
	s_cbranch_execz .LBB6_1218
.LBB6_1217:
	v_and_b32_e32 v4, 0xffff, v7
	s_delay_alu instid0(VALU_DEP_1) | instskip(SKIP_1) | instid1(VALU_DEP_2)
	v_dual_lshlrev_b32 v7, 24, v7 :: v_dual_bitop2_b32 v5, 7, v4 bitop3:0x40
	v_bfe_u32 v14, v4, 3, 4
	v_clz_i32_u32_e32 v12, v5
	s_delay_alu instid0(VALU_DEP_2) | instskip(NEXT) | instid1(VALU_DEP_2)
	v_cmp_eq_u32_e32 vcc_lo, 0, v14
	v_min_u32_e32 v12, 32, v12
	s_delay_alu instid0(VALU_DEP_1) | instskip(SKIP_1) | instid1(VALU_DEP_2)
	v_subrev_nc_u32_e32 v13, 28, v12
	v_sub_nc_u32_e32 v12, 29, v12
	v_lshlrev_b32_e32 v4, v13, v4
	s_delay_alu instid0(VALU_DEP_2) | instskip(NEXT) | instid1(VALU_DEP_2)
	v_cndmask_b32_e32 v12, v14, v12, vcc_lo
	v_and_b32_e32 v4, 7, v4
	s_delay_alu instid0(VALU_DEP_1) | instskip(SKIP_1) | instid1(VALU_DEP_4)
	v_cndmask_b32_e32 v4, v5, v4, vcc_lo
	v_and_b32_e32 v5, 0x80000000, v7
	v_lshl_add_u32 v7, v12, 23, 0x3b800000
	s_delay_alu instid0(VALU_DEP_3) | instskip(NEXT) | instid1(VALU_DEP_1)
	v_lshlrev_b32_e32 v4, 20, v4
	v_or3_b32 v4, v5, v7, v4
	s_delay_alu instid0(VALU_DEP_1)
	v_cvt_f64_f32_e32 v[4:5], v4
.LBB6_1218:
	s_or_b32 exec_lo, exec_lo, s14
.LBB6_1219:
	s_mov_b32 s13, -1
.LBB6_1220:
	s_branch .LBB6_1253
.LBB6_1221:
	s_cmp_gt_i32 s0, 22
	s_cbranch_scc0 .LBB6_1231
; %bb.1222:
	s_cmp_lt_i32 s0, 24
	s_cbranch_scc1 .LBB6_1234
; %bb.1223:
	s_cmp_gt_i32 s0, 24
	s_cbranch_scc0 .LBB6_1235
; %bb.1224:
	global_load_u8 v7, v[8:9], off
	s_mov_b32 s13, exec_lo
	s_wait_loadcnt 0x0
	v_cmpx_lt_i16_e32 0x7f, v7
	s_xor_b32 s13, exec_lo, s13
	s_cbranch_execz .LBB6_1247
; %bb.1225:
	s_mov_b32 s12, -1
	s_mov_b32 s14, exec_lo
	v_cmpx_eq_u16_e32 0x80, v7
; %bb.1226:
	s_xor_b32 s12, exec_lo, -1
; %bb.1227:
	s_or_b32 exec_lo, exec_lo, s14
	s_delay_alu instid0(SALU_CYCLE_1)
	s_and_b32 s12, s12, exec_lo
	s_or_saveexec_b32 s13, s13
	v_mov_b64_e32 v[4:5], 0x7ff8000020000000
	s_xor_b32 exec_lo, exec_lo, s13
	s_cbranch_execnz .LBB6_1248
.LBB6_1228:
	s_or_b32 exec_lo, exec_lo, s13
	s_and_saveexec_b32 s13, s12
	s_cbranch_execz .LBB6_1230
.LBB6_1229:
	v_and_b32_e32 v4, 0xffff, v7
	s_delay_alu instid0(VALU_DEP_1) | instskip(SKIP_1) | instid1(VALU_DEP_2)
	v_dual_lshlrev_b32 v7, 24, v7 :: v_dual_bitop2_b32 v5, 3, v4 bitop3:0x40
	v_bfe_u32 v14, v4, 2, 5
	v_clz_i32_u32_e32 v12, v5
	s_delay_alu instid0(VALU_DEP_2) | instskip(NEXT) | instid1(VALU_DEP_2)
	v_cmp_eq_u32_e32 vcc_lo, 0, v14
	v_min_u32_e32 v12, 32, v12
	s_delay_alu instid0(VALU_DEP_1) | instskip(SKIP_1) | instid1(VALU_DEP_2)
	v_subrev_nc_u32_e32 v13, 29, v12
	v_sub_nc_u32_e32 v12, 30, v12
	v_lshlrev_b32_e32 v4, v13, v4
	s_delay_alu instid0(VALU_DEP_2) | instskip(NEXT) | instid1(VALU_DEP_2)
	v_cndmask_b32_e32 v12, v14, v12, vcc_lo
	v_and_b32_e32 v4, 3, v4
	s_delay_alu instid0(VALU_DEP_1) | instskip(SKIP_1) | instid1(VALU_DEP_4)
	v_cndmask_b32_e32 v4, v5, v4, vcc_lo
	v_and_b32_e32 v5, 0x80000000, v7
	v_lshl_add_u32 v7, v12, 23, 0x37800000
	s_delay_alu instid0(VALU_DEP_3) | instskip(NEXT) | instid1(VALU_DEP_1)
	v_lshlrev_b32_e32 v4, 21, v4
	v_or3_b32 v4, v5, v7, v4
	s_delay_alu instid0(VALU_DEP_1)
	v_cvt_f64_f32_e32 v[4:5], v4
.LBB6_1230:
	s_or_b32 exec_lo, exec_lo, s13
	s_mov_b32 s12, 0
	s_branch .LBB6_1236
.LBB6_1231:
	s_mov_b32 s12, -1
                                        ; implicit-def: $vgpr4_vgpr5
	s_branch .LBB6_1242
.LBB6_1232:
	s_or_saveexec_b32 s14, s14
	v_mov_b64_e32 v[4:5], 0x7ff8000020000000
	s_xor_b32 exec_lo, exec_lo, s14
	s_cbranch_execz .LBB6_1216
.LBB6_1233:
	v_cmp_ne_u16_e32 vcc_lo, 0, v7
	v_mov_b64_e32 v[4:5], 0
	s_and_not1_b32 s13, s13, exec_lo
	s_and_b32 s15, vcc_lo, exec_lo
	s_delay_alu instid0(SALU_CYCLE_1)
	s_or_b32 s13, s13, s15
	s_or_b32 exec_lo, exec_lo, s14
	s_and_saveexec_b32 s14, s13
	s_cbranch_execnz .LBB6_1217
	s_branch .LBB6_1218
.LBB6_1234:
	s_mov_b32 s12, -1
                                        ; implicit-def: $vgpr4_vgpr5
	s_branch .LBB6_1239
.LBB6_1235:
	s_mov_b32 s12, -1
                                        ; implicit-def: $vgpr4_vgpr5
.LBB6_1236:
	s_delay_alu instid0(SALU_CYCLE_1)
	s_and_b32 vcc_lo, exec_lo, s12
	s_cbranch_vccz .LBB6_1238
; %bb.1237:
	global_load_u8 v4, v[8:9], off
	s_wait_loadcnt 0x0
	v_lshlrev_b32_e32 v4, 24, v4
	s_delay_alu instid0(VALU_DEP_1) | instskip(NEXT) | instid1(VALU_DEP_1)
	v_and_b32_e32 v5, 0x7f000000, v4
	v_clz_i32_u32_e32 v7, v5
	v_add_nc_u32_e32 v13, 0x1000000, v5
	v_cmp_ne_u32_e32 vcc_lo, 0, v5
	s_delay_alu instid0(VALU_DEP_3) | instskip(NEXT) | instid1(VALU_DEP_1)
	v_min_u32_e32 v7, 32, v7
	v_sub_nc_u32_e64 v7, v7, 4 clamp
	s_delay_alu instid0(VALU_DEP_1) | instskip(NEXT) | instid1(VALU_DEP_1)
	v_dual_lshlrev_b32 v12, v7, v5 :: v_dual_lshlrev_b32 v7, 23, v7
	v_lshrrev_b32_e32 v12, 4, v12
	s_delay_alu instid0(VALU_DEP_1) | instskip(NEXT) | instid1(VALU_DEP_1)
	v_dual_sub_nc_u32 v7, v12, v7 :: v_dual_ashrrev_i32 v12, 8, v13
	v_add_nc_u32_e32 v7, 0x3c000000, v7
	s_delay_alu instid0(VALU_DEP_1) | instskip(NEXT) | instid1(VALU_DEP_1)
	v_and_or_b32 v7, 0x7f800000, v12, v7
	v_cndmask_b32_e32 v5, 0, v7, vcc_lo
	s_delay_alu instid0(VALU_DEP_1) | instskip(NEXT) | instid1(VALU_DEP_1)
	v_and_or_b32 v4, 0x80000000, v4, v5
	v_cvt_f64_f32_e32 v[4:5], v4
.LBB6_1238:
	s_mov_b32 s12, 0
.LBB6_1239:
	s_delay_alu instid0(SALU_CYCLE_1)
	s_and_not1_b32 vcc_lo, exec_lo, s12
	s_cbranch_vccnz .LBB6_1241
; %bb.1240:
	global_load_u8 v4, v[8:9], off
	s_wait_loadcnt 0x0
	v_lshlrev_b32_e32 v5, 25, v4
	v_lshlrev_b16 v4, 8, v4
	s_delay_alu instid0(VALU_DEP_2) | instskip(NEXT) | instid1(VALU_DEP_2)
	v_cmp_gt_u32_e32 vcc_lo, 0x8000000, v5
	v_and_or_b32 v12, 0x7f00, v4, 0.5
	v_lshrrev_b32_e32 v7, 4, v5
	v_bfe_i32 v4, v4, 0, 16
	s_delay_alu instid0(VALU_DEP_3) | instskip(NEXT) | instid1(VALU_DEP_3)
	v_add_f32_e32 v12, -0.5, v12
	v_or_b32_e32 v7, 0x70000000, v7
	s_delay_alu instid0(VALU_DEP_1) | instskip(NEXT) | instid1(VALU_DEP_1)
	v_mul_f32_e32 v7, 0x7800000, v7
	v_cndmask_b32_e32 v5, v7, v12, vcc_lo
	s_delay_alu instid0(VALU_DEP_1) | instskip(NEXT) | instid1(VALU_DEP_1)
	v_and_or_b32 v4, 0x80000000, v4, v5
	v_cvt_f64_f32_e32 v[4:5], v4
.LBB6_1241:
	s_mov_b32 s12, 0
	s_mov_b32 s13, -1
.LBB6_1242:
	s_and_not1_b32 vcc_lo, exec_lo, s12
	s_mov_b32 s12, 0
	s_cbranch_vccnz .LBB6_1253
; %bb.1243:
	s_cmp_gt_i32 s0, 14
	s_cbranch_scc0 .LBB6_1246
; %bb.1244:
	s_cmp_eq_u32 s0, 15
	s_cbranch_scc0 .LBB6_1249
; %bb.1245:
	global_load_u16 v4, v[8:9], off
	s_mov_b32 s9, 0
	s_mov_b32 s13, -1
	s_wait_loadcnt 0x0
	v_lshlrev_b32_e32 v4, 16, v4
	s_delay_alu instid0(VALU_DEP_1)
	v_cvt_f64_f32_e32 v[4:5], v4
	s_branch .LBB6_1251
.LBB6_1246:
	s_mov_b32 s12, -1
	s_branch .LBB6_1250
.LBB6_1247:
	s_or_saveexec_b32 s13, s13
	v_mov_b64_e32 v[4:5], 0x7ff8000020000000
	s_xor_b32 exec_lo, exec_lo, s13
	s_cbranch_execz .LBB6_1228
.LBB6_1248:
	v_cmp_ne_u16_e32 vcc_lo, 0, v7
	v_mov_b64_e32 v[4:5], 0
	s_and_not1_b32 s12, s12, exec_lo
	s_and_b32 s14, vcc_lo, exec_lo
	s_delay_alu instid0(SALU_CYCLE_1)
	s_or_b32 s12, s12, s14
	s_or_b32 exec_lo, exec_lo, s13
	s_and_saveexec_b32 s13, s12
	s_cbranch_execnz .LBB6_1229
	s_branch .LBB6_1230
.LBB6_1249:
	s_mov_b32 s9, -1
.LBB6_1250:
                                        ; implicit-def: $vgpr4_vgpr5
.LBB6_1251:
	s_and_b32 vcc_lo, exec_lo, s12
	s_mov_b32 s12, 0
	s_cbranch_vccz .LBB6_1253
; %bb.1252:
	s_cmp_lg_u32 s0, 11
	s_mov_b32 s12, -1
	s_cselect_b32 s9, -1, 0
.LBB6_1253:
	s_delay_alu instid0(SALU_CYCLE_1)
	s_and_b32 vcc_lo, exec_lo, s9
	s_cbranch_vccnz .LBB6_1320
; %bb.1254:
	s_and_not1_b32 vcc_lo, exec_lo, s12
	s_cbranch_vccnz .LBB6_1256
.LBB6_1255:
	global_load_u8 v4, v[8:9], off
	s_mov_b32 s13, -1
	s_wait_loadcnt 0x0
	v_cmp_ne_u16_e32 vcc_lo, 0, v4
	v_mov_b32_e32 v4, 0
	v_cndmask_b32_e64 v5, 0, 0x3ff00000, vcc_lo
.LBB6_1256:
	s_branch .LBB6_1182
.LBB6_1257:
	s_cmp_lt_i32 s0, 5
	s_cbranch_scc1 .LBB6_1262
; %bb.1258:
	s_cmp_lt_i32 s0, 8
	s_cbranch_scc1 .LBB6_1263
; %bb.1259:
	;; [unrolled: 3-line block ×3, first 2 shown]
	s_cmp_gt_i32 s0, 9
	s_cbranch_scc0 .LBB6_1265
; %bb.1261:
	global_load_b64 v[4:5], v[8:9], off
	s_mov_b32 s9, 0
	s_branch .LBB6_1266
.LBB6_1262:
                                        ; implicit-def: $vgpr4_vgpr5
	s_branch .LBB6_1284
.LBB6_1263:
	s_mov_b32 s9, -1
                                        ; implicit-def: $vgpr4_vgpr5
	s_branch .LBB6_1272
.LBB6_1264:
	s_mov_b32 s9, -1
                                        ; implicit-def: $vgpr4_vgpr5
	s_branch .LBB6_1269
.LBB6_1265:
	s_mov_b32 s9, -1
                                        ; implicit-def: $vgpr4_vgpr5
.LBB6_1266:
	s_delay_alu instid0(SALU_CYCLE_1)
	s_and_not1_b32 vcc_lo, exec_lo, s9
	s_cbranch_vccnz .LBB6_1268
; %bb.1267:
	s_wait_loadcnt 0x0
	global_load_b32 v4, v[8:9], off
	s_wait_loadcnt 0x0
	v_cvt_f64_f32_e32 v[4:5], v4
.LBB6_1268:
	s_mov_b32 s9, 0
.LBB6_1269:
	s_delay_alu instid0(SALU_CYCLE_1)
	s_and_not1_b32 vcc_lo, exec_lo, s9
	s_cbranch_vccnz .LBB6_1271
; %bb.1270:
	s_wait_loadcnt 0x0
	global_load_b32 v4, v[8:9], off
	s_wait_loadcnt 0x0
	v_cvt_f32_f16_e32 v4, v4
	s_delay_alu instid0(VALU_DEP_1)
	v_cvt_f64_f32_e32 v[4:5], v4
.LBB6_1271:
	s_mov_b32 s9, 0
.LBB6_1272:
	s_delay_alu instid0(SALU_CYCLE_1)
	s_and_not1_b32 vcc_lo, exec_lo, s9
	s_cbranch_vccnz .LBB6_1283
; %bb.1273:
	s_cmp_lt_i32 s0, 6
	s_cbranch_scc1 .LBB6_1276
; %bb.1274:
	s_cmp_gt_i32 s0, 6
	s_cbranch_scc0 .LBB6_1277
; %bb.1275:
	s_wait_loadcnt 0x0
	global_load_b64 v[4:5], v[8:9], off
	s_mov_b32 s9, 0
	s_branch .LBB6_1278
.LBB6_1276:
	s_mov_b32 s9, -1
                                        ; implicit-def: $vgpr4_vgpr5
	s_branch .LBB6_1281
.LBB6_1277:
	s_mov_b32 s9, -1
                                        ; implicit-def: $vgpr4_vgpr5
.LBB6_1278:
	s_delay_alu instid0(SALU_CYCLE_1)
	s_and_not1_b32 vcc_lo, exec_lo, s9
	s_cbranch_vccnz .LBB6_1280
; %bb.1279:
	s_wait_loadcnt 0x0
	global_load_b32 v4, v[8:9], off
	s_wait_loadcnt 0x0
	v_cvt_f64_f32_e32 v[4:5], v4
.LBB6_1280:
	s_mov_b32 s9, 0
.LBB6_1281:
	s_delay_alu instid0(SALU_CYCLE_1)
	s_and_not1_b32 vcc_lo, exec_lo, s9
	s_cbranch_vccnz .LBB6_1283
; %bb.1282:
	s_wait_loadcnt 0x0
	global_load_u16 v4, v[8:9], off
	s_wait_loadcnt 0x0
	v_cvt_f32_f16_e32 v4, v4
	s_delay_alu instid0(VALU_DEP_1)
	v_cvt_f64_f32_e32 v[4:5], v4
.LBB6_1283:
	s_cbranch_execnz .LBB6_1303
.LBB6_1284:
	s_cmp_lt_i32 s0, 2
	s_cbranch_scc1 .LBB6_1288
; %bb.1285:
	s_cmp_lt_i32 s0, 3
	s_cbranch_scc1 .LBB6_1289
; %bb.1286:
	s_cmp_gt_i32 s0, 3
	s_cbranch_scc0 .LBB6_1290
; %bb.1287:
	s_wait_loadcnt 0x0
	global_load_b64 v[4:5], v[8:9], off
	s_mov_b32 s9, 0
	s_wait_loadcnt 0x0
	v_cvt_f64_i32_e32 v[12:13], v5
	v_cvt_f64_u32_e32 v[4:5], v4
	s_delay_alu instid0(VALU_DEP_2) | instskip(NEXT) | instid1(VALU_DEP_1)
	v_ldexp_f64 v[12:13], v[12:13], 32
	v_add_f64_e32 v[4:5], v[12:13], v[4:5]
	s_branch .LBB6_1291
.LBB6_1288:
	s_mov_b32 s9, -1
                                        ; implicit-def: $vgpr4_vgpr5
	s_branch .LBB6_1297
.LBB6_1289:
	s_mov_b32 s9, -1
                                        ; implicit-def: $vgpr4_vgpr5
	s_branch .LBB6_1294
.LBB6_1290:
	s_mov_b32 s9, -1
                                        ; implicit-def: $vgpr4_vgpr5
.LBB6_1291:
	s_delay_alu instid0(SALU_CYCLE_1)
	s_and_not1_b32 vcc_lo, exec_lo, s9
	s_cbranch_vccnz .LBB6_1293
; %bb.1292:
	s_wait_loadcnt 0x0
	global_load_b32 v4, v[8:9], off
	s_wait_loadcnt 0x0
	v_cvt_f64_i32_e32 v[4:5], v4
.LBB6_1293:
	s_mov_b32 s9, 0
.LBB6_1294:
	s_delay_alu instid0(SALU_CYCLE_1)
	s_and_not1_b32 vcc_lo, exec_lo, s9
	s_cbranch_vccnz .LBB6_1296
; %bb.1295:
	s_wait_loadcnt 0x0
	global_load_i16 v4, v[8:9], off
	s_wait_loadcnt 0x0
	v_cvt_f64_i32_e32 v[4:5], v4
.LBB6_1296:
	s_mov_b32 s9, 0
.LBB6_1297:
	s_delay_alu instid0(SALU_CYCLE_1)
	s_and_not1_b32 vcc_lo, exec_lo, s9
	s_cbranch_vccnz .LBB6_1303
; %bb.1298:
	s_cmp_gt_i32 s0, 0
	s_mov_b32 s9, 0
	s_cbranch_scc0 .LBB6_1300
; %bb.1299:
	s_wait_loadcnt 0x0
	global_load_i8 v4, v[8:9], off
	s_wait_loadcnt 0x0
	v_cvt_f64_i32_e32 v[4:5], v4
	s_branch .LBB6_1301
.LBB6_1300:
	s_mov_b32 s9, -1
                                        ; implicit-def: $vgpr4_vgpr5
.LBB6_1301:
	s_delay_alu instid0(SALU_CYCLE_1)
	s_and_not1_b32 vcc_lo, exec_lo, s9
	s_cbranch_vccnz .LBB6_1303
; %bb.1302:
	s_wait_loadcnt 0x0
	global_load_u8 v4, v[8:9], off
	s_wait_loadcnt 0x0
	v_cvt_f64_u32_e32 v[4:5], v4
.LBB6_1303:
.LBB6_1304:
	s_wait_loadcnt 0x0
	s_delay_alu instid0(VALU_DEP_1) | instskip(SKIP_2) | instid1(SALU_CYCLE_1)
	v_cmp_ngt_f64_e64 s9, 0x41d00000, |v[4:5]|
                                        ; implicit-def: $vgpr26
                                        ; implicit-def: $vgpr12_vgpr13
                                        ; implicit-def: $vgpr14_vgpr15
	s_wait_xcnt 0x0
	s_and_saveexec_b32 s12, s9
	s_xor_b32 s9, exec_lo, s12
	s_cbranch_execz .LBB6_1306
; %bb.1305:
	v_ldexp_f64 v[8:9], |v[4:5]|, 0xffffff80
	v_cmp_le_f64_e64 vcc_lo, 0x7b000000, |v[4:5]|
	v_trig_preop_f64 v[12:13], |v[4:5]|, 0
	v_and_b32_e32 v7, 0x7fffffff, v5
	v_trig_preop_f64 v[14:15], |v[4:5]|, 1
	v_trig_preop_f64 v[26:27], |v[4:5]|, 2
	s_mov_b64 s[12:13], 0x3ff921fb54442d18
	s_delay_alu instid0(VALU_DEP_3) | instskip(SKIP_1) | instid1(VALU_DEP_1)
	v_dual_mov_b32 v34, 0 :: v_dual_cndmask_b32 v9, v7, v9
	v_cndmask_b32_e32 v8, v4, v8, vcc_lo
	v_mul_f64_e32 v[16:17], v[12:13], v[8:9]
	v_mul_f64_e32 v[18:19], v[14:15], v[8:9]
	v_mul_f64_e32 v[32:33], v[26:27], v[8:9]
	s_delay_alu instid0(VALU_DEP_3) | instskip(NEXT) | instid1(VALU_DEP_3)
	v_fma_f64 v[12:13], v[12:13], v[8:9], -v[16:17]
	v_fma_f64 v[14:15], v[14:15], v[8:9], -v[18:19]
	s_delay_alu instid0(VALU_DEP_3) | instskip(NEXT) | instid1(VALU_DEP_3)
	v_fma_f64 v[8:9], v[26:27], v[8:9], -v[32:33]
	v_add_f64_e32 v[20:21], v[18:19], v[12:13]
	s_delay_alu instid0(VALU_DEP_1) | instskip(SKIP_1) | instid1(VALU_DEP_2)
	v_add_f64_e64 v[22:23], v[20:21], -v[18:19]
	v_add_f64_e32 v[30:31], v[16:17], v[20:21]
	v_add_f64_e64 v[28:29], v[20:21], -v[22:23]
	v_add_f64_e64 v[12:13], v[12:13], -v[22:23]
	s_delay_alu instid0(VALU_DEP_3) | instskip(NEXT) | instid1(VALU_DEP_3)
	v_ldexp_f64 v[22:23], v[30:31], -2
	v_add_f64_e64 v[18:19], v[18:19], -v[28:29]
	v_add_f64_e32 v[28:29], v[32:33], v[14:15]
	s_delay_alu instid0(VALU_DEP_3) | instskip(NEXT) | instid1(VALU_DEP_3)
	v_cmp_neq_f64_e64 vcc_lo, 0x7ff00000, |v[22:23]|
	v_add_f64_e32 v[12:13], v[12:13], v[18:19]
	v_fract_f64_e32 v[18:19], v[22:23]
	s_delay_alu instid0(VALU_DEP_1) | instskip(NEXT) | instid1(VALU_DEP_1)
	v_ldexp_f64 v[18:19], v[18:19], 2
	v_dual_add_f64 v[16:17], v[30:31], -v[16:17] :: v_dual_cndmask_b32 v19, 0, v19, vcc_lo
	s_delay_alu instid0(VALU_DEP_1) | instskip(SKIP_1) | instid1(VALU_DEP_1)
	v_dual_add_f64 v[16:17], v[20:21], -v[16:17] :: v_dual_cndmask_b32 v18, 0, v18, vcc_lo
	v_add_f64_e32 v[20:21], v[28:29], v[12:13]
	v_add_f64_e32 v[22:23], v[16:17], v[20:21]
	v_add_f64_e64 v[36:37], v[20:21], -v[28:29]
	s_delay_alu instid0(VALU_DEP_2) | instskip(NEXT) | instid1(VALU_DEP_2)
	v_add_f64_e32 v[30:31], v[22:23], v[18:19]
	v_add_f64_e64 v[42:43], v[20:21], -v[36:37]
	v_add_f64_e64 v[12:13], v[12:13], -v[36:37]
	;; [unrolled: 1-line block ×3, first 2 shown]
	s_delay_alu instid0(VALU_DEP_4) | instskip(SKIP_1) | instid1(VALU_DEP_3)
	v_cmp_gt_f64_e32 vcc_lo, 0, v[30:31]
	v_add_f64_e64 v[30:31], v[28:29], -v[32:33]
	v_add_f64_e64 v[16:17], v[20:21], -v[16:17]
	v_cndmask_b32_e64 v35, 0, 0x40100000, vcc_lo
	s_delay_alu instid0(VALU_DEP_3) | instskip(SKIP_2) | instid1(VALU_DEP_4)
	v_add_f64_e64 v[40:41], v[28:29], -v[30:31]
	v_add_f64_e64 v[14:15], v[14:15], -v[30:31]
	;; [unrolled: 1-line block ×3, first 2 shown]
	v_add_f64_e32 v[18:19], v[18:19], v[34:35]
	s_delay_alu instid0(VALU_DEP_4) | instskip(NEXT) | instid1(VALU_DEP_3)
	v_add_f64_e64 v[30:31], v[32:33], -v[40:41]
	v_add_f64_e32 v[12:13], v[12:13], v[28:29]
	s_delay_alu instid0(VALU_DEP_3) | instskip(NEXT) | instid1(VALU_DEP_3)
	v_add_f64_e32 v[38:39], v[22:23], v[18:19]
	v_add_f64_e32 v[14:15], v[14:15], v[30:31]
	s_delay_alu instid0(VALU_DEP_2) | instskip(NEXT) | instid1(VALU_DEP_2)
	v_cvt_i32_f64_e32 v7, v[38:39]
	v_add_f64_e32 v[12:13], v[14:15], v[12:13]
	s_delay_alu instid0(VALU_DEP_2) | instskip(NEXT) | instid1(VALU_DEP_2)
	v_cvt_f64_i32_e32 v[36:37], v7
	v_add_f64_e32 v[8:9], v[8:9], v[12:13]
	s_delay_alu instid0(VALU_DEP_2) | instskip(NEXT) | instid1(VALU_DEP_2)
	v_add_f64_e64 v[18:19], v[18:19], -v[36:37]
	v_add_f64_e32 v[8:9], v[16:17], v[8:9]
	s_delay_alu instid0(VALU_DEP_2) | instskip(NEXT) | instid1(VALU_DEP_1)
	v_add_f64_e32 v[14:15], v[22:23], v[18:19]
	v_add_f64_e64 v[12:13], v[14:15], -v[18:19]
	v_cmp_le_f64_e32 vcc_lo, 0.5, v[14:15]
	s_delay_alu instid0(VALU_DEP_2) | instskip(SKIP_2) | instid1(VALU_DEP_3)
	v_add_f64_e64 v[12:13], v[22:23], -v[12:13]
	v_cndmask_b32_e64 v35, 0, 0x3ff00000, vcc_lo
	v_add_co_ci_u32_e64 v26, null, 0, v7, vcc_lo
	v_add_f64_e32 v[8:9], v[8:9], v[12:13]
	s_delay_alu instid0(VALU_DEP_3) | instskip(NEXT) | instid1(VALU_DEP_1)
	v_add_f64_e64 v[12:13], v[14:15], -v[34:35]
	v_add_f64_e32 v[14:15], v[12:13], v[8:9]
	s_delay_alu instid0(VALU_DEP_1) | instskip(SKIP_1) | instid1(VALU_DEP_2)
	v_mul_f64_e32 v[16:17], 0x3ff921fb54442d18, v[14:15]
	v_add_f64_e64 v[12:13], v[14:15], -v[12:13]
	v_fma_f64 v[18:19], v[14:15], s[12:13], -v[16:17]
	s_delay_alu instid0(VALU_DEP_2) | instskip(NEXT) | instid1(VALU_DEP_2)
	v_add_f64_e64 v[8:9], v[8:9], -v[12:13]
	v_fmamk_f64 v[14:15], v[14:15], 0x3c91a62633145c07, v[18:19]
	s_delay_alu instid0(VALU_DEP_1) | instskip(NEXT) | instid1(VALU_DEP_1)
	v_fmac_f64_e32 v[14:15], 0x3ff921fb54442d18, v[8:9]
	v_add_f64_e32 v[12:13], v[16:17], v[14:15]
	s_delay_alu instid0(VALU_DEP_1) | instskip(NEXT) | instid1(VALU_DEP_1)
	v_add_f64_e64 v[8:9], v[12:13], -v[16:17]
	v_add_f64_e64 v[14:15], v[14:15], -v[8:9]
.LBB6_1306:
	s_and_not1_saveexec_b32 s9, s9
	s_cbranch_execz .LBB6_1308
; %bb.1307:
	s_mov_b64 s[12:13], 0x3fe45f306dc9c883
	s_delay_alu instid0(SALU_CYCLE_1) | instskip(SKIP_1) | instid1(VALU_DEP_1)
	v_mul_f64_e64 v[8:9], |v[4:5]|, s[12:13]
	s_mov_b64 s[12:13], 0xbff921fb54442d18
	v_rndne_f64_e32 v[8:9], v[8:9]
	s_delay_alu instid0(VALU_DEP_1) | instskip(SKIP_2) | instid1(VALU_DEP_3)
	v_fma_f64 v[12:13], v[8:9], s[12:13], |v[4:5]|
	v_mul_f64_e32 v[14:15], 0xbc91a62633145c00, v[8:9]
	v_cvt_i32_f64_e32 v26, v[8:9]
	v_fmamk_f64 v[20:21], v[8:9], 0xbc91a62633145c00, v[12:13]
	s_delay_alu instid0(VALU_DEP_3) | instskip(NEXT) | instid1(VALU_DEP_1)
	v_add_f64_e32 v[16:17], v[12:13], v[14:15]
	v_add_f64_e64 v[18:19], v[12:13], -v[16:17]
	s_delay_alu instid0(VALU_DEP_3) | instskip(NEXT) | instid1(VALU_DEP_2)
	v_add_f64_e64 v[12:13], v[16:17], -v[20:21]
	v_add_f64_e32 v[16:17], v[18:19], v[14:15]
	v_fmamk_f64 v[14:15], v[8:9], 0x3c91a62633145c00, v[14:15]
	s_delay_alu instid0(VALU_DEP_2) | instskip(NEXT) | instid1(VALU_DEP_1)
	v_add_f64_e32 v[12:13], v[12:13], v[16:17]
	v_add_f64_e64 v[12:13], v[12:13], -v[14:15]
	s_delay_alu instid0(VALU_DEP_1) | instskip(NEXT) | instid1(VALU_DEP_1)
	v_fmamk_f64 v[14:15], v[8:9], 0xb97b839a252049c0, v[12:13]
	v_add_f64_e32 v[12:13], v[20:21], v[14:15]
	s_delay_alu instid0(VALU_DEP_1) | instskip(NEXT) | instid1(VALU_DEP_1)
	v_add_f64_e64 v[16:17], v[12:13], -v[20:21]
	v_add_f64_e64 v[14:15], v[14:15], -v[16:17]
.LBB6_1308:
	s_or_b32 exec_lo, exec_lo, s9
	v_add_nc_u32_e32 v8, s3, v6
	s_cmp_lt_i32 s0, 11
	s_delay_alu instid0(VALU_DEP_1) | instskip(NEXT) | instid1(VALU_DEP_1)
	v_ashrrev_i32_e32 v9, 31, v8
	v_add_nc_u64_e32 v[16:17], s[6:7], v[8:9]
	s_cbranch_scc1 .LBB6_1315
; %bb.1309:
	s_cmp_gt_i32 s0, 25
	s_mov_b32 s12, 0
	s_cbranch_scc0 .LBB6_1317
; %bb.1310:
	s_cmp_gt_i32 s0, 28
	s_cbranch_scc0 .LBB6_1318
; %bb.1311:
	s_cmp_gt_i32 s0, 43
	;; [unrolled: 3-line block ×3, first 2 shown]
	s_cbranch_scc0 .LBB6_1321
; %bb.1313:
	s_cmp_eq_u32 s0, 46
	s_mov_b32 s14, 0
	s_cbranch_scc0 .LBB6_1322
; %bb.1314:
	global_load_b32 v6, v[16:17], off
	s_mov_b32 s9, 0
	s_mov_b32 s13, -1
	s_wait_loadcnt 0x0
	v_lshlrev_b32_e32 v6, 16, v6
	s_delay_alu instid0(VALU_DEP_1)
	v_cvt_f64_f32_e32 v[6:7], v6
	s_branch .LBB6_1324
.LBB6_1315:
	s_mov_b32 s13, 0
                                        ; implicit-def: $vgpr6_vgpr7
	s_cbranch_execnz .LBB6_1390
.LBB6_1316:
	s_and_not1_b32 vcc_lo, exec_lo, s13
	s_cbranch_vccz .LBB6_1438
	s_branch .LBB6_2007
.LBB6_1317:
	s_mov_b32 s14, -1
	s_mov_b32 s13, 0
	s_mov_b32 s9, 0
                                        ; implicit-def: $vgpr6_vgpr7
	s_branch .LBB6_1353
.LBB6_1318:
	s_mov_b32 s14, -1
	s_mov_b32 s13, 0
	s_mov_b32 s9, 0
                                        ; implicit-def: $vgpr6_vgpr7
	s_branch .LBB6_1334
.LBB6_1319:
	s_mov_b32 s14, -1
	s_mov_b32 s13, 0
	s_mov_b32 s9, 0
                                        ; implicit-def: $vgpr6_vgpr7
	s_branch .LBB6_1329
.LBB6_1320:
	s_or_b32 s1, s1, exec_lo
	s_trap 2
	s_cbranch_execz .LBB6_1255
	s_branch .LBB6_1256
.LBB6_1321:
	s_mov_b32 s14, -1
	s_mov_b32 s13, 0
	s_mov_b32 s9, 0
	s_branch .LBB6_1323
.LBB6_1322:
	s_mov_b32 s9, -1
	s_mov_b32 s13, 0
.LBB6_1323:
                                        ; implicit-def: $vgpr6_vgpr7
.LBB6_1324:
	s_and_b32 vcc_lo, exec_lo, s14
	s_cbranch_vccz .LBB6_1328
; %bb.1325:
	s_cmp_eq_u32 s0, 44
	s_cbranch_scc0 .LBB6_1327
; %bb.1326:
	global_load_u8 v9, v[16:17], off
	s_mov_b32 s9, 0
	s_mov_b32 s13, -1
	s_wait_loadcnt 0x0
	v_cmp_ne_u32_e32 vcc_lo, 0xff, v9
	v_lshlrev_b32_e32 v6, 23, v9
	s_delay_alu instid0(VALU_DEP_1) | instskip(NEXT) | instid1(VALU_DEP_1)
	v_cvt_f64_f32_e32 v[6:7], v6
	v_cndmask_b32_e32 v6, 0x20000000, v6, vcc_lo
	s_delay_alu instid0(VALU_DEP_2) | instskip(SKIP_1) | instid1(VALU_DEP_2)
	v_cndmask_b32_e32 v7, 0x7ff80000, v7, vcc_lo
	v_cmp_ne_u32_e32 vcc_lo, 0, v9
	v_cndmask_b32_e32 v7, 0x38000000, v7, vcc_lo
	s_delay_alu instid0(VALU_DEP_4)
	v_cndmask_b32_e32 v6, 0, v6, vcc_lo
	s_branch .LBB6_1328
.LBB6_1327:
	s_mov_b32 s9, -1
                                        ; implicit-def: $vgpr6_vgpr7
.LBB6_1328:
	s_mov_b32 s14, 0
.LBB6_1329:
	s_delay_alu instid0(SALU_CYCLE_1)
	s_and_b32 vcc_lo, exec_lo, s14
	s_cbranch_vccz .LBB6_1333
; %bb.1330:
	s_cmp_eq_u32 s0, 29
	s_cbranch_scc0 .LBB6_1332
; %bb.1331:
	global_load_b64 v[6:7], v[16:17], off
	s_mov_b32 s9, 0
	s_mov_b32 s13, -1
	s_mov_b32 s14, 0
	s_wait_loadcnt 0x0
	v_cvt_f64_u32_e32 v[18:19], v7
	v_cvt_f64_u32_e32 v[6:7], v6
	s_delay_alu instid0(VALU_DEP_2) | instskip(NEXT) | instid1(VALU_DEP_1)
	v_ldexp_f64 v[18:19], v[18:19], 32
	v_add_f64_e32 v[6:7], v[18:19], v[6:7]
	s_branch .LBB6_1334
.LBB6_1332:
	s_mov_b32 s9, -1
                                        ; implicit-def: $vgpr6_vgpr7
.LBB6_1333:
	s_mov_b32 s14, 0
.LBB6_1334:
	s_delay_alu instid0(SALU_CYCLE_1)
	s_and_b32 vcc_lo, exec_lo, s14
	s_cbranch_vccz .LBB6_1352
; %bb.1335:
	s_cmp_lt_i32 s0, 27
	s_cbranch_scc1 .LBB6_1338
; %bb.1336:
	s_cmp_gt_i32 s0, 27
	s_cbranch_scc0 .LBB6_1339
; %bb.1337:
	global_load_b32 v6, v[16:17], off
	s_mov_b32 s13, 0
	s_wait_loadcnt 0x0
	v_cvt_f64_u32_e32 v[6:7], v6
	s_branch .LBB6_1340
.LBB6_1338:
	s_mov_b32 s13, -1
                                        ; implicit-def: $vgpr6_vgpr7
	s_branch .LBB6_1343
.LBB6_1339:
	s_mov_b32 s13, -1
                                        ; implicit-def: $vgpr6_vgpr7
.LBB6_1340:
	s_delay_alu instid0(SALU_CYCLE_1)
	s_and_not1_b32 vcc_lo, exec_lo, s13
	s_cbranch_vccnz .LBB6_1342
; %bb.1341:
	global_load_u16 v6, v[16:17], off
	s_wait_loadcnt 0x0
	v_cvt_f64_u32_e32 v[6:7], v6
.LBB6_1342:
	s_mov_b32 s13, 0
.LBB6_1343:
	s_delay_alu instid0(SALU_CYCLE_1)
	s_and_not1_b32 vcc_lo, exec_lo, s13
	s_cbranch_vccnz .LBB6_1351
; %bb.1344:
	global_load_u8 v9, v[16:17], off
	s_mov_b32 s13, 0
	s_mov_b32 s14, exec_lo
	s_wait_loadcnt 0x0
	v_cmpx_lt_i16_e32 0x7f, v9
	s_xor_b32 s14, exec_lo, s14
	s_cbranch_execz .LBB6_1365
; %bb.1345:
	s_mov_b32 s13, -1
	s_mov_b32 s15, exec_lo
	v_cmpx_eq_u16_e32 0x80, v9
; %bb.1346:
	s_xor_b32 s13, exec_lo, -1
; %bb.1347:
	s_or_b32 exec_lo, exec_lo, s15
	s_delay_alu instid0(SALU_CYCLE_1)
	s_and_b32 s13, s13, exec_lo
	s_or_saveexec_b32 s14, s14
	v_mov_b64_e32 v[6:7], 0x7ff8000020000000
	s_xor_b32 exec_lo, exec_lo, s14
	s_cbranch_execnz .LBB6_1366
.LBB6_1348:
	s_or_b32 exec_lo, exec_lo, s14
	s_and_saveexec_b32 s14, s13
	s_cbranch_execz .LBB6_1350
.LBB6_1349:
	v_and_b32_e32 v6, 0xffff, v9
	s_delay_alu instid0(VALU_DEP_1) | instskip(SKIP_1) | instid1(VALU_DEP_2)
	v_dual_lshlrev_b32 v9, 24, v9 :: v_dual_bitop2_b32 v7, 7, v6 bitop3:0x40
	v_bfe_u32 v20, v6, 3, 4
	v_clz_i32_u32_e32 v18, v7
	s_delay_alu instid0(VALU_DEP_2) | instskip(NEXT) | instid1(VALU_DEP_2)
	v_cmp_eq_u32_e32 vcc_lo, 0, v20
	v_min_u32_e32 v18, 32, v18
	s_delay_alu instid0(VALU_DEP_1) | instskip(SKIP_1) | instid1(VALU_DEP_2)
	v_subrev_nc_u32_e32 v19, 28, v18
	v_sub_nc_u32_e32 v18, 29, v18
	v_lshlrev_b32_e32 v6, v19, v6
	s_delay_alu instid0(VALU_DEP_2) | instskip(NEXT) | instid1(VALU_DEP_2)
	v_cndmask_b32_e32 v18, v20, v18, vcc_lo
	v_and_b32_e32 v6, 7, v6
	s_delay_alu instid0(VALU_DEP_1) | instskip(SKIP_1) | instid1(VALU_DEP_4)
	v_cndmask_b32_e32 v6, v7, v6, vcc_lo
	v_and_b32_e32 v7, 0x80000000, v9
	v_lshl_add_u32 v9, v18, 23, 0x3b800000
	s_delay_alu instid0(VALU_DEP_3) | instskip(NEXT) | instid1(VALU_DEP_1)
	v_lshlrev_b32_e32 v6, 20, v6
	v_or3_b32 v6, v7, v9, v6
	s_delay_alu instid0(VALU_DEP_1)
	v_cvt_f64_f32_e32 v[6:7], v6
.LBB6_1350:
	s_or_b32 exec_lo, exec_lo, s14
.LBB6_1351:
	s_mov_b32 s13, -1
.LBB6_1352:
	s_mov_b32 s14, 0
.LBB6_1353:
	s_delay_alu instid0(SALU_CYCLE_1)
	s_and_b32 vcc_lo, exec_lo, s14
	s_cbranch_vccz .LBB6_1386
; %bb.1354:
	s_cmp_gt_i32 s0, 22
	s_cbranch_scc0 .LBB6_1364
; %bb.1355:
	s_cmp_lt_i32 s0, 24
	s_cbranch_scc1 .LBB6_1367
; %bb.1356:
	s_cmp_gt_i32 s0, 24
	s_cbranch_scc0 .LBB6_1368
; %bb.1357:
	global_load_u8 v9, v[16:17], off
	s_mov_b32 s13, exec_lo
	s_wait_loadcnt 0x0
	v_cmpx_lt_i16_e32 0x7f, v9
	s_xor_b32 s13, exec_lo, s13
	s_cbranch_execz .LBB6_1380
; %bb.1358:
	s_mov_b32 s12, -1
	s_mov_b32 s14, exec_lo
	v_cmpx_eq_u16_e32 0x80, v9
; %bb.1359:
	s_xor_b32 s12, exec_lo, -1
; %bb.1360:
	s_or_b32 exec_lo, exec_lo, s14
	s_delay_alu instid0(SALU_CYCLE_1)
	s_and_b32 s12, s12, exec_lo
	s_or_saveexec_b32 s13, s13
	v_mov_b64_e32 v[6:7], 0x7ff8000020000000
	s_xor_b32 exec_lo, exec_lo, s13
	s_cbranch_execnz .LBB6_1381
.LBB6_1361:
	s_or_b32 exec_lo, exec_lo, s13
	s_and_saveexec_b32 s13, s12
	s_cbranch_execz .LBB6_1363
.LBB6_1362:
	v_and_b32_e32 v6, 0xffff, v9
	s_delay_alu instid0(VALU_DEP_1) | instskip(SKIP_1) | instid1(VALU_DEP_2)
	v_dual_lshlrev_b32 v9, 24, v9 :: v_dual_bitop2_b32 v7, 3, v6 bitop3:0x40
	v_bfe_u32 v20, v6, 2, 5
	v_clz_i32_u32_e32 v18, v7
	s_delay_alu instid0(VALU_DEP_2) | instskip(NEXT) | instid1(VALU_DEP_2)
	v_cmp_eq_u32_e32 vcc_lo, 0, v20
	v_min_u32_e32 v18, 32, v18
	s_delay_alu instid0(VALU_DEP_1) | instskip(SKIP_1) | instid1(VALU_DEP_2)
	v_subrev_nc_u32_e32 v19, 29, v18
	v_sub_nc_u32_e32 v18, 30, v18
	v_lshlrev_b32_e32 v6, v19, v6
	s_delay_alu instid0(VALU_DEP_2) | instskip(NEXT) | instid1(VALU_DEP_2)
	v_cndmask_b32_e32 v18, v20, v18, vcc_lo
	v_and_b32_e32 v6, 3, v6
	s_delay_alu instid0(VALU_DEP_1) | instskip(SKIP_1) | instid1(VALU_DEP_4)
	v_cndmask_b32_e32 v6, v7, v6, vcc_lo
	v_and_b32_e32 v7, 0x80000000, v9
	v_lshl_add_u32 v9, v18, 23, 0x37800000
	s_delay_alu instid0(VALU_DEP_3) | instskip(NEXT) | instid1(VALU_DEP_1)
	v_lshlrev_b32_e32 v6, 21, v6
	v_or3_b32 v6, v7, v9, v6
	s_delay_alu instid0(VALU_DEP_1)
	v_cvt_f64_f32_e32 v[6:7], v6
.LBB6_1363:
	s_or_b32 exec_lo, exec_lo, s13
	s_mov_b32 s12, 0
	s_branch .LBB6_1369
.LBB6_1364:
	s_mov_b32 s12, -1
                                        ; implicit-def: $vgpr6_vgpr7
	s_branch .LBB6_1375
.LBB6_1365:
	s_or_saveexec_b32 s14, s14
	v_mov_b64_e32 v[6:7], 0x7ff8000020000000
	s_xor_b32 exec_lo, exec_lo, s14
	s_cbranch_execz .LBB6_1348
.LBB6_1366:
	v_cmp_ne_u16_e32 vcc_lo, 0, v9
	v_mov_b64_e32 v[6:7], 0
	s_and_not1_b32 s13, s13, exec_lo
	s_and_b32 s15, vcc_lo, exec_lo
	s_delay_alu instid0(SALU_CYCLE_1)
	s_or_b32 s13, s13, s15
	s_or_b32 exec_lo, exec_lo, s14
	s_and_saveexec_b32 s14, s13
	s_cbranch_execnz .LBB6_1349
	s_branch .LBB6_1350
.LBB6_1367:
	s_mov_b32 s12, -1
                                        ; implicit-def: $vgpr6_vgpr7
	s_branch .LBB6_1372
.LBB6_1368:
	s_mov_b32 s12, -1
                                        ; implicit-def: $vgpr6_vgpr7
.LBB6_1369:
	s_delay_alu instid0(SALU_CYCLE_1)
	s_and_b32 vcc_lo, exec_lo, s12
	s_cbranch_vccz .LBB6_1371
; %bb.1370:
	global_load_u8 v6, v[16:17], off
	s_wait_loadcnt 0x0
	v_lshlrev_b32_e32 v6, 24, v6
	s_delay_alu instid0(VALU_DEP_1) | instskip(NEXT) | instid1(VALU_DEP_1)
	v_and_b32_e32 v7, 0x7f000000, v6
	v_clz_i32_u32_e32 v9, v7
	v_add_nc_u32_e32 v19, 0x1000000, v7
	v_cmp_ne_u32_e32 vcc_lo, 0, v7
	s_delay_alu instid0(VALU_DEP_3) | instskip(NEXT) | instid1(VALU_DEP_1)
	v_min_u32_e32 v9, 32, v9
	v_sub_nc_u32_e64 v9, v9, 4 clamp
	s_delay_alu instid0(VALU_DEP_1) | instskip(NEXT) | instid1(VALU_DEP_1)
	v_dual_lshlrev_b32 v18, v9, v7 :: v_dual_lshlrev_b32 v9, 23, v9
	v_lshrrev_b32_e32 v18, 4, v18
	s_delay_alu instid0(VALU_DEP_1) | instskip(NEXT) | instid1(VALU_DEP_1)
	v_dual_sub_nc_u32 v9, v18, v9 :: v_dual_ashrrev_i32 v18, 8, v19
	v_add_nc_u32_e32 v9, 0x3c000000, v9
	s_delay_alu instid0(VALU_DEP_1) | instskip(NEXT) | instid1(VALU_DEP_1)
	v_and_or_b32 v9, 0x7f800000, v18, v9
	v_cndmask_b32_e32 v7, 0, v9, vcc_lo
	s_delay_alu instid0(VALU_DEP_1) | instskip(NEXT) | instid1(VALU_DEP_1)
	v_and_or_b32 v6, 0x80000000, v6, v7
	v_cvt_f64_f32_e32 v[6:7], v6
.LBB6_1371:
	s_mov_b32 s12, 0
.LBB6_1372:
	s_delay_alu instid0(SALU_CYCLE_1)
	s_and_not1_b32 vcc_lo, exec_lo, s12
	s_cbranch_vccnz .LBB6_1374
; %bb.1373:
	global_load_u8 v6, v[16:17], off
	s_wait_loadcnt 0x0
	v_lshlrev_b32_e32 v7, 25, v6
	v_lshlrev_b16 v6, 8, v6
	s_delay_alu instid0(VALU_DEP_2) | instskip(NEXT) | instid1(VALU_DEP_2)
	v_cmp_gt_u32_e32 vcc_lo, 0x8000000, v7
	v_and_or_b32 v18, 0x7f00, v6, 0.5
	v_lshrrev_b32_e32 v9, 4, v7
	v_bfe_i32 v6, v6, 0, 16
	s_delay_alu instid0(VALU_DEP_3) | instskip(NEXT) | instid1(VALU_DEP_3)
	v_add_f32_e32 v18, -0.5, v18
	v_or_b32_e32 v9, 0x70000000, v9
	s_delay_alu instid0(VALU_DEP_1) | instskip(NEXT) | instid1(VALU_DEP_1)
	v_mul_f32_e32 v9, 0x7800000, v9
	v_cndmask_b32_e32 v7, v9, v18, vcc_lo
	s_delay_alu instid0(VALU_DEP_1) | instskip(NEXT) | instid1(VALU_DEP_1)
	v_and_or_b32 v6, 0x80000000, v6, v7
	v_cvt_f64_f32_e32 v[6:7], v6
.LBB6_1374:
	s_mov_b32 s12, 0
	s_mov_b32 s13, -1
.LBB6_1375:
	s_and_not1_b32 vcc_lo, exec_lo, s12
	s_mov_b32 s12, 0
	s_cbranch_vccnz .LBB6_1386
; %bb.1376:
	s_cmp_gt_i32 s0, 14
	s_cbranch_scc0 .LBB6_1379
; %bb.1377:
	s_cmp_eq_u32 s0, 15
	s_cbranch_scc0 .LBB6_1382
; %bb.1378:
	global_load_u16 v6, v[16:17], off
	s_mov_b32 s9, 0
	s_mov_b32 s13, -1
	s_wait_loadcnt 0x0
	v_lshlrev_b32_e32 v6, 16, v6
	s_delay_alu instid0(VALU_DEP_1)
	v_cvt_f64_f32_e32 v[6:7], v6
	s_branch .LBB6_1384
.LBB6_1379:
	s_mov_b32 s12, -1
	s_branch .LBB6_1383
.LBB6_1380:
	s_or_saveexec_b32 s13, s13
	v_mov_b64_e32 v[6:7], 0x7ff8000020000000
	s_xor_b32 exec_lo, exec_lo, s13
	s_cbranch_execz .LBB6_1361
.LBB6_1381:
	v_cmp_ne_u16_e32 vcc_lo, 0, v9
	v_mov_b64_e32 v[6:7], 0
	s_and_not1_b32 s12, s12, exec_lo
	s_and_b32 s14, vcc_lo, exec_lo
	s_delay_alu instid0(SALU_CYCLE_1)
	s_or_b32 s12, s12, s14
	s_or_b32 exec_lo, exec_lo, s13
	s_and_saveexec_b32 s13, s12
	s_cbranch_execnz .LBB6_1362
	s_branch .LBB6_1363
.LBB6_1382:
	s_mov_b32 s9, -1
.LBB6_1383:
                                        ; implicit-def: $vgpr6_vgpr7
.LBB6_1384:
	s_and_b32 vcc_lo, exec_lo, s12
	s_mov_b32 s12, 0
	s_cbranch_vccz .LBB6_1386
; %bb.1385:
	s_cmp_lg_u32 s0, 11
	s_mov_b32 s12, -1
	s_cselect_b32 s9, -1, 0
.LBB6_1386:
	s_delay_alu instid0(SALU_CYCLE_1)
	s_and_b32 vcc_lo, exec_lo, s9
	s_cbranch_vccnz .LBB6_1453
; %bb.1387:
	s_and_not1_b32 vcc_lo, exec_lo, s12
	s_cbranch_vccnz .LBB6_1389
.LBB6_1388:
	global_load_u8 v6, v[16:17], off
	s_mov_b32 s13, -1
	s_wait_loadcnt 0x0
	v_cmp_ne_u16_e32 vcc_lo, 0, v6
	v_mov_b32_e32 v6, 0
	v_cndmask_b32_e64 v7, 0, 0x3ff00000, vcc_lo
.LBB6_1389:
	s_branch .LBB6_1316
.LBB6_1390:
	s_cmp_lt_i32 s0, 5
	s_cbranch_scc1 .LBB6_1395
; %bb.1391:
	s_cmp_lt_i32 s0, 8
	s_cbranch_scc1 .LBB6_1396
; %bb.1392:
	;; [unrolled: 3-line block ×3, first 2 shown]
	s_cmp_gt_i32 s0, 9
	s_cbranch_scc0 .LBB6_1398
; %bb.1394:
	global_load_b64 v[6:7], v[16:17], off
	s_mov_b32 s9, 0
	s_branch .LBB6_1399
.LBB6_1395:
	s_mov_b32 s9, -1
                                        ; implicit-def: $vgpr6_vgpr7
	s_branch .LBB6_1417
.LBB6_1396:
	s_mov_b32 s9, -1
                                        ; implicit-def: $vgpr6_vgpr7
	s_branch .LBB6_1405
.LBB6_1397:
	s_mov_b32 s9, -1
                                        ; implicit-def: $vgpr6_vgpr7
	s_branch .LBB6_1402
.LBB6_1398:
	s_mov_b32 s9, -1
                                        ; implicit-def: $vgpr6_vgpr7
.LBB6_1399:
	s_delay_alu instid0(SALU_CYCLE_1)
	s_and_not1_b32 vcc_lo, exec_lo, s9
	s_cbranch_vccnz .LBB6_1401
; %bb.1400:
	s_wait_loadcnt 0x0
	global_load_b32 v6, v[16:17], off
	s_wait_loadcnt 0x0
	v_cvt_f64_f32_e32 v[6:7], v6
.LBB6_1401:
	s_mov_b32 s9, 0
.LBB6_1402:
	s_delay_alu instid0(SALU_CYCLE_1)
	s_and_not1_b32 vcc_lo, exec_lo, s9
	s_cbranch_vccnz .LBB6_1404
; %bb.1403:
	s_wait_loadcnt 0x0
	global_load_b32 v6, v[16:17], off
	s_wait_loadcnt 0x0
	v_cvt_f32_f16_e32 v6, v6
	s_delay_alu instid0(VALU_DEP_1)
	v_cvt_f64_f32_e32 v[6:7], v6
.LBB6_1404:
	s_mov_b32 s9, 0
.LBB6_1405:
	s_delay_alu instid0(SALU_CYCLE_1)
	s_and_not1_b32 vcc_lo, exec_lo, s9
	s_cbranch_vccnz .LBB6_1416
; %bb.1406:
	s_cmp_lt_i32 s0, 6
	s_cbranch_scc1 .LBB6_1409
; %bb.1407:
	s_cmp_gt_i32 s0, 6
	s_cbranch_scc0 .LBB6_1410
; %bb.1408:
	s_wait_loadcnt 0x0
	global_load_b64 v[6:7], v[16:17], off
	s_mov_b32 s9, 0
	s_branch .LBB6_1411
.LBB6_1409:
	s_mov_b32 s9, -1
                                        ; implicit-def: $vgpr6_vgpr7
	s_branch .LBB6_1414
.LBB6_1410:
	s_mov_b32 s9, -1
                                        ; implicit-def: $vgpr6_vgpr7
.LBB6_1411:
	s_delay_alu instid0(SALU_CYCLE_1)
	s_and_not1_b32 vcc_lo, exec_lo, s9
	s_cbranch_vccnz .LBB6_1413
; %bb.1412:
	s_wait_loadcnt 0x0
	global_load_b32 v6, v[16:17], off
	s_wait_loadcnt 0x0
	v_cvt_f64_f32_e32 v[6:7], v6
.LBB6_1413:
	s_mov_b32 s9, 0
.LBB6_1414:
	s_delay_alu instid0(SALU_CYCLE_1)
	s_and_not1_b32 vcc_lo, exec_lo, s9
	s_cbranch_vccnz .LBB6_1416
; %bb.1415:
	s_wait_loadcnt 0x0
	global_load_u16 v6, v[16:17], off
	s_wait_loadcnt 0x0
	v_cvt_f32_f16_e32 v6, v6
	s_delay_alu instid0(VALU_DEP_1)
	v_cvt_f64_f32_e32 v[6:7], v6
.LBB6_1416:
	s_mov_b32 s9, 0
.LBB6_1417:
	s_delay_alu instid0(SALU_CYCLE_1)
	s_and_not1_b32 vcc_lo, exec_lo, s9
	s_cbranch_vccnz .LBB6_1437
; %bb.1418:
	s_cmp_lt_i32 s0, 2
	s_cbranch_scc1 .LBB6_1422
; %bb.1419:
	s_cmp_lt_i32 s0, 3
	s_cbranch_scc1 .LBB6_1423
; %bb.1420:
	s_cmp_gt_i32 s0, 3
	s_cbranch_scc0 .LBB6_1424
; %bb.1421:
	s_wait_loadcnt 0x0
	global_load_b64 v[6:7], v[16:17], off
	s_mov_b32 s9, 0
	s_wait_loadcnt 0x0
	v_cvt_f64_i32_e32 v[18:19], v7
	v_cvt_f64_u32_e32 v[6:7], v6
	s_delay_alu instid0(VALU_DEP_2) | instskip(NEXT) | instid1(VALU_DEP_1)
	v_ldexp_f64 v[18:19], v[18:19], 32
	v_add_f64_e32 v[6:7], v[18:19], v[6:7]
	s_branch .LBB6_1425
.LBB6_1422:
	s_mov_b32 s9, -1
                                        ; implicit-def: $vgpr6_vgpr7
	s_branch .LBB6_1431
.LBB6_1423:
	s_mov_b32 s9, -1
                                        ; implicit-def: $vgpr6_vgpr7
	s_branch .LBB6_1428
.LBB6_1424:
	s_mov_b32 s9, -1
                                        ; implicit-def: $vgpr6_vgpr7
.LBB6_1425:
	s_delay_alu instid0(SALU_CYCLE_1)
	s_and_not1_b32 vcc_lo, exec_lo, s9
	s_cbranch_vccnz .LBB6_1427
; %bb.1426:
	s_wait_loadcnt 0x0
	global_load_b32 v6, v[16:17], off
	s_wait_loadcnt 0x0
	v_cvt_f64_i32_e32 v[6:7], v6
.LBB6_1427:
	s_mov_b32 s9, 0
.LBB6_1428:
	s_delay_alu instid0(SALU_CYCLE_1)
	s_and_not1_b32 vcc_lo, exec_lo, s9
	s_cbranch_vccnz .LBB6_1430
; %bb.1429:
	s_wait_loadcnt 0x0
	global_load_i16 v6, v[16:17], off
	s_wait_loadcnt 0x0
	v_cvt_f64_i32_e32 v[6:7], v6
.LBB6_1430:
	s_mov_b32 s9, 0
.LBB6_1431:
	s_delay_alu instid0(SALU_CYCLE_1)
	s_and_not1_b32 vcc_lo, exec_lo, s9
	s_cbranch_vccnz .LBB6_1437
; %bb.1432:
	s_cmp_gt_i32 s0, 0
	s_mov_b32 s9, 0
	s_cbranch_scc0 .LBB6_1434
; %bb.1433:
	s_wait_loadcnt 0x0
	global_load_i8 v6, v[16:17], off
	s_wait_loadcnt 0x0
	v_cvt_f64_i32_e32 v[6:7], v6
	s_branch .LBB6_1435
.LBB6_1434:
	s_mov_b32 s9, -1
                                        ; implicit-def: $vgpr6_vgpr7
.LBB6_1435:
	s_delay_alu instid0(SALU_CYCLE_1)
	s_and_not1_b32 vcc_lo, exec_lo, s9
	s_cbranch_vccnz .LBB6_1437
; %bb.1436:
	s_wait_loadcnt 0x0
	global_load_u8 v6, v[16:17], off
	s_wait_loadcnt 0x0
	v_cvt_f64_u32_e32 v[6:7], v6
.LBB6_1437:
.LBB6_1438:
	s_wait_loadcnt 0x0
	s_delay_alu instid0(VALU_DEP_1) | instskip(SKIP_2) | instid1(SALU_CYCLE_1)
	v_cmp_ngt_f64_e64 s9, 0x41d00000, |v[6:7]|
                                        ; implicit-def: $vgpr27
                                        ; implicit-def: $vgpr16_vgpr17
                                        ; implicit-def: $vgpr18_vgpr19
	s_wait_xcnt 0x0
	s_and_saveexec_b32 s12, s9
	s_xor_b32 s9, exec_lo, s12
	s_cbranch_execz .LBB6_1440
; %bb.1439:
	v_ldexp_f64 v[16:17], |v[6:7]|, 0xffffff80
	v_cmp_le_f64_e64 vcc_lo, 0x7b000000, |v[6:7]|
	v_trig_preop_f64 v[18:19], |v[6:7]|, 0
	v_and_b32_e32 v9, 0x7fffffff, v7
	v_trig_preop_f64 v[20:21], |v[6:7]|, 1
	v_trig_preop_f64 v[34:35], |v[6:7]|, 2
	s_mov_b64 s[12:13], 0x3ff921fb54442d18
	s_delay_alu instid0(VALU_DEP_3) | instskip(SKIP_1) | instid1(VALU_DEP_1)
	v_dual_mov_b32 v42, 0 :: v_dual_cndmask_b32 v17, v9, v17
	v_cndmask_b32_e32 v16, v6, v16, vcc_lo
	v_mul_f64_e32 v[22:23], v[18:19], v[16:17]
	v_mul_f64_e32 v[28:29], v[20:21], v[16:17]
	;; [unrolled: 1-line block ×3, first 2 shown]
	s_delay_alu instid0(VALU_DEP_3) | instskip(NEXT) | instid1(VALU_DEP_3)
	v_fma_f64 v[18:19], v[18:19], v[16:17], -v[22:23]
	v_fma_f64 v[20:21], v[20:21], v[16:17], -v[28:29]
	s_delay_alu instid0(VALU_DEP_3) | instskip(NEXT) | instid1(VALU_DEP_3)
	v_fma_f64 v[16:17], v[34:35], v[16:17], -v[40:41]
	v_add_f64_e32 v[30:31], v[28:29], v[18:19]
	s_delay_alu instid0(VALU_DEP_1) | instskip(SKIP_1) | instid1(VALU_DEP_2)
	v_add_f64_e64 v[32:33], v[30:31], -v[28:29]
	v_add_f64_e32 v[38:39], v[22:23], v[30:31]
	v_add_f64_e64 v[36:37], v[30:31], -v[32:33]
	v_add_f64_e64 v[18:19], v[18:19], -v[32:33]
	s_delay_alu instid0(VALU_DEP_3) | instskip(NEXT) | instid1(VALU_DEP_3)
	v_ldexp_f64 v[32:33], v[38:39], -2
	v_add_f64_e64 v[28:29], v[28:29], -v[36:37]
	v_add_f64_e32 v[36:37], v[40:41], v[20:21]
	s_delay_alu instid0(VALU_DEP_3) | instskip(NEXT) | instid1(VALU_DEP_3)
	v_cmp_neq_f64_e64 vcc_lo, 0x7ff00000, |v[32:33]|
	v_add_f64_e32 v[18:19], v[18:19], v[28:29]
	v_fract_f64_e32 v[28:29], v[32:33]
	s_delay_alu instid0(VALU_DEP_1) | instskip(NEXT) | instid1(VALU_DEP_1)
	v_ldexp_f64 v[28:29], v[28:29], 2
	v_dual_add_f64 v[22:23], v[38:39], -v[22:23] :: v_dual_cndmask_b32 v28, 0, v28, vcc_lo
	s_delay_alu instid0(VALU_DEP_1) | instskip(SKIP_1) | instid1(VALU_DEP_1)
	v_dual_add_f64 v[22:23], v[30:31], -v[22:23] :: v_dual_cndmask_b32 v29, 0, v29, vcc_lo
	v_add_f64_e32 v[30:31], v[36:37], v[18:19]
	v_add_f64_e32 v[32:33], v[22:23], v[30:31]
	v_add_f64_e64 v[44:45], v[30:31], -v[36:37]
	s_delay_alu instid0(VALU_DEP_2) | instskip(NEXT) | instid1(VALU_DEP_2)
	v_add_f64_e32 v[38:39], v[32:33], v[28:29]
	v_add_f64_e64 v[50:51], v[30:31], -v[44:45]
	v_add_f64_e64 v[18:19], v[18:19], -v[44:45]
	;; [unrolled: 1-line block ×3, first 2 shown]
	s_delay_alu instid0(VALU_DEP_4) | instskip(SKIP_1) | instid1(VALU_DEP_3)
	v_cmp_gt_f64_e32 vcc_lo, 0, v[38:39]
	v_add_f64_e64 v[38:39], v[36:37], -v[40:41]
	v_add_f64_e64 v[22:23], v[30:31], -v[22:23]
	v_cndmask_b32_e64 v43, 0, 0x40100000, vcc_lo
	s_delay_alu instid0(VALU_DEP_3) | instskip(SKIP_2) | instid1(VALU_DEP_4)
	v_add_f64_e64 v[48:49], v[36:37], -v[38:39]
	v_add_f64_e64 v[20:21], v[20:21], -v[38:39]
	;; [unrolled: 1-line block ×3, first 2 shown]
	v_add_f64_e32 v[28:29], v[28:29], v[42:43]
	s_delay_alu instid0(VALU_DEP_4) | instskip(NEXT) | instid1(VALU_DEP_3)
	v_add_f64_e64 v[38:39], v[40:41], -v[48:49]
	v_add_f64_e32 v[18:19], v[18:19], v[36:37]
	s_delay_alu instid0(VALU_DEP_3) | instskip(NEXT) | instid1(VALU_DEP_3)
	v_add_f64_e32 v[46:47], v[32:33], v[28:29]
	v_add_f64_e32 v[20:21], v[20:21], v[38:39]
	s_delay_alu instid0(VALU_DEP_2) | instskip(NEXT) | instid1(VALU_DEP_2)
	v_cvt_i32_f64_e32 v9, v[46:47]
	v_add_f64_e32 v[18:19], v[20:21], v[18:19]
	s_delay_alu instid0(VALU_DEP_2) | instskip(NEXT) | instid1(VALU_DEP_2)
	v_cvt_f64_i32_e32 v[44:45], v9
	v_add_f64_e32 v[16:17], v[16:17], v[18:19]
	s_delay_alu instid0(VALU_DEP_2) | instskip(NEXT) | instid1(VALU_DEP_2)
	v_add_f64_e64 v[28:29], v[28:29], -v[44:45]
	v_add_f64_e32 v[16:17], v[22:23], v[16:17]
	s_delay_alu instid0(VALU_DEP_2) | instskip(NEXT) | instid1(VALU_DEP_1)
	v_add_f64_e32 v[20:21], v[32:33], v[28:29]
	v_add_f64_e64 v[18:19], v[20:21], -v[28:29]
	v_cmp_le_f64_e32 vcc_lo, 0.5, v[20:21]
	s_delay_alu instid0(VALU_DEP_2) | instskip(SKIP_2) | instid1(VALU_DEP_3)
	v_add_f64_e64 v[18:19], v[32:33], -v[18:19]
	v_cndmask_b32_e64 v43, 0, 0x3ff00000, vcc_lo
	v_add_co_ci_u32_e64 v27, null, 0, v9, vcc_lo
	v_add_f64_e32 v[16:17], v[16:17], v[18:19]
	s_delay_alu instid0(VALU_DEP_3) | instskip(NEXT) | instid1(VALU_DEP_1)
	v_add_f64_e64 v[18:19], v[20:21], -v[42:43]
	v_add_f64_e32 v[20:21], v[18:19], v[16:17]
	s_delay_alu instid0(VALU_DEP_1) | instskip(SKIP_1) | instid1(VALU_DEP_2)
	v_mul_f64_e32 v[22:23], 0x3ff921fb54442d18, v[20:21]
	v_add_f64_e64 v[18:19], v[20:21], -v[18:19]
	v_fma_f64 v[28:29], v[20:21], s[12:13], -v[22:23]
	s_delay_alu instid0(VALU_DEP_2) | instskip(NEXT) | instid1(VALU_DEP_2)
	v_add_f64_e64 v[16:17], v[16:17], -v[18:19]
	v_fmamk_f64 v[18:19], v[20:21], 0x3c91a62633145c07, v[28:29]
	s_delay_alu instid0(VALU_DEP_1) | instskip(NEXT) | instid1(VALU_DEP_1)
	v_fmac_f64_e32 v[18:19], 0x3ff921fb54442d18, v[16:17]
	v_add_f64_e32 v[16:17], v[22:23], v[18:19]
	s_delay_alu instid0(VALU_DEP_1) | instskip(NEXT) | instid1(VALU_DEP_1)
	v_add_f64_e64 v[20:21], v[16:17], -v[22:23]
	v_add_f64_e64 v[18:19], v[18:19], -v[20:21]
.LBB6_1440:
	s_and_not1_saveexec_b32 s9, s9
	s_cbranch_execz .LBB6_1442
; %bb.1441:
	s_mov_b64 s[12:13], 0x3fe45f306dc9c883
	s_delay_alu instid0(SALU_CYCLE_1) | instskip(SKIP_1) | instid1(VALU_DEP_1)
	v_mul_f64_e64 v[16:17], |v[6:7]|, s[12:13]
	s_mov_b64 s[12:13], 0xbff921fb54442d18
	v_rndne_f64_e32 v[20:21], v[16:17]
	s_delay_alu instid0(VALU_DEP_1) | instskip(SKIP_2) | instid1(VALU_DEP_3)
	v_fma_f64 v[16:17], v[20:21], s[12:13], |v[6:7]|
	v_mul_f64_e32 v[18:19], 0xbc91a62633145c00, v[20:21]
	v_cvt_i32_f64_e32 v27, v[20:21]
	v_fmamk_f64 v[30:31], v[20:21], 0xbc91a62633145c00, v[16:17]
	s_delay_alu instid0(VALU_DEP_3) | instskip(NEXT) | instid1(VALU_DEP_1)
	v_add_f64_e32 v[22:23], v[16:17], v[18:19]
	v_add_f64_e64 v[28:29], v[16:17], -v[22:23]
	s_delay_alu instid0(VALU_DEP_3) | instskip(NEXT) | instid1(VALU_DEP_2)
	v_add_f64_e64 v[16:17], v[22:23], -v[30:31]
	v_add_f64_e32 v[22:23], v[28:29], v[18:19]
	v_fmamk_f64 v[18:19], v[20:21], 0x3c91a62633145c00, v[18:19]
	s_delay_alu instid0(VALU_DEP_2) | instskip(NEXT) | instid1(VALU_DEP_1)
	v_add_f64_e32 v[16:17], v[16:17], v[22:23]
	v_add_f64_e64 v[16:17], v[16:17], -v[18:19]
	s_delay_alu instid0(VALU_DEP_1) | instskip(NEXT) | instid1(VALU_DEP_1)
	v_fmamk_f64 v[18:19], v[20:21], 0xb97b839a252049c0, v[16:17]
	v_add_f64_e32 v[16:17], v[30:31], v[18:19]
	s_delay_alu instid0(VALU_DEP_1) | instskip(NEXT) | instid1(VALU_DEP_1)
	v_add_f64_e64 v[22:23], v[16:17], -v[30:31]
	v_add_f64_e64 v[18:19], v[18:19], -v[22:23]
.LBB6_1442:
	s_or_b32 exec_lo, exec_lo, s9
	v_add_nc_u32_e32 v8, s3, v8
	s_cmp_lt_i32 s0, 11
	s_delay_alu instid0(VALU_DEP_1) | instskip(NEXT) | instid1(VALU_DEP_1)
	v_ashrrev_i32_e32 v9, 31, v8
	v_add_nc_u64_e32 v[20:21], s[6:7], v[8:9]
	s_cbranch_scc1 .LBB6_1449
; %bb.1443:
	s_cmp_gt_i32 s0, 25
	s_mov_b32 s6, 0
	s_cbranch_scc0 .LBB6_1450
; %bb.1444:
	s_cmp_gt_i32 s0, 28
	s_cbranch_scc0 .LBB6_1451
; %bb.1445:
	s_cmp_gt_i32 s0, 43
	s_cbranch_scc0 .LBB6_1452
; %bb.1446:
	s_cmp_gt_i32 s0, 45
	s_cbranch_scc0 .LBB6_1454
; %bb.1447:
	s_cmp_eq_u32 s0, 46
	s_mov_b32 s9, 0
	s_cbranch_scc0 .LBB6_1455
; %bb.1448:
	global_load_b32 v8, v[20:21], off
	s_mov_b32 s3, 0
	s_mov_b32 s7, -1
	s_wait_loadcnt 0x0
	v_lshlrev_b32_e32 v8, 16, v8
	s_delay_alu instid0(VALU_DEP_1)
	v_cvt_f64_f32_e32 v[8:9], v8
	s_branch .LBB6_1457
.LBB6_1449:
	s_mov_b32 s3, -1
	s_mov_b32 s7, 0
                                        ; implicit-def: $vgpr8_vgpr9
	s_branch .LBB6_1523
.LBB6_1450:
	s_mov_b32 s9, -1
	s_mov_b32 s7, 0
	s_mov_b32 s3, 0
                                        ; implicit-def: $vgpr8_vgpr9
	s_branch .LBB6_1486
.LBB6_1451:
	s_mov_b32 s9, -1
	s_mov_b32 s7, 0
	s_mov_b32 s3, 0
                                        ; implicit-def: $vgpr8_vgpr9
	s_branch .LBB6_1467
.LBB6_1452:
	s_mov_b32 s9, -1
	s_mov_b32 s7, 0
	s_mov_b32 s3, 0
                                        ; implicit-def: $vgpr8_vgpr9
	s_branch .LBB6_1462
.LBB6_1453:
	s_or_b32 s1, s1, exec_lo
	s_trap 2
	s_cbranch_execz .LBB6_1388
	s_branch .LBB6_1389
.LBB6_1454:
	s_mov_b32 s9, -1
	s_mov_b32 s7, 0
	s_mov_b32 s3, 0
	s_branch .LBB6_1456
.LBB6_1455:
	s_mov_b32 s3, -1
	s_mov_b32 s7, 0
.LBB6_1456:
                                        ; implicit-def: $vgpr8_vgpr9
.LBB6_1457:
	s_and_b32 vcc_lo, exec_lo, s9
	s_cbranch_vccz .LBB6_1461
; %bb.1458:
	s_cmp_eq_u32 s0, 44
	s_cbranch_scc0 .LBB6_1460
; %bb.1459:
	global_load_u8 v22, v[20:21], off
	s_mov_b32 s3, 0
	s_mov_b32 s7, -1
	s_wait_loadcnt 0x0
	v_cmp_ne_u32_e32 vcc_lo, 0xff, v22
	v_lshlrev_b32_e32 v8, 23, v22
	s_delay_alu instid0(VALU_DEP_1) | instskip(NEXT) | instid1(VALU_DEP_1)
	v_cvt_f64_f32_e32 v[8:9], v8
	v_cndmask_b32_e32 v8, 0x20000000, v8, vcc_lo
	s_delay_alu instid0(VALU_DEP_2) | instskip(SKIP_1) | instid1(VALU_DEP_2)
	v_cndmask_b32_e32 v9, 0x7ff80000, v9, vcc_lo
	v_cmp_ne_u32_e32 vcc_lo, 0, v22
	v_cndmask_b32_e32 v9, 0x38000000, v9, vcc_lo
	s_delay_alu instid0(VALU_DEP_4)
	v_cndmask_b32_e32 v8, 0, v8, vcc_lo
	s_branch .LBB6_1461
.LBB6_1460:
	s_mov_b32 s3, -1
                                        ; implicit-def: $vgpr8_vgpr9
.LBB6_1461:
	s_mov_b32 s9, 0
.LBB6_1462:
	s_delay_alu instid0(SALU_CYCLE_1)
	s_and_b32 vcc_lo, exec_lo, s9
	s_cbranch_vccz .LBB6_1466
; %bb.1463:
	s_cmp_eq_u32 s0, 29
	s_cbranch_scc0 .LBB6_1465
; %bb.1464:
	global_load_b64 v[8:9], v[20:21], off
	s_mov_b32 s3, 0
	s_mov_b32 s7, -1
	s_mov_b32 s9, 0
	s_wait_loadcnt 0x0
	v_cvt_f64_u32_e32 v[22:23], v9
	v_cvt_f64_u32_e32 v[8:9], v8
	s_delay_alu instid0(VALU_DEP_2) | instskip(NEXT) | instid1(VALU_DEP_1)
	v_ldexp_f64 v[22:23], v[22:23], 32
	v_add_f64_e32 v[8:9], v[22:23], v[8:9]
	s_branch .LBB6_1467
.LBB6_1465:
	s_mov_b32 s3, -1
                                        ; implicit-def: $vgpr8_vgpr9
.LBB6_1466:
	s_mov_b32 s9, 0
.LBB6_1467:
	s_delay_alu instid0(SALU_CYCLE_1)
	s_and_b32 vcc_lo, exec_lo, s9
	s_cbranch_vccz .LBB6_1485
; %bb.1468:
	s_cmp_lt_i32 s0, 27
	s_cbranch_scc1 .LBB6_1471
; %bb.1469:
	s_cmp_gt_i32 s0, 27
	s_cbranch_scc0 .LBB6_1472
; %bb.1470:
	global_load_b32 v8, v[20:21], off
	s_mov_b32 s7, 0
	s_wait_loadcnt 0x0
	v_cvt_f64_u32_e32 v[8:9], v8
	s_branch .LBB6_1473
.LBB6_1471:
	s_mov_b32 s7, -1
                                        ; implicit-def: $vgpr8_vgpr9
	s_branch .LBB6_1476
.LBB6_1472:
	s_mov_b32 s7, -1
                                        ; implicit-def: $vgpr8_vgpr9
.LBB6_1473:
	s_delay_alu instid0(SALU_CYCLE_1)
	s_and_not1_b32 vcc_lo, exec_lo, s7
	s_cbranch_vccnz .LBB6_1475
; %bb.1474:
	global_load_u16 v8, v[20:21], off
	s_wait_loadcnt 0x0
	v_cvt_f64_u32_e32 v[8:9], v8
.LBB6_1475:
	s_mov_b32 s7, 0
.LBB6_1476:
	s_delay_alu instid0(SALU_CYCLE_1)
	s_and_not1_b32 vcc_lo, exec_lo, s7
	s_cbranch_vccnz .LBB6_1484
; %bb.1477:
	global_load_u8 v22, v[20:21], off
	s_mov_b32 s7, 0
	s_mov_b32 s9, exec_lo
	s_wait_loadcnt 0x0
	v_cmpx_lt_i16_e32 0x7f, v22
	s_xor_b32 s9, exec_lo, s9
	s_cbranch_execz .LBB6_1498
; %bb.1478:
	s_mov_b32 s7, -1
	s_mov_b32 s12, exec_lo
	v_cmpx_eq_u16_e32 0x80, v22
; %bb.1479:
	s_xor_b32 s7, exec_lo, -1
; %bb.1480:
	s_or_b32 exec_lo, exec_lo, s12
	s_delay_alu instid0(SALU_CYCLE_1)
	s_and_b32 s7, s7, exec_lo
	s_or_saveexec_b32 s9, s9
	v_mov_b64_e32 v[8:9], 0x7ff8000020000000
	s_xor_b32 exec_lo, exec_lo, s9
	s_cbranch_execnz .LBB6_1499
.LBB6_1481:
	s_or_b32 exec_lo, exec_lo, s9
	s_and_saveexec_b32 s9, s7
	s_cbranch_execz .LBB6_1483
.LBB6_1482:
	v_and_b32_e32 v8, 0xffff, v22
	s_delay_alu instid0(VALU_DEP_1) | instskip(SKIP_1) | instid1(VALU_DEP_2)
	v_and_b32_e32 v9, 7, v8
	v_bfe_u32 v29, v8, 3, 4
	v_clz_i32_u32_e32 v23, v9
	s_delay_alu instid0(VALU_DEP_2) | instskip(NEXT) | instid1(VALU_DEP_2)
	v_cmp_eq_u32_e32 vcc_lo, 0, v29
	v_min_u32_e32 v23, 32, v23
	s_delay_alu instid0(VALU_DEP_1) | instskip(NEXT) | instid1(VALU_DEP_1)
	v_subrev_nc_u32_e32 v28, 28, v23
	v_dual_lshlrev_b32 v8, v28, v8 :: v_dual_sub_nc_u32 v23, 29, v23
	s_delay_alu instid0(VALU_DEP_1) | instskip(NEXT) | instid1(VALU_DEP_2)
	v_dual_lshlrev_b32 v22, 24, v22 :: v_dual_bitop2_b32 v8, 7, v8 bitop3:0x40
	v_cndmask_b32_e32 v23, v29, v23, vcc_lo
	s_delay_alu instid0(VALU_DEP_2) | instskip(NEXT) | instid1(VALU_DEP_3)
	v_cndmask_b32_e32 v8, v9, v8, vcc_lo
	v_and_b32_e32 v9, 0x80000000, v22
	s_delay_alu instid0(VALU_DEP_3) | instskip(NEXT) | instid1(VALU_DEP_3)
	v_lshl_add_u32 v22, v23, 23, 0x3b800000
	v_lshlrev_b32_e32 v8, 20, v8
	s_delay_alu instid0(VALU_DEP_1) | instskip(NEXT) | instid1(VALU_DEP_1)
	v_or3_b32 v8, v9, v22, v8
	v_cvt_f64_f32_e32 v[8:9], v8
.LBB6_1483:
	s_or_b32 exec_lo, exec_lo, s9
.LBB6_1484:
	s_mov_b32 s7, -1
.LBB6_1485:
	s_mov_b32 s9, 0
.LBB6_1486:
	s_delay_alu instid0(SALU_CYCLE_1)
	s_and_b32 vcc_lo, exec_lo, s9
	s_cbranch_vccz .LBB6_1519
; %bb.1487:
	s_cmp_gt_i32 s0, 22
	s_cbranch_scc0 .LBB6_1497
; %bb.1488:
	s_cmp_lt_i32 s0, 24
	s_cbranch_scc1 .LBB6_1500
; %bb.1489:
	s_cmp_gt_i32 s0, 24
	s_cbranch_scc0 .LBB6_1501
; %bb.1490:
	global_load_u8 v22, v[20:21], off
	s_mov_b32 s7, exec_lo
	s_wait_loadcnt 0x0
	v_cmpx_lt_i16_e32 0x7f, v22
	s_xor_b32 s7, exec_lo, s7
	s_cbranch_execz .LBB6_1513
; %bb.1491:
	s_mov_b32 s6, -1
	s_mov_b32 s9, exec_lo
	v_cmpx_eq_u16_e32 0x80, v22
; %bb.1492:
	s_xor_b32 s6, exec_lo, -1
; %bb.1493:
	s_or_b32 exec_lo, exec_lo, s9
	s_delay_alu instid0(SALU_CYCLE_1)
	s_and_b32 s6, s6, exec_lo
	s_or_saveexec_b32 s7, s7
	v_mov_b64_e32 v[8:9], 0x7ff8000020000000
	s_xor_b32 exec_lo, exec_lo, s7
	s_cbranch_execnz .LBB6_1514
.LBB6_1494:
	s_or_b32 exec_lo, exec_lo, s7
	s_and_saveexec_b32 s7, s6
	s_cbranch_execz .LBB6_1496
.LBB6_1495:
	v_and_b32_e32 v8, 0xffff, v22
	s_delay_alu instid0(VALU_DEP_1) | instskip(SKIP_1) | instid1(VALU_DEP_2)
	v_and_b32_e32 v9, 3, v8
	v_bfe_u32 v29, v8, 2, 5
	v_clz_i32_u32_e32 v23, v9
	s_delay_alu instid0(VALU_DEP_2) | instskip(NEXT) | instid1(VALU_DEP_2)
	v_cmp_eq_u32_e32 vcc_lo, 0, v29
	v_min_u32_e32 v23, 32, v23
	s_delay_alu instid0(VALU_DEP_1) | instskip(NEXT) | instid1(VALU_DEP_1)
	v_subrev_nc_u32_e32 v28, 29, v23
	v_dual_lshlrev_b32 v8, v28, v8 :: v_dual_sub_nc_u32 v23, 30, v23
	s_delay_alu instid0(VALU_DEP_1) | instskip(NEXT) | instid1(VALU_DEP_2)
	v_dual_lshlrev_b32 v22, 24, v22 :: v_dual_bitop2_b32 v8, 3, v8 bitop3:0x40
	v_cndmask_b32_e32 v23, v29, v23, vcc_lo
	s_delay_alu instid0(VALU_DEP_2) | instskip(NEXT) | instid1(VALU_DEP_3)
	v_cndmask_b32_e32 v8, v9, v8, vcc_lo
	v_and_b32_e32 v9, 0x80000000, v22
	s_delay_alu instid0(VALU_DEP_3) | instskip(NEXT) | instid1(VALU_DEP_3)
	v_lshl_add_u32 v22, v23, 23, 0x37800000
	v_lshlrev_b32_e32 v8, 21, v8
	s_delay_alu instid0(VALU_DEP_1) | instskip(NEXT) | instid1(VALU_DEP_1)
	v_or3_b32 v8, v9, v22, v8
	v_cvt_f64_f32_e32 v[8:9], v8
.LBB6_1496:
	s_or_b32 exec_lo, exec_lo, s7
	s_mov_b32 s6, 0
	s_branch .LBB6_1502
.LBB6_1497:
	s_mov_b32 s6, -1
                                        ; implicit-def: $vgpr8_vgpr9
	s_branch .LBB6_1508
.LBB6_1498:
	s_or_saveexec_b32 s9, s9
	v_mov_b64_e32 v[8:9], 0x7ff8000020000000
	s_xor_b32 exec_lo, exec_lo, s9
	s_cbranch_execz .LBB6_1481
.LBB6_1499:
	v_cmp_ne_u16_e32 vcc_lo, 0, v22
	v_mov_b64_e32 v[8:9], 0
	s_and_not1_b32 s7, s7, exec_lo
	s_and_b32 s12, vcc_lo, exec_lo
	s_delay_alu instid0(SALU_CYCLE_1)
	s_or_b32 s7, s7, s12
	s_or_b32 exec_lo, exec_lo, s9
	s_and_saveexec_b32 s9, s7
	s_cbranch_execnz .LBB6_1482
	s_branch .LBB6_1483
.LBB6_1500:
	s_mov_b32 s6, -1
                                        ; implicit-def: $vgpr8_vgpr9
	s_branch .LBB6_1505
.LBB6_1501:
	s_mov_b32 s6, -1
                                        ; implicit-def: $vgpr8_vgpr9
.LBB6_1502:
	s_delay_alu instid0(SALU_CYCLE_1)
	s_and_b32 vcc_lo, exec_lo, s6
	s_cbranch_vccz .LBB6_1504
; %bb.1503:
	global_load_u8 v8, v[20:21], off
	s_wait_loadcnt 0x0
	v_lshlrev_b32_e32 v8, 24, v8
	s_delay_alu instid0(VALU_DEP_1) | instskip(NEXT) | instid1(VALU_DEP_1)
	v_and_b32_e32 v9, 0x7f000000, v8
	v_clz_i32_u32_e32 v22, v9
	v_cmp_ne_u32_e32 vcc_lo, 0, v9
	v_add_nc_u32_e32 v28, 0x1000000, v9
	s_delay_alu instid0(VALU_DEP_3) | instskip(NEXT) | instid1(VALU_DEP_1)
	v_min_u32_e32 v22, 32, v22
	v_sub_nc_u32_e64 v22, v22, 4 clamp
	s_delay_alu instid0(VALU_DEP_1) | instskip(NEXT) | instid1(VALU_DEP_1)
	v_dual_lshlrev_b32 v23, v22, v9 :: v_dual_lshlrev_b32 v22, 23, v22
	v_lshrrev_b32_e32 v23, 4, v23
	s_delay_alu instid0(VALU_DEP_1) | instskip(NEXT) | instid1(VALU_DEP_1)
	v_dual_sub_nc_u32 v22, v23, v22 :: v_dual_ashrrev_i32 v23, 8, v28
	v_add_nc_u32_e32 v22, 0x3c000000, v22
	s_delay_alu instid0(VALU_DEP_1) | instskip(NEXT) | instid1(VALU_DEP_1)
	v_and_or_b32 v22, 0x7f800000, v23, v22
	v_cndmask_b32_e32 v9, 0, v22, vcc_lo
	s_delay_alu instid0(VALU_DEP_1) | instskip(NEXT) | instid1(VALU_DEP_1)
	v_and_or_b32 v8, 0x80000000, v8, v9
	v_cvt_f64_f32_e32 v[8:9], v8
.LBB6_1504:
	s_mov_b32 s6, 0
.LBB6_1505:
	s_delay_alu instid0(SALU_CYCLE_1)
	s_and_not1_b32 vcc_lo, exec_lo, s6
	s_cbranch_vccnz .LBB6_1507
; %bb.1506:
	global_load_u8 v8, v[20:21], off
	s_wait_loadcnt 0x0
	v_lshlrev_b32_e32 v9, 25, v8
	v_lshlrev_b16 v8, 8, v8
	s_delay_alu instid0(VALU_DEP_1) | instskip(SKIP_1) | instid1(VALU_DEP_2)
	v_and_or_b32 v23, 0x7f00, v8, 0.5
	v_bfe_i32 v8, v8, 0, 16
	v_dual_add_f32 v23, -0.5, v23 :: v_dual_lshrrev_b32 v22, 4, v9
	v_cmp_gt_u32_e32 vcc_lo, 0x8000000, v9
	s_delay_alu instid0(VALU_DEP_2) | instskip(NEXT) | instid1(VALU_DEP_1)
	v_or_b32_e32 v22, 0x70000000, v22
	v_mul_f32_e32 v22, 0x7800000, v22
	s_delay_alu instid0(VALU_DEP_1) | instskip(NEXT) | instid1(VALU_DEP_1)
	v_cndmask_b32_e32 v9, v22, v23, vcc_lo
	v_and_or_b32 v8, 0x80000000, v8, v9
	s_delay_alu instid0(VALU_DEP_1)
	v_cvt_f64_f32_e32 v[8:9], v8
.LBB6_1507:
	s_mov_b32 s6, 0
	s_mov_b32 s7, -1
.LBB6_1508:
	s_and_not1_b32 vcc_lo, exec_lo, s6
	s_mov_b32 s6, 0
	s_cbranch_vccnz .LBB6_1519
; %bb.1509:
	s_cmp_gt_i32 s0, 14
	s_cbranch_scc0 .LBB6_1512
; %bb.1510:
	s_cmp_eq_u32 s0, 15
	s_cbranch_scc0 .LBB6_1515
; %bb.1511:
	global_load_u16 v8, v[20:21], off
	s_mov_b32 s3, 0
	s_mov_b32 s7, -1
	s_wait_loadcnt 0x0
	v_lshlrev_b32_e32 v8, 16, v8
	s_delay_alu instid0(VALU_DEP_1)
	v_cvt_f64_f32_e32 v[8:9], v8
	s_branch .LBB6_1517
.LBB6_1512:
	s_mov_b32 s6, -1
	s_branch .LBB6_1516
.LBB6_1513:
	s_or_saveexec_b32 s7, s7
	v_mov_b64_e32 v[8:9], 0x7ff8000020000000
	s_xor_b32 exec_lo, exec_lo, s7
	s_cbranch_execz .LBB6_1494
.LBB6_1514:
	v_cmp_ne_u16_e32 vcc_lo, 0, v22
	v_mov_b64_e32 v[8:9], 0
	s_and_not1_b32 s6, s6, exec_lo
	s_and_b32 s9, vcc_lo, exec_lo
	s_delay_alu instid0(SALU_CYCLE_1)
	s_or_b32 s6, s6, s9
	s_or_b32 exec_lo, exec_lo, s7
	s_and_saveexec_b32 s7, s6
	s_cbranch_execnz .LBB6_1495
	s_branch .LBB6_1496
.LBB6_1515:
	s_mov_b32 s3, -1
.LBB6_1516:
                                        ; implicit-def: $vgpr8_vgpr9
.LBB6_1517:
	s_and_b32 vcc_lo, exec_lo, s6
	s_mov_b32 s6, 0
	s_cbranch_vccz .LBB6_1519
; %bb.1518:
	s_cmp_lg_u32 s0, 11
	s_mov_b32 s6, -1
	s_cselect_b32 s3, -1, 0
.LBB6_1519:
	s_delay_alu instid0(SALU_CYCLE_1)
	s_and_b32 vcc_lo, exec_lo, s3
	s_cbranch_vccnz .LBB6_2052
; %bb.1520:
	s_and_not1_b32 vcc_lo, exec_lo, s6
	s_cbranch_vccnz .LBB6_1522
.LBB6_1521:
	global_load_u8 v8, v[20:21], off
	s_mov_b32 s7, -1
	s_wait_loadcnt 0x0
	v_cmp_ne_u16_e32 vcc_lo, 0, v8
	v_mov_b32_e32 v8, 0
	v_cndmask_b32_e64 v9, 0, 0x3ff00000, vcc_lo
.LBB6_1522:
	s_mov_b32 s3, 0
.LBB6_1523:
	s_delay_alu instid0(SALU_CYCLE_1)
	s_and_b32 vcc_lo, exec_lo, s3
	s_cbranch_vccz .LBB6_1572
; %bb.1524:
	s_cmp_lt_i32 s0, 5
	s_cbranch_scc1 .LBB6_1529
; %bb.1525:
	s_cmp_lt_i32 s0, 8
	s_cbranch_scc1 .LBB6_1530
	;; [unrolled: 3-line block ×3, first 2 shown]
; %bb.1527:
	s_cmp_gt_i32 s0, 9
	s_cbranch_scc0 .LBB6_1532
; %bb.1528:
	global_load_b64 v[8:9], v[20:21], off
	s_mov_b32 s3, 0
	s_branch .LBB6_1533
.LBB6_1529:
	s_mov_b32 s3, -1
                                        ; implicit-def: $vgpr8_vgpr9
	s_branch .LBB6_1551
.LBB6_1530:
	s_mov_b32 s3, -1
                                        ; implicit-def: $vgpr8_vgpr9
	s_branch .LBB6_1539
.LBB6_1531:
	s_mov_b32 s3, -1
                                        ; implicit-def: $vgpr8_vgpr9
	s_branch .LBB6_1536
.LBB6_1532:
	s_mov_b32 s3, -1
                                        ; implicit-def: $vgpr8_vgpr9
.LBB6_1533:
	s_delay_alu instid0(SALU_CYCLE_1)
	s_and_not1_b32 vcc_lo, exec_lo, s3
	s_cbranch_vccnz .LBB6_1535
; %bb.1534:
	s_wait_loadcnt 0x0
	global_load_b32 v8, v[20:21], off
	s_wait_loadcnt 0x0
	v_cvt_f64_f32_e32 v[8:9], v8
.LBB6_1535:
	s_mov_b32 s3, 0
.LBB6_1536:
	s_delay_alu instid0(SALU_CYCLE_1)
	s_and_not1_b32 vcc_lo, exec_lo, s3
	s_cbranch_vccnz .LBB6_1538
; %bb.1537:
	s_wait_loadcnt 0x0
	global_load_b32 v8, v[20:21], off
	s_wait_loadcnt 0x0
	v_cvt_f32_f16_e32 v8, v8
	s_delay_alu instid0(VALU_DEP_1)
	v_cvt_f64_f32_e32 v[8:9], v8
.LBB6_1538:
	s_mov_b32 s3, 0
.LBB6_1539:
	s_delay_alu instid0(SALU_CYCLE_1)
	s_and_not1_b32 vcc_lo, exec_lo, s3
	s_cbranch_vccnz .LBB6_1550
; %bb.1540:
	s_cmp_lt_i32 s0, 6
	s_cbranch_scc1 .LBB6_1543
; %bb.1541:
	s_cmp_gt_i32 s0, 6
	s_cbranch_scc0 .LBB6_1544
; %bb.1542:
	s_wait_loadcnt 0x0
	global_load_b64 v[8:9], v[20:21], off
	s_mov_b32 s3, 0
	s_branch .LBB6_1545
.LBB6_1543:
	s_mov_b32 s3, -1
                                        ; implicit-def: $vgpr8_vgpr9
	s_branch .LBB6_1548
.LBB6_1544:
	s_mov_b32 s3, -1
                                        ; implicit-def: $vgpr8_vgpr9
.LBB6_1545:
	s_delay_alu instid0(SALU_CYCLE_1)
	s_and_not1_b32 vcc_lo, exec_lo, s3
	s_cbranch_vccnz .LBB6_1547
; %bb.1546:
	s_wait_loadcnt 0x0
	global_load_b32 v8, v[20:21], off
	s_wait_loadcnt 0x0
	v_cvt_f64_f32_e32 v[8:9], v8
.LBB6_1547:
	s_mov_b32 s3, 0
.LBB6_1548:
	s_delay_alu instid0(SALU_CYCLE_1)
	s_and_not1_b32 vcc_lo, exec_lo, s3
	s_cbranch_vccnz .LBB6_1550
; %bb.1549:
	s_wait_loadcnt 0x0
	global_load_u16 v8, v[20:21], off
	s_wait_loadcnt 0x0
	v_cvt_f32_f16_e32 v8, v8
	s_delay_alu instid0(VALU_DEP_1)
	v_cvt_f64_f32_e32 v[8:9], v8
.LBB6_1550:
	s_mov_b32 s3, 0
.LBB6_1551:
	s_delay_alu instid0(SALU_CYCLE_1)
	s_and_not1_b32 vcc_lo, exec_lo, s3
	s_cbranch_vccnz .LBB6_1571
; %bb.1552:
	s_cmp_lt_i32 s0, 2
	s_cbranch_scc1 .LBB6_1556
; %bb.1553:
	s_cmp_lt_i32 s0, 3
	s_cbranch_scc1 .LBB6_1557
; %bb.1554:
	s_cmp_gt_i32 s0, 3
	s_cbranch_scc0 .LBB6_1558
; %bb.1555:
	s_wait_loadcnt 0x0
	global_load_b64 v[8:9], v[20:21], off
	s_mov_b32 s3, 0
	s_wait_loadcnt 0x0
	v_cvt_f64_i32_e32 v[22:23], v9
	v_cvt_f64_u32_e32 v[8:9], v8
	s_delay_alu instid0(VALU_DEP_2) | instskip(NEXT) | instid1(VALU_DEP_1)
	v_ldexp_f64 v[22:23], v[22:23], 32
	v_add_f64_e32 v[8:9], v[22:23], v[8:9]
	s_branch .LBB6_1559
.LBB6_1556:
	s_mov_b32 s3, -1
                                        ; implicit-def: $vgpr8_vgpr9
	s_branch .LBB6_1565
.LBB6_1557:
	s_mov_b32 s3, -1
                                        ; implicit-def: $vgpr8_vgpr9
	s_branch .LBB6_1562
.LBB6_1558:
	s_mov_b32 s3, -1
                                        ; implicit-def: $vgpr8_vgpr9
.LBB6_1559:
	s_delay_alu instid0(SALU_CYCLE_1)
	s_and_not1_b32 vcc_lo, exec_lo, s3
	s_cbranch_vccnz .LBB6_1561
; %bb.1560:
	s_wait_loadcnt 0x0
	global_load_b32 v8, v[20:21], off
	s_wait_loadcnt 0x0
	v_cvt_f64_i32_e32 v[8:9], v8
.LBB6_1561:
	s_mov_b32 s3, 0
.LBB6_1562:
	s_delay_alu instid0(SALU_CYCLE_1)
	s_and_not1_b32 vcc_lo, exec_lo, s3
	s_cbranch_vccnz .LBB6_1564
; %bb.1563:
	s_wait_loadcnt 0x0
	global_load_i16 v8, v[20:21], off
	s_wait_loadcnt 0x0
	v_cvt_f64_i32_e32 v[8:9], v8
.LBB6_1564:
	s_mov_b32 s3, 0
.LBB6_1565:
	s_delay_alu instid0(SALU_CYCLE_1)
	s_and_not1_b32 vcc_lo, exec_lo, s3
	s_cbranch_vccnz .LBB6_1571
; %bb.1566:
	s_cmp_gt_i32 s0, 0
	s_mov_b32 s0, 0
	s_cbranch_scc0 .LBB6_1568
; %bb.1567:
	s_wait_loadcnt 0x0
	global_load_i8 v8, v[20:21], off
	s_wait_loadcnt 0x0
	v_cvt_f64_i32_e32 v[8:9], v8
	s_branch .LBB6_1569
.LBB6_1568:
	s_mov_b32 s0, -1
                                        ; implicit-def: $vgpr8_vgpr9
.LBB6_1569:
	s_delay_alu instid0(SALU_CYCLE_1)
	s_and_not1_b32 vcc_lo, exec_lo, s0
	s_cbranch_vccnz .LBB6_1571
; %bb.1570:
	s_wait_loadcnt 0x0
	global_load_u8 v8, v[20:21], off
	s_wait_loadcnt 0x0
	v_cvt_f64_u32_e32 v[8:9], v8
.LBB6_1571:
	s_mov_b32 s7, -1
.LBB6_1572:
	s_delay_alu instid0(SALU_CYCLE_1)
	s_and_not1_b32 vcc_lo, exec_lo, s7
	s_cbranch_vccnz .LBB6_2007
; %bb.1573:
	s_wait_loadcnt 0x0
	s_delay_alu instid0(VALU_DEP_1) | instskip(SKIP_2) | instid1(SALU_CYCLE_1)
	v_cmp_ngt_f64_e64 s0, 0x41d00000, |v[8:9]|
                                        ; implicit-def: $vgpr28
                                        ; implicit-def: $vgpr20_vgpr21
                                        ; implicit-def: $vgpr22_vgpr23
	s_wait_xcnt 0x0
	s_and_saveexec_b32 s3, s0
	s_xor_b32 s0, exec_lo, s3
	s_cbranch_execz .LBB6_1575
; %bb.1574:
	v_ldexp_f64 v[20:21], |v[8:9]|, 0xffffff80
	v_cmp_le_f64_e64 vcc_lo, 0x7b000000, |v[8:9]|
	v_trig_preop_f64 v[22:23], |v[8:9]|, 0
	v_and_b32_e32 v28, 0x7fffffff, v9
	v_trig_preop_f64 v[38:39], |v[8:9]|, 2
	s_mov_b64 s[6:7], 0x3ff921fb54442d18
	s_delay_alu instid0(VALU_DEP_2) | instskip(SKIP_2) | instid1(VALU_DEP_2)
	v_dual_mov_b32 v46, 0 :: v_dual_cndmask_b32 v21, v28, v21
	v_cndmask_b32_e32 v20, v8, v20, vcc_lo
	v_trig_preop_f64 v[28:29], |v[8:9]|, 1
	v_mul_f64_e32 v[30:31], v[22:23], v[20:21]
	s_delay_alu instid0(VALU_DEP_2) | instskip(NEXT) | instid1(VALU_DEP_2)
	v_mul_f64_e32 v[32:33], v[28:29], v[20:21]
	v_fma_f64 v[22:23], v[22:23], v[20:21], -v[30:31]
	s_delay_alu instid0(VALU_DEP_1) | instskip(NEXT) | instid1(VALU_DEP_1)
	v_add_f64_e32 v[34:35], v[32:33], v[22:23]
	v_add_f64_e64 v[36:37], v[34:35], -v[32:33]
	v_add_f64_e32 v[42:43], v[30:31], v[34:35]
	s_delay_alu instid0(VALU_DEP_2) | instskip(SKIP_1) | instid1(VALU_DEP_3)
	v_add_f64_e64 v[40:41], v[34:35], -v[36:37]
	v_add_f64_e64 v[22:23], v[22:23], -v[36:37]
	v_ldexp_f64 v[36:37], v[42:43], -2
	v_add_f64_e64 v[30:31], v[42:43], -v[30:31]
	v_fma_f64 v[28:29], v[28:29], v[20:21], -v[32:33]
	v_mul_f64_e32 v[44:45], v[38:39], v[20:21]
	v_add_f64_e64 v[32:33], v[32:33], -v[40:41]
	v_cmp_neq_f64_e64 vcc_lo, 0x7ff00000, |v[36:37]|
	s_delay_alu instid0(VALU_DEP_3) | instskip(SKIP_1) | instid1(VALU_DEP_4)
	v_add_f64_e32 v[40:41], v[44:45], v[28:29]
	v_fma_f64 v[20:21], v[38:39], v[20:21], -v[44:45]
	v_add_f64_e32 v[22:23], v[22:23], v[32:33]
	v_fract_f64_e32 v[32:33], v[36:37]
	s_delay_alu instid0(VALU_DEP_1) | instskip(NEXT) | instid1(VALU_DEP_1)
	v_ldexp_f64 v[32:33], v[32:33], 2
	v_dual_add_f64 v[30:31], v[34:35], -v[30:31] :: v_dual_cndmask_b32 v33, 0, v33, vcc_lo
	s_delay_alu instid0(VALU_DEP_2) | instskip(NEXT) | instid1(VALU_DEP_1)
	v_dual_add_f64 v[34:35], v[40:41], v[22:23] :: v_dual_cndmask_b32 v32, 0, v32, vcc_lo
	v_add_f64_e32 v[36:37], v[30:31], v[34:35]
	v_add_f64_e64 v[48:49], v[34:35], -v[40:41]
	s_delay_alu instid0(VALU_DEP_2) | instskip(NEXT) | instid1(VALU_DEP_2)
	v_add_f64_e32 v[42:43], v[36:37], v[32:33]
	v_add_f64_e64 v[54:55], v[34:35], -v[48:49]
	v_add_f64_e64 v[22:23], v[22:23], -v[48:49]
	;; [unrolled: 1-line block ×3, first 2 shown]
	s_delay_alu instid0(VALU_DEP_4) | instskip(SKIP_2) | instid1(VALU_DEP_2)
	v_cmp_gt_f64_e32 vcc_lo, 0, v[42:43]
	v_add_f64_e64 v[42:43], v[40:41], -v[44:45]
	v_cndmask_b32_e64 v47, 0, 0x40100000, vcc_lo
	v_add_f64_e64 v[52:53], v[40:41], -v[42:43]
	v_add_f64_e64 v[28:29], v[28:29], -v[42:43]
	;; [unrolled: 1-line block ×3, first 2 shown]
	s_delay_alu instid0(VALU_DEP_4) | instskip(NEXT) | instid1(VALU_DEP_4)
	v_add_f64_e32 v[32:33], v[32:33], v[46:47]
	v_add_f64_e64 v[42:43], v[44:45], -v[52:53]
	s_delay_alu instid0(VALU_DEP_3) | instskip(NEXT) | instid1(VALU_DEP_3)
	v_add_f64_e32 v[22:23], v[22:23], v[40:41]
	v_add_f64_e32 v[50:51], v[36:37], v[32:33]
	s_delay_alu instid0(VALU_DEP_3) | instskip(NEXT) | instid1(VALU_DEP_2)
	v_add_f64_e32 v[28:29], v[28:29], v[42:43]
	v_cvt_i32_f64_e32 v47, v[50:51]
	s_delay_alu instid0(VALU_DEP_2) | instskip(SKIP_1) | instid1(VALU_DEP_3)
	v_add_f64_e32 v[22:23], v[28:29], v[22:23]
	v_add_f64_e64 v[28:29], v[34:35], -v[30:31]
	v_cvt_f64_i32_e32 v[48:49], v47
	s_delay_alu instid0(VALU_DEP_3) | instskip(NEXT) | instid1(VALU_DEP_2)
	v_add_f64_e32 v[20:21], v[20:21], v[22:23]
	v_add_f64_e64 v[32:33], v[32:33], -v[48:49]
	s_delay_alu instid0(VALU_DEP_2) | instskip(NEXT) | instid1(VALU_DEP_2)
	v_add_f64_e32 v[20:21], v[28:29], v[20:21]
	v_add_f64_e32 v[38:39], v[36:37], v[32:33]
	s_delay_alu instid0(VALU_DEP_1) | instskip(SKIP_1) | instid1(VALU_DEP_2)
	v_add_f64_e64 v[22:23], v[38:39], -v[32:33]
	v_cmp_le_f64_e32 vcc_lo, 0.5, v[38:39]
	v_add_f64_e64 v[22:23], v[36:37], -v[22:23]
	v_add_co_ci_u32_e64 v28, null, 0, v47, vcc_lo
	v_cndmask_b32_e64 v47, 0, 0x3ff00000, vcc_lo
	s_delay_alu instid0(VALU_DEP_3) | instskip(NEXT) | instid1(VALU_DEP_2)
	v_add_f64_e32 v[20:21], v[20:21], v[22:23]
	v_add_f64_e64 v[22:23], v[38:39], -v[46:47]
	s_delay_alu instid0(VALU_DEP_1) | instskip(NEXT) | instid1(VALU_DEP_1)
	v_add_f64_e32 v[30:31], v[22:23], v[20:21]
	v_mul_f64_e32 v[32:33], 0x3ff921fb54442d18, v[30:31]
	v_add_f64_e64 v[22:23], v[30:31], -v[22:23]
	s_delay_alu instid0(VALU_DEP_2) | instskip(NEXT) | instid1(VALU_DEP_2)
	v_fma_f64 v[34:35], v[30:31], s[6:7], -v[32:33]
	v_add_f64_e64 v[20:21], v[20:21], -v[22:23]
	s_delay_alu instid0(VALU_DEP_2) | instskip(NEXT) | instid1(VALU_DEP_1)
	v_fmamk_f64 v[22:23], v[30:31], 0x3c91a62633145c07, v[34:35]
	v_fmac_f64_e32 v[22:23], 0x3ff921fb54442d18, v[20:21]
	s_delay_alu instid0(VALU_DEP_1) | instskip(NEXT) | instid1(VALU_DEP_1)
	v_add_f64_e32 v[20:21], v[32:33], v[22:23]
	v_add_f64_e64 v[30:31], v[20:21], -v[32:33]
	s_delay_alu instid0(VALU_DEP_1)
	v_add_f64_e64 v[22:23], v[22:23], -v[30:31]
.LBB6_1575:
	s_and_not1_saveexec_b32 s0, s0
	s_cbranch_execz .LBB6_1577
; %bb.1576:
	s_mov_b64 s[6:7], 0x3fe45f306dc9c883
	s_delay_alu instid0(SALU_CYCLE_1) | instskip(SKIP_1) | instid1(VALU_DEP_1)
	v_mul_f64_e64 v[20:21], |v[8:9]|, s[6:7]
	s_mov_b64 s[6:7], 0xbff921fb54442d18
	v_rndne_f64_e32 v[28:29], v[20:21]
	s_delay_alu instid0(VALU_DEP_1) | instskip(SKIP_1) | instid1(VALU_DEP_2)
	v_fma_f64 v[20:21], v[28:29], s[6:7], |v[8:9]|
	v_mul_f64_e32 v[22:23], 0xbc91a62633145c00, v[28:29]
	v_fmamk_f64 v[34:35], v[28:29], 0xbc91a62633145c00, v[20:21]
	s_delay_alu instid0(VALU_DEP_2) | instskip(NEXT) | instid1(VALU_DEP_1)
	v_add_f64_e32 v[30:31], v[20:21], v[22:23]
	v_add_f64_e64 v[32:33], v[20:21], -v[30:31]
	s_delay_alu instid0(VALU_DEP_3) | instskip(NEXT) | instid1(VALU_DEP_2)
	v_add_f64_e64 v[20:21], v[30:31], -v[34:35]
	v_add_f64_e32 v[30:31], v[32:33], v[22:23]
	v_fmamk_f64 v[22:23], v[28:29], 0x3c91a62633145c00, v[22:23]
	s_delay_alu instid0(VALU_DEP_2) | instskip(NEXT) | instid1(VALU_DEP_1)
	v_add_f64_e32 v[20:21], v[20:21], v[30:31]
	v_add_f64_e64 v[20:21], v[20:21], -v[22:23]
	s_delay_alu instid0(VALU_DEP_1) | instskip(SKIP_1) | instid1(VALU_DEP_2)
	v_fmamk_f64 v[22:23], v[28:29], 0xb97b839a252049c0, v[20:21]
	v_cvt_i32_f64_e32 v28, v[28:29]
	v_add_f64_e32 v[20:21], v[34:35], v[22:23]
	s_delay_alu instid0(VALU_DEP_1) | instskip(NEXT) | instid1(VALU_DEP_1)
	v_add_f64_e64 v[30:31], v[20:21], -v[34:35]
	v_add_f64_e64 v[22:23], v[22:23], -v[30:31]
.LBB6_1577:
	s_or_b32 exec_lo, exec_lo, s0
	v_dual_mul_f64 v[30:31], v[2:3], v[2:3] :: v_dual_bitop2_b32 v29, 1, v25 bitop3:0x40
	v_cmp_class_f64_e64 s0, v[0:1], 0x1f8
	s_mov_b64 s[6:7], 0x3de5e0b2f9a43bb8
	s_and_b32 s12, s8, 0xff
	v_dual_mul_f64 v[38:39], 0.5, v[10:11] :: v_dual_lshlrev_b32 v0, 30, v25
	v_cmp_eq_u32_e32 vcc_lo, 0, v29
	s_cmp_lt_i32 s12, 11
	s_delay_alu instid0(VALU_DEP_2) | instskip(SKIP_3) | instid1(VALU_DEP_3)
	v_dual_mul_f64 v[32:33], 0.5, v[30:31] :: v_dual_bitop2_b32 v0, v0, v1 bitop3:0x14
	v_mul_f64_e64 v[40:41], v[2:3], -v[30:31]
	v_fmaak_f64 v[42:43], s[6:7], v[30:31], 0xbe5ae600b42fdfa7
	s_mov_b64 s[6:7], 0xbda907db46cc5e42
	v_add_f64_e64 v[34:35], -v[32:33], 1.0
	s_delay_alu instid0(VALU_DEP_1) | instskip(NEXT) | instid1(VALU_DEP_1)
	v_add_f64_e64 v[36:37], -v[34:35], 1.0
	v_add_f64_e64 v[32:33], v[36:37], -v[32:33]
	s_delay_alu instid0(VALU_DEP_4) | instskip(SKIP_1) | instid1(VALU_DEP_2)
	v_fmaak_f64 v[36:37], v[30:31], v[42:43], 0x3ec71de3796cde01
	v_mul_f64_e32 v[42:43], v[30:31], v[30:31]
	v_fmaak_f64 v[36:37], v[30:31], v[36:37], 0xbf2a01a019e83e5c
	s_delay_alu instid0(VALU_DEP_1) | instskip(NEXT) | instid1(VALU_DEP_1)
	v_fmaak_f64 v[36:37], v[30:31], v[36:37], 0x3f81111111110bb3
	v_fmac_f64_e32 v[38:39], v[40:41], v[36:37]
	v_fmaak_f64 v[36:37], s[6:7], v[30:31], 0x3e21eeb69037ab78
	s_mov_b32 s7, 0
	s_delay_alu instid0(VALU_DEP_1) | instskip(SKIP_1) | instid1(VALU_DEP_2)
	v_fmaak_f64 v[36:37], v[30:31], v[36:37], 0xbe927e4fa17f65f6
	v_fma_f64 v[32:33], v[2:3], -v[10:11], v[32:33]
	v_fmaak_f64 v[36:37], v[30:31], v[36:37], 0x3efa01a019f4ec90
	s_delay_alu instid0(VALU_DEP_1) | instskip(SKIP_1) | instid1(VALU_DEP_2)
	v_fmaak_f64 v[36:37], v[30:31], v[36:37], 0xbf56c16c16c16967
	v_fma_f64 v[10:11], v[30:31], v[38:39], -v[10:11]
	v_fmaak_f64 v[30:31], v[30:31], v[36:37], 0x3fa5555555555555
	s_delay_alu instid0(VALU_DEP_1) | instskip(NEXT) | instid1(VALU_DEP_3)
	v_fmac_f64_e32 v[32:33], v[42:43], v[30:31]
	v_fmamk_f64 v[10:11], v[40:41], 0xbfc5555555555555, v[10:11]
	s_delay_alu instid0(VALU_DEP_1) | instskip(NEXT) | instid1(VALU_DEP_3)
	v_add_f64_e64 v[2:3], v[2:3], -v[10:11]
	v_add_f64_e32 v[10:11], v[34:35], v[32:33]
	s_delay_alu instid0(VALU_DEP_1) | instskip(SKIP_1) | instid1(VALU_DEP_1)
	v_cndmask_b32_e32 v2, v10, v2, vcc_lo
	v_mul_lo_u32 v10, s2, v24
	v_dual_cndmask_b32 v1, v11, v3, vcc_lo :: v_dual_ashrrev_i32 v11, 31, v10
	s_delay_alu instid0(VALU_DEP_1) | instskip(NEXT) | instid1(VALU_DEP_4)
	v_bitop3_b32 v1, v1, v0, 0x80000000 bitop3:0x78
	v_cndmask_b32_e64 v0, 0, v2, s0
	s_delay_alu instid0(VALU_DEP_3) | instskip(NEXT) | instid1(VALU_DEP_3)
	v_add_nc_u64_e32 v[24:25], s[4:5], v[10:11]
	v_cndmask_b32_e64 v1, 0x7ff80000, v1, s0
	s_mov_b32 s0, -1
	s_cbranch_scc1 .LBB6_1656
; %bb.1578:
	s_and_b32 s3, 0xffff, s12
	s_mov_b32 s8, -1
	s_mov_b32 s6, 0
	s_cmp_gt_i32 s3, 25
	s_mov_b32 s0, 0
	s_cbranch_scc0 .LBB6_1611
; %bb.1579:
	s_cmp_gt_i32 s3, 28
	s_cbranch_scc0 .LBB6_1594
; %bb.1580:
	s_cmp_gt_i32 s3, 43
	s_cbranch_scc0 .LBB6_1590
; %bb.1581:
	s_cmp_gt_i32 s3, 45
	s_cbranch_scc0 .LBB6_1584
; %bb.1582:
	s_mov_b32 s0, -1
	s_mov_b32 s8, 0
	s_cmp_eq_u32 s3, 46
	s_cbranch_scc0 .LBB6_1584
; %bb.1583:
	v_cvt_f32_f64_e32 v2, v[0:1]
	s_mov_b32 s0, 0
	s_mov_b32 s7, -1
	s_delay_alu instid0(VALU_DEP_1) | instskip(SKIP_1) | instid1(VALU_DEP_2)
	v_bfe_u32 v3, v2, 16, 1
	v_cmp_o_f32_e32 vcc_lo, v2, v2
	v_add3_u32 v3, v2, v3, 0x7fff
	s_delay_alu instid0(VALU_DEP_1) | instskip(NEXT) | instid1(VALU_DEP_1)
	v_lshrrev_b32_e32 v3, 16, v3
	v_cndmask_b32_e32 v2, 0x7fc0, v3, vcc_lo
	global_store_b32 v[24:25], v2, off
.LBB6_1584:
	s_and_b32 vcc_lo, exec_lo, s8
	s_cbranch_vccz .LBB6_1589
; %bb.1585:
	s_cmp_eq_u32 s3, 44
	s_mov_b32 s0, -1
	s_cbranch_scc0 .LBB6_1589
; %bb.1586:
	s_wait_xcnt 0x0
	v_cvt_f32_f64_e32 v2, v[0:1]
	v_mov_b32_e32 v3, 0xff
	s_mov_b32 s7, exec_lo
	s_delay_alu instid0(VALU_DEP_2) | instskip(NEXT) | instid1(VALU_DEP_1)
	v_bfe_u32 v11, v2, 23, 8
	v_cmpx_ne_u32_e32 0xff, v11
	s_cbranch_execz .LBB6_1588
; %bb.1587:
	v_and_b32_e32 v3, 0x400000, v2
	v_and_or_b32 v11, 0x3fffff, v2, v11
	v_lshrrev_b32_e32 v2, 23, v2
	s_delay_alu instid0(VALU_DEP_3) | instskip(NEXT) | instid1(VALU_DEP_3)
	v_cmp_ne_u32_e32 vcc_lo, 0, v3
	v_cmp_ne_u32_e64 s0, 0, v11
	s_and_b32 s0, vcc_lo, s0
	s_delay_alu instid0(SALU_CYCLE_1) | instskip(NEXT) | instid1(VALU_DEP_1)
	v_cndmask_b32_e64 v3, 0, 1, s0
	v_add_nc_u32_e32 v3, v2, v3
.LBB6_1588:
	s_or_b32 exec_lo, exec_lo, s7
	s_mov_b32 s0, 0
	s_mov_b32 s7, -1
	global_store_b8 v[24:25], v3, off
.LBB6_1589:
	s_mov_b32 s8, 0
.LBB6_1590:
	s_delay_alu instid0(SALU_CYCLE_1)
	s_and_b32 vcc_lo, exec_lo, s8
	s_cbranch_vccz .LBB6_1593
; %bb.1591:
	s_cmp_eq_u32 s3, 29
	s_mov_b32 s0, -1
	s_cbranch_scc0 .LBB6_1593
; %bb.1592:
	s_wait_xcnt 0x0
	v_trunc_f64_e32 v[2:3], v[0:1]
	s_mov_b32 s0, 0
	s_mov_b32 s7, -1
	s_delay_alu instid0(VALU_DEP_1) | instskip(NEXT) | instid1(VALU_DEP_1)
	v_ldexp_f64 v[30:31], v[2:3], 0xffffffe0
	v_floor_f64_e32 v[30:31], v[30:31]
	s_delay_alu instid0(VALU_DEP_1) | instskip(SKIP_1) | instid1(VALU_DEP_2)
	v_fmamk_f64 v[2:3], v[30:31], 0xc1f00000, v[2:3]
	v_cvt_u32_f64_e32 v31, v[30:31]
	v_cvt_u32_f64_e32 v30, v[2:3]
	global_store_b64 v[24:25], v[30:31], off
.LBB6_1593:
	s_mov_b32 s8, 0
.LBB6_1594:
	s_delay_alu instid0(SALU_CYCLE_1)
	s_and_b32 vcc_lo, exec_lo, s8
	s_cbranch_vccz .LBB6_1610
; %bb.1595:
	s_cmp_lt_i32 s3, 27
	s_mov_b32 s7, -1
	s_cbranch_scc1 .LBB6_1601
; %bb.1596:
	s_wait_xcnt 0x0
	v_cvt_u32_f64_e32 v2, v[0:1]
	s_cmp_gt_i32 s3, 27
	s_cbranch_scc0 .LBB6_1598
; %bb.1597:
	s_mov_b32 s7, 0
	global_store_b32 v[24:25], v2, off
.LBB6_1598:
	s_and_not1_b32 vcc_lo, exec_lo, s7
	s_cbranch_vccnz .LBB6_1600
; %bb.1599:
	global_store_b16 v[24:25], v2, off
.LBB6_1600:
	s_mov_b32 s7, 0
.LBB6_1601:
	s_delay_alu instid0(SALU_CYCLE_1)
	s_and_not1_b32 vcc_lo, exec_lo, s7
	s_cbranch_vccnz .LBB6_1609
; %bb.1602:
	s_wait_xcnt 0x0
	v_cvt_f32_f64_e32 v2, v[0:1]
	v_mov_b32_e32 v11, 0x80
	s_mov_b32 s7, exec_lo
	s_delay_alu instid0(VALU_DEP_2) | instskip(NEXT) | instid1(VALU_DEP_1)
	v_and_b32_e32 v3, 0x7fffffff, v2
	v_cmpx_gt_u32_e32 0x43800000, v3
	s_cbranch_execz .LBB6_1608
; %bb.1603:
	v_cmp_lt_u32_e32 vcc_lo, 0x3bffffff, v3
	s_mov_b32 s8, 0
                                        ; implicit-def: $vgpr3
	s_and_saveexec_b32 s9, vcc_lo
	s_delay_alu instid0(SALU_CYCLE_1)
	s_xor_b32 s9, exec_lo, s9
	s_cbranch_execz .LBB6_2053
; %bb.1604:
	v_bfe_u32 v3, v2, 20, 1
	s_mov_b32 s8, exec_lo
	s_delay_alu instid0(VALU_DEP_1) | instskip(NEXT) | instid1(VALU_DEP_1)
	v_add3_u32 v3, v2, v3, 0x487ffff
	v_lshrrev_b32_e32 v3, 20, v3
	s_and_not1_saveexec_b32 s9, s9
	s_cbranch_execnz .LBB6_2054
.LBB6_1605:
	s_or_b32 exec_lo, exec_lo, s9
	v_mov_b32_e32 v11, 0
	s_and_saveexec_b32 s9, s8
.LBB6_1606:
	v_lshrrev_b32_e32 v2, 24, v2
	s_delay_alu instid0(VALU_DEP_1)
	v_and_or_b32 v11, 0x80, v2, v3
.LBB6_1607:
	s_or_b32 exec_lo, exec_lo, s9
.LBB6_1608:
	s_delay_alu instid0(SALU_CYCLE_1)
	s_or_b32 exec_lo, exec_lo, s7
	global_store_b8 v[24:25], v11, off
.LBB6_1609:
	s_mov_b32 s7, -1
.LBB6_1610:
	s_mov_b32 s8, 0
.LBB6_1611:
	s_delay_alu instid0(SALU_CYCLE_1)
	s_and_b32 vcc_lo, exec_lo, s8
	s_cbranch_vccz .LBB6_1651
; %bb.1612:
	s_cmp_gt_i32 s3, 22
	s_mov_b32 s6, -1
	s_cbranch_scc0 .LBB6_1644
; %bb.1613:
	s_cmp_lt_i32 s3, 24
	s_cbranch_scc1 .LBB6_1633
; %bb.1614:
	s_cmp_gt_i32 s3, 24
	s_cbranch_scc0 .LBB6_1622
; %bb.1615:
	s_wait_xcnt 0x0
	v_cvt_f32_f64_e32 v2, v[0:1]
	v_mov_b32_e32 v11, 0x80
	s_mov_b32 s6, exec_lo
	s_delay_alu instid0(VALU_DEP_2) | instskip(NEXT) | instid1(VALU_DEP_1)
	v_and_b32_e32 v3, 0x7fffffff, v2
	v_cmpx_gt_u32_e32 0x47800000, v3
	s_cbranch_execz .LBB6_1621
; %bb.1616:
	v_cmp_lt_u32_e32 vcc_lo, 0x37ffffff, v3
	s_mov_b32 s7, 0
                                        ; implicit-def: $vgpr3
	s_and_saveexec_b32 s8, vcc_lo
	s_delay_alu instid0(SALU_CYCLE_1)
	s_xor_b32 s8, exec_lo, s8
	s_cbranch_execz .LBB6_2056
; %bb.1617:
	v_bfe_u32 v3, v2, 21, 1
	s_mov_b32 s7, exec_lo
	s_delay_alu instid0(VALU_DEP_1) | instskip(NEXT) | instid1(VALU_DEP_1)
	v_add3_u32 v3, v2, v3, 0x88fffff
	v_lshrrev_b32_e32 v3, 21, v3
	s_and_not1_saveexec_b32 s8, s8
	s_cbranch_execnz .LBB6_2057
.LBB6_1618:
	s_or_b32 exec_lo, exec_lo, s8
	v_mov_b32_e32 v11, 0
	s_and_saveexec_b32 s8, s7
.LBB6_1619:
	v_lshrrev_b32_e32 v2, 24, v2
	s_delay_alu instid0(VALU_DEP_1)
	v_and_or_b32 v11, 0x80, v2, v3
.LBB6_1620:
	s_or_b32 exec_lo, exec_lo, s8
.LBB6_1621:
	s_delay_alu instid0(SALU_CYCLE_1)
	s_or_b32 exec_lo, exec_lo, s6
	s_mov_b32 s6, 0
	global_store_b8 v[24:25], v11, off
.LBB6_1622:
	s_and_b32 vcc_lo, exec_lo, s6
	s_cbranch_vccz .LBB6_1632
; %bb.1623:
	s_wait_xcnt 0x0
	v_cvt_f32_f64_e32 v2, v[0:1]
	s_mov_b32 s6, exec_lo
                                        ; implicit-def: $vgpr3
	s_delay_alu instid0(VALU_DEP_1) | instskip(NEXT) | instid1(VALU_DEP_1)
	v_and_b32_e32 v11, 0x7fffffff, v2
	v_cmpx_gt_u32_e32 0x43f00000, v11
	s_xor_b32 s6, exec_lo, s6
	s_cbranch_execz .LBB6_1629
; %bb.1624:
	s_mov_b32 s7, exec_lo
                                        ; implicit-def: $vgpr3
	v_cmpx_lt_u32_e32 0x3c7fffff, v11
	s_xor_b32 s7, exec_lo, s7
; %bb.1625:
	v_bfe_u32 v3, v2, 20, 1
	s_delay_alu instid0(VALU_DEP_1) | instskip(NEXT) | instid1(VALU_DEP_1)
	v_add3_u32 v3, v2, v3, 0x407ffff
	v_and_b32_e32 v11, 0xff00000, v3
	v_lshrrev_b32_e32 v3, 20, v3
	s_delay_alu instid0(VALU_DEP_2) | instskip(NEXT) | instid1(VALU_DEP_2)
	v_cmp_ne_u32_e32 vcc_lo, 0x7f00000, v11
	v_cndmask_b32_e32 v3, 0x7e, v3, vcc_lo
; %bb.1626:
	s_and_not1_saveexec_b32 s7, s7
; %bb.1627:
	v_add_f32_e64 v3, 0x46800000, |v2|
; %bb.1628:
	s_or_b32 exec_lo, exec_lo, s7
                                        ; implicit-def: $vgpr11
.LBB6_1629:
	s_and_not1_saveexec_b32 s6, s6
; %bb.1630:
	v_mov_b32_e32 v3, 0x7f
	v_cmp_lt_u32_e32 vcc_lo, 0x7f800000, v11
	s_delay_alu instid0(VALU_DEP_2)
	v_cndmask_b32_e32 v3, 0x7e, v3, vcc_lo
; %bb.1631:
	s_or_b32 exec_lo, exec_lo, s6
	v_lshrrev_b32_e32 v2, 24, v2
	s_delay_alu instid0(VALU_DEP_1)
	v_and_or_b32 v2, 0x80, v2, v3
	global_store_b8 v[24:25], v2, off
.LBB6_1632:
	s_mov_b32 s6, 0
.LBB6_1633:
	s_delay_alu instid0(SALU_CYCLE_1)
	s_and_not1_b32 vcc_lo, exec_lo, s6
	s_cbranch_vccnz .LBB6_1643
; %bb.1634:
	s_wait_xcnt 0x0
	v_cvt_f32_f64_e32 v2, v[0:1]
	s_mov_b32 s6, exec_lo
                                        ; implicit-def: $vgpr3
	s_delay_alu instid0(VALU_DEP_1) | instskip(NEXT) | instid1(VALU_DEP_1)
	v_and_b32_e32 v11, 0x7fffffff, v2
	v_cmpx_gt_u32_e32 0x47800000, v11
	s_xor_b32 s6, exec_lo, s6
	s_cbranch_execz .LBB6_1640
; %bb.1635:
	s_mov_b32 s7, exec_lo
                                        ; implicit-def: $vgpr3
	v_cmpx_lt_u32_e32 0x387fffff, v11
	s_xor_b32 s7, exec_lo, s7
; %bb.1636:
	v_bfe_u32 v3, v2, 21, 1
	s_delay_alu instid0(VALU_DEP_1) | instskip(NEXT) | instid1(VALU_DEP_1)
	v_add3_u32 v3, v2, v3, 0x80fffff
	v_lshrrev_b32_e32 v3, 21, v3
; %bb.1637:
	s_and_not1_saveexec_b32 s7, s7
; %bb.1638:
	v_add_f32_e64 v3, 0x43000000, |v2|
; %bb.1639:
	s_or_b32 exec_lo, exec_lo, s7
                                        ; implicit-def: $vgpr11
.LBB6_1640:
	s_and_not1_saveexec_b32 s6, s6
; %bb.1641:
	v_mov_b32_e32 v3, 0x7f
	v_cmp_lt_u32_e32 vcc_lo, 0x7f800000, v11
	s_delay_alu instid0(VALU_DEP_2)
	v_cndmask_b32_e32 v3, 0x7c, v3, vcc_lo
; %bb.1642:
	s_or_b32 exec_lo, exec_lo, s6
	v_lshrrev_b32_e32 v2, 24, v2
	s_delay_alu instid0(VALU_DEP_1)
	v_and_or_b32 v2, 0x80, v2, v3
	global_store_b8 v[24:25], v2, off
.LBB6_1643:
	s_mov_b32 s6, 0
	s_mov_b32 s7, -1
.LBB6_1644:
	s_and_not1_b32 vcc_lo, exec_lo, s6
	s_mov_b32 s6, 0
	s_cbranch_vccnz .LBB6_1651
; %bb.1645:
	s_cmp_gt_i32 s3, 14
	s_mov_b32 s6, -1
	s_cbranch_scc0 .LBB6_1649
; %bb.1646:
	s_cmp_eq_u32 s3, 15
	s_mov_b32 s0, -1
	s_cbranch_scc0 .LBB6_1648
; %bb.1647:
	s_wait_xcnt 0x0
	v_cvt_f32_f64_e32 v2, v[0:1]
	s_mov_b32 s0, 0
	s_mov_b32 s7, -1
	s_delay_alu instid0(VALU_DEP_1) | instskip(SKIP_1) | instid1(VALU_DEP_2)
	v_bfe_u32 v3, v2, 16, 1
	v_cmp_o_f32_e32 vcc_lo, v2, v2
	v_add3_u32 v3, v2, v3, 0x7fff
	s_delay_alu instid0(VALU_DEP_1) | instskip(NEXT) | instid1(VALU_DEP_1)
	v_lshrrev_b32_e32 v3, 16, v3
	v_cndmask_b32_e32 v2, 0x7fc0, v3, vcc_lo
	global_store_b16 v[24:25], v2, off
.LBB6_1648:
	s_mov_b32 s6, 0
.LBB6_1649:
	s_delay_alu instid0(SALU_CYCLE_1)
	s_and_b32 vcc_lo, exec_lo, s6
	s_mov_b32 s6, 0
	s_cbranch_vccz .LBB6_1651
; %bb.1650:
	s_cmp_lg_u32 s3, 11
	s_mov_b32 s6, -1
	s_cselect_b32 s0, -1, 0
.LBB6_1651:
	s_delay_alu instid0(SALU_CYCLE_1)
	s_and_b32 vcc_lo, exec_lo, s0
	s_cbranch_vccnz .LBB6_2055
; %bb.1652:
	s_and_not1_b32 vcc_lo, exec_lo, s6
	s_cbranch_vccnz .LBB6_1654
.LBB6_1653:
	v_cmp_neq_f64_e32 vcc_lo, 0, v[0:1]
	s_mov_b32 s7, -1
	s_wait_xcnt 0x0
	v_cndmask_b32_e64 v2, 0, 1, vcc_lo
	global_store_b8 v[24:25], v2, off
.LBB6_1654:
.LBB6_1655:
	s_and_not1_b32 vcc_lo, exec_lo, s7
	s_cbranch_vccz .LBB6_1695
	s_branch .LBB6_2007
.LBB6_1656:
	s_and_b32 vcc_lo, exec_lo, s0
	s_cbranch_vccz .LBB6_1655
; %bb.1657:
	s_and_b32 s0, 0xffff, s12
	s_mov_b32 s3, -1
	s_cmp_lt_i32 s0, 5
	s_cbranch_scc1 .LBB6_1678
; %bb.1658:
	s_cmp_lt_i32 s0, 8
	s_cbranch_scc1 .LBB6_1668
; %bb.1659:
	;; [unrolled: 3-line block ×3, first 2 shown]
	s_cmp_gt_i32 s0, 9
	s_cbranch_scc0 .LBB6_1662
; %bb.1661:
	s_wait_xcnt 0x0
	v_mov_b64_e32 v[2:3], 0
	s_mov_b32 s3, 0
	global_store_b128 v[24:25], v[0:3], off
.LBB6_1662:
	s_and_not1_b32 vcc_lo, exec_lo, s3
	s_cbranch_vccnz .LBB6_1664
; %bb.1663:
	s_wait_xcnt 0x0
	v_cvt_f32_f64_e32 v2, v[0:1]
	v_mov_b32_e32 v3, 0
	global_store_b64 v[24:25], v[2:3], off
.LBB6_1664:
	s_mov_b32 s3, 0
.LBB6_1665:
	s_delay_alu instid0(SALU_CYCLE_1)
	s_and_not1_b32 vcc_lo, exec_lo, s3
	s_cbranch_vccnz .LBB6_1667
; %bb.1666:
	s_wait_xcnt 0x0
	v_and_or_b32 v2, 0x1ff, v1, v0
	v_lshrrev_b32_e32 v3, 8, v1
	v_bfe_u32 v11, v1, 20, 11
	s_delay_alu instid0(VALU_DEP_3) | instskip(NEXT) | instid1(VALU_DEP_2)
	v_cmp_ne_u32_e32 vcc_lo, 0, v2
	v_sub_nc_u32_e32 v29, 0x3f1, v11
	v_add_nc_u32_e32 v11, 0xfffffc10, v11
	v_cndmask_b32_e64 v2, 0, 1, vcc_lo
	s_delay_alu instid0(VALU_DEP_1) | instskip(NEXT) | instid1(VALU_DEP_4)
	v_and_or_b32 v2, 0xffe, v3, v2
	v_med3_i32 v3, v29, 0, 13
	s_delay_alu instid0(VALU_DEP_2) | instskip(NEXT) | instid1(VALU_DEP_1)
	v_or_b32_e32 v29, 0x1000, v2
	v_lshrrev_b32_e32 v30, v3, v29
	s_delay_alu instid0(VALU_DEP_1) | instskip(NEXT) | instid1(VALU_DEP_1)
	v_lshlrev_b32_e32 v3, v3, v30
	v_cmp_ne_u32_e32 vcc_lo, v3, v29
	v_lshl_or_b32 v29, v11, 12, v2
	v_cndmask_b32_e64 v3, 0, 1, vcc_lo
	v_cmp_gt_i32_e32 vcc_lo, 1, v11
	s_delay_alu instid0(VALU_DEP_2) | instskip(NEXT) | instid1(VALU_DEP_1)
	v_or_b32_e32 v3, v30, v3
	v_cndmask_b32_e32 v3, v29, v3, vcc_lo
	s_delay_alu instid0(VALU_DEP_1) | instskip(NEXT) | instid1(VALU_DEP_1)
	v_dual_lshrrev_b32 v3, 2, v3 :: v_dual_bitop2_b32 v29, 7, v3 bitop3:0x40
	v_cmp_lt_i32_e32 vcc_lo, 5, v29
	v_cndmask_b32_e64 v30, 0, 1, vcc_lo
	v_cmp_eq_u32_e32 vcc_lo, 3, v29
	v_cndmask_b32_e64 v29, 0, 1, vcc_lo
	v_cmp_ne_u32_e32 vcc_lo, 0, v2
	s_delay_alu instid0(VALU_DEP_2) | instskip(NEXT) | instid1(VALU_DEP_1)
	v_or_b32_e32 v29, v29, v30
	v_dual_mov_b32 v30, 0x7e00 :: v_dual_add_nc_u32 v3, v3, v29
	s_delay_alu instid0(VALU_DEP_1) | instskip(SKIP_2) | instid1(VALU_DEP_4)
	v_cndmask_b32_e32 v2, 0x7c00, v30, vcc_lo
	v_cmp_gt_i32_e32 vcc_lo, 31, v11
	v_lshrrev_b32_e32 v29, 16, v1
	v_cndmask_b32_e32 v3, 0x7c00, v3, vcc_lo
	v_cmp_eq_u32_e32 vcc_lo, 0x40f, v11
	s_delay_alu instid0(VALU_DEP_2) | instskip(NEXT) | instid1(VALU_DEP_4)
	v_cndmask_b32_e32 v2, v3, v2, vcc_lo
	v_and_b32_e32 v3, 0x8000, v29
	s_delay_alu instid0(VALU_DEP_1)
	v_bitop3_b32 v2, v3, 0xffff, v2 bitop3:0xc8
	global_store_b32 v[24:25], v2, off
.LBB6_1667:
	s_mov_b32 s3, 0
.LBB6_1668:
	s_delay_alu instid0(SALU_CYCLE_1)
	s_and_not1_b32 vcc_lo, exec_lo, s3
	s_cbranch_vccnz .LBB6_1677
; %bb.1669:
	s_cmp_lt_i32 s0, 6
	s_mov_b32 s3, -1
	s_cbranch_scc1 .LBB6_1675
; %bb.1670:
	s_cmp_gt_i32 s0, 6
	s_cbranch_scc0 .LBB6_1672
; %bb.1671:
	s_mov_b32 s3, 0
	global_store_b64 v[24:25], v[0:1], off
.LBB6_1672:
	s_and_not1_b32 vcc_lo, exec_lo, s3
	s_cbranch_vccnz .LBB6_1674
; %bb.1673:
	s_wait_xcnt 0x0
	v_cvt_f32_f64_e32 v2, v[0:1]
	global_store_b32 v[24:25], v2, off
.LBB6_1674:
	s_mov_b32 s3, 0
.LBB6_1675:
	s_delay_alu instid0(SALU_CYCLE_1)
	s_and_not1_b32 vcc_lo, exec_lo, s3
	s_cbranch_vccnz .LBB6_1677
; %bb.1676:
	s_wait_xcnt 0x0
	v_and_or_b32 v2, 0x1ff, v1, v0
	v_lshrrev_b32_e32 v3, 8, v1
	v_bfe_u32 v11, v1, 20, 11
	s_delay_alu instid0(VALU_DEP_3) | instskip(NEXT) | instid1(VALU_DEP_2)
	v_cmp_ne_u32_e32 vcc_lo, 0, v2
	v_sub_nc_u32_e32 v29, 0x3f1, v11
	v_add_nc_u32_e32 v11, 0xfffffc10, v11
	v_cndmask_b32_e64 v2, 0, 1, vcc_lo
	s_delay_alu instid0(VALU_DEP_1) | instskip(NEXT) | instid1(VALU_DEP_4)
	v_and_or_b32 v2, 0xffe, v3, v2
	v_med3_i32 v3, v29, 0, 13
	s_delay_alu instid0(VALU_DEP_2) | instskip(NEXT) | instid1(VALU_DEP_1)
	v_or_b32_e32 v29, 0x1000, v2
	v_lshrrev_b32_e32 v30, v3, v29
	s_delay_alu instid0(VALU_DEP_1) | instskip(NEXT) | instid1(VALU_DEP_1)
	v_lshlrev_b32_e32 v3, v3, v30
	v_cmp_ne_u32_e32 vcc_lo, v3, v29
	v_lshl_or_b32 v29, v11, 12, v2
	v_cndmask_b32_e64 v3, 0, 1, vcc_lo
	v_cmp_gt_i32_e32 vcc_lo, 1, v11
	s_delay_alu instid0(VALU_DEP_2) | instskip(NEXT) | instid1(VALU_DEP_1)
	v_or_b32_e32 v3, v30, v3
	v_cndmask_b32_e32 v3, v29, v3, vcc_lo
	s_delay_alu instid0(VALU_DEP_1) | instskip(NEXT) | instid1(VALU_DEP_1)
	v_dual_lshrrev_b32 v3, 2, v3 :: v_dual_bitop2_b32 v29, 7, v3 bitop3:0x40
	v_cmp_lt_i32_e32 vcc_lo, 5, v29
	v_cndmask_b32_e64 v30, 0, 1, vcc_lo
	v_cmp_eq_u32_e32 vcc_lo, 3, v29
	v_cndmask_b32_e64 v29, 0, 1, vcc_lo
	v_cmp_ne_u32_e32 vcc_lo, 0, v2
	s_delay_alu instid0(VALU_DEP_2) | instskip(NEXT) | instid1(VALU_DEP_1)
	v_or_b32_e32 v29, v29, v30
	v_dual_mov_b32 v30, 0x7e00 :: v_dual_add_nc_u32 v3, v3, v29
	s_delay_alu instid0(VALU_DEP_1) | instskip(SKIP_1) | instid1(VALU_DEP_3)
	v_cndmask_b32_e32 v2, 0x7c00, v30, vcc_lo
	v_cmp_gt_i32_e32 vcc_lo, 31, v11
	v_cndmask_b32_e32 v3, 0x7c00, v3, vcc_lo
	v_cmp_eq_u32_e32 vcc_lo, 0x40f, v11
	s_delay_alu instid0(VALU_DEP_2) | instskip(NEXT) | instid1(VALU_DEP_1)
	v_dual_cndmask_b32 v2, v3, v2 :: v_dual_lshrrev_b32 v3, 16, v1
	v_and_or_b32 v2, 0x8000, v3, v2
	global_store_b16 v[24:25], v2, off
.LBB6_1677:
	s_mov_b32 s3, 0
.LBB6_1678:
	s_delay_alu instid0(SALU_CYCLE_1)
	s_and_not1_b32 vcc_lo, exec_lo, s3
	s_cbranch_vccnz .LBB6_1694
; %bb.1679:
	s_cmp_lt_i32 s0, 2
	s_mov_b32 s3, -1
	s_cbranch_scc1 .LBB6_1689
; %bb.1680:
	s_cmp_lt_i32 s0, 3
	s_cbranch_scc1 .LBB6_1686
; %bb.1681:
	s_cmp_gt_i32 s0, 3
	s_cbranch_scc0 .LBB6_1683
; %bb.1682:
	s_wait_xcnt 0x0
	v_trunc_f64_e32 v[2:3], v[0:1]
	s_mov_b32 s3, 0
	s_delay_alu instid0(VALU_DEP_1) | instskip(NEXT) | instid1(VALU_DEP_1)
	v_ldexp_f64 v[30:31], v[2:3], 0xffffffe0
	v_floor_f64_e32 v[30:31], v[30:31]
	s_delay_alu instid0(VALU_DEP_1) | instskip(SKIP_1) | instid1(VALU_DEP_2)
	v_fmamk_f64 v[2:3], v[30:31], 0xc1f00000, v[2:3]
	v_cvt_i32_f64_e32 v31, v[30:31]
	v_cvt_u32_f64_e32 v30, v[2:3]
	global_store_b64 v[24:25], v[30:31], off
.LBB6_1683:
	s_and_not1_b32 vcc_lo, exec_lo, s3
	s_cbranch_vccnz .LBB6_1685
; %bb.1684:
	s_wait_xcnt 0x0
	v_cvt_i32_f64_e32 v2, v[0:1]
	global_store_b32 v[24:25], v2, off
.LBB6_1685:
	s_mov_b32 s3, 0
.LBB6_1686:
	s_delay_alu instid0(SALU_CYCLE_1)
	s_and_not1_b32 vcc_lo, exec_lo, s3
	s_cbranch_vccnz .LBB6_1688
; %bb.1687:
	s_wait_xcnt 0x0
	v_cvt_i32_f64_e32 v2, v[0:1]
	global_store_b16 v[24:25], v2, off
.LBB6_1688:
	s_mov_b32 s3, 0
.LBB6_1689:
	s_delay_alu instid0(SALU_CYCLE_1)
	s_and_not1_b32 vcc_lo, exec_lo, s3
	s_cbranch_vccnz .LBB6_1694
; %bb.1690:
	s_cmp_gt_i32 s0, 0
	s_mov_b32 s0, -1
	s_cbranch_scc0 .LBB6_1692
; %bb.1691:
	s_wait_xcnt 0x0
	v_cvt_i32_f64_e32 v2, v[0:1]
	s_mov_b32 s0, 0
	global_store_b8 v[24:25], v2, off
.LBB6_1692:
	s_and_not1_b32 vcc_lo, exec_lo, s0
	s_cbranch_vccnz .LBB6_1694
; %bb.1693:
	s_wait_xcnt 0x0
	v_trunc_f64_e32 v[0:1], v[0:1]
	s_delay_alu instid0(VALU_DEP_1) | instskip(NEXT) | instid1(VALU_DEP_1)
	v_ldexp_f64 v[2:3], v[0:1], 0xffffffe0
	v_floor_f64_e32 v[2:3], v[2:3]
	s_delay_alu instid0(VALU_DEP_1) | instskip(NEXT) | instid1(VALU_DEP_1)
	v_fmamk_f64 v[0:1], v[2:3], 0xc1f00000, v[0:1]
	v_cvt_u32_f64_e32 v0, v[0:1]
	global_store_b8 v[24:25], v0, off
.LBB6_1694:
.LBB6_1695:
	s_wait_xcnt 0x0
	v_dual_mul_f64 v[0:1], v[12:13], v[12:13] :: v_dual_bitop2_b32 v11, 1, v26 bitop3:0x40
	s_lshl_b32 s2, s2, 7
	v_cmp_class_f64_e64 s0, v[4:5], 0x1f8
	s_mov_b64 s[6:7], 0x3de5e0b2f9a43bb8
	s_cmp_lt_i32 s12, 11
	v_cmp_eq_u32_e32 vcc_lo, 0, v11
	v_mul_f64_e32 v[32:33], 0.5, v[14:15]
	v_dual_mul_f64 v[2:3], 0.5, v[0:1] :: v_dual_add_nc_u32 v4, s2, v10
	v_mul_f64_e64 v[34:35], v[12:13], -v[0:1]
	v_fmaak_f64 v[36:37], s[6:7], v[0:1], 0xbe5ae600b42fdfa7
	s_mov_b64 s[6:7], 0xbda907db46cc5e42
	s_delay_alu instid0(VALU_DEP_3) | instskip(NEXT) | instid1(VALU_DEP_1)
	v_add_f64_e64 v[24:25], -v[2:3], 1.0
	v_add_f64_e64 v[30:31], -v[24:25], 1.0
	s_delay_alu instid0(VALU_DEP_1) | instskip(NEXT) | instid1(VALU_DEP_4)
	v_add_f64_e64 v[2:3], v[30:31], -v[2:3]
	v_fmaak_f64 v[30:31], v[0:1], v[36:37], 0x3ec71de3796cde01
	v_mul_f64_e32 v[36:37], v[0:1], v[0:1]
	s_delay_alu instid0(VALU_DEP_2) | instskip(NEXT) | instid1(VALU_DEP_1)
	v_fmaak_f64 v[30:31], v[0:1], v[30:31], 0xbf2a01a019e83e5c
	v_fmaak_f64 v[30:31], v[0:1], v[30:31], 0x3f81111111110bb3
	s_delay_alu instid0(VALU_DEP_1) | instskip(SKIP_2) | instid1(VALU_DEP_1)
	v_fmac_f64_e32 v[32:33], v[34:35], v[30:31]
	v_fmaak_f64 v[30:31], s[6:7], v[0:1], 0x3e21eeb69037ab78
	s_mov_b32 s7, 0
	v_fmaak_f64 v[30:31], v[0:1], v[30:31], 0xbe927e4fa17f65f6
	v_fma_f64 v[2:3], v[12:13], -v[14:15], v[2:3]
	s_delay_alu instid0(VALU_DEP_2) | instskip(NEXT) | instid1(VALU_DEP_1)
	v_fmaak_f64 v[30:31], v[0:1], v[30:31], 0x3efa01a019f4ec90
	v_fmaak_f64 v[30:31], v[0:1], v[30:31], 0xbf56c16c16c16967
	v_fma_f64 v[14:15], v[0:1], v[32:33], -v[14:15]
	s_delay_alu instid0(VALU_DEP_2) | instskip(NEXT) | instid1(VALU_DEP_1)
	v_fmaak_f64 v[0:1], v[0:1], v[30:31], 0x3fa5555555555555
	v_fmac_f64_e32 v[2:3], v[36:37], v[0:1]
	s_delay_alu instid0(VALU_DEP_3) | instskip(NEXT) | instid1(VALU_DEP_1)
	v_fmamk_f64 v[0:1], v[34:35], 0xbfc5555555555555, v[14:15]
	v_add_f64_e64 v[0:1], v[12:13], -v[0:1]
	s_delay_alu instid0(VALU_DEP_3) | instskip(NEXT) | instid1(VALU_DEP_1)
	v_add_f64_e32 v[2:3], v[24:25], v[2:3]
	v_dual_cndmask_b32 v0, v2, v0, vcc_lo :: v_dual_lshlrev_b32 v2, 30, v26
	s_delay_alu instid0(VALU_DEP_1) | instskip(NEXT) | instid1(VALU_DEP_2)
	v_dual_cndmask_b32 v1, v3, v1, vcc_lo :: v_dual_cndmask_b32 v0, 0, v0, s0
	v_dual_ashrrev_i32 v5, 31, v4 :: v_dual_bitop2_b32 v2, v2, v5 bitop3:0x14
	s_delay_alu instid0(VALU_DEP_1) | instskip(NEXT) | instid1(VALU_DEP_2)
	v_bitop3_b32 v1, v1, v2, 0x80000000 bitop3:0x78
	v_add_nc_u64_e32 v[10:11], s[4:5], v[4:5]
	s_delay_alu instid0(VALU_DEP_2)
	v_cndmask_b32_e64 v1, 0x7ff80000, v1, s0
	s_mov_b32 s0, -1
	s_cbranch_scc1 .LBB6_1774
; %bb.1696:
	s_and_b32 s3, 0xffff, s12
	s_mov_b32 s8, -1
	s_mov_b32 s6, 0
	s_cmp_gt_i32 s3, 25
	s_mov_b32 s0, 0
	s_cbranch_scc0 .LBB6_1729
; %bb.1697:
	s_cmp_gt_i32 s3, 28
	s_cbranch_scc0 .LBB6_1712
; %bb.1698:
	s_cmp_gt_i32 s3, 43
	;; [unrolled: 3-line block ×3, first 2 shown]
	s_cbranch_scc0 .LBB6_1702
; %bb.1700:
	s_mov_b32 s0, -1
	s_mov_b32 s8, 0
	s_cmp_eq_u32 s3, 46
	s_cbranch_scc0 .LBB6_1702
; %bb.1701:
	v_cvt_f32_f64_e32 v2, v[0:1]
	s_mov_b32 s0, 0
	s_mov_b32 s7, -1
	s_delay_alu instid0(VALU_DEP_1) | instskip(SKIP_1) | instid1(VALU_DEP_2)
	v_bfe_u32 v3, v2, 16, 1
	v_cmp_o_f32_e32 vcc_lo, v2, v2
	v_add3_u32 v3, v2, v3, 0x7fff
	s_delay_alu instid0(VALU_DEP_1) | instskip(NEXT) | instid1(VALU_DEP_1)
	v_lshrrev_b32_e32 v3, 16, v3
	v_cndmask_b32_e32 v2, 0x7fc0, v3, vcc_lo
	global_store_b32 v[10:11], v2, off
.LBB6_1702:
	s_and_b32 vcc_lo, exec_lo, s8
	s_cbranch_vccz .LBB6_1707
; %bb.1703:
	s_cmp_eq_u32 s3, 44
	s_mov_b32 s0, -1
	s_cbranch_scc0 .LBB6_1707
; %bb.1704:
	s_wait_xcnt 0x0
	v_cvt_f32_f64_e32 v2, v[0:1]
	v_mov_b32_e32 v3, 0xff
	s_mov_b32 s7, exec_lo
	s_delay_alu instid0(VALU_DEP_2) | instskip(NEXT) | instid1(VALU_DEP_1)
	v_bfe_u32 v5, v2, 23, 8
	v_cmpx_ne_u32_e32 0xff, v5
	s_cbranch_execz .LBB6_1706
; %bb.1705:
	v_and_b32_e32 v3, 0x400000, v2
	v_and_or_b32 v5, 0x3fffff, v2, v5
	v_lshrrev_b32_e32 v2, 23, v2
	s_delay_alu instid0(VALU_DEP_3) | instskip(NEXT) | instid1(VALU_DEP_3)
	v_cmp_ne_u32_e32 vcc_lo, 0, v3
	v_cmp_ne_u32_e64 s0, 0, v5
	s_and_b32 s0, vcc_lo, s0
	s_delay_alu instid0(SALU_CYCLE_1) | instskip(NEXT) | instid1(VALU_DEP_1)
	v_cndmask_b32_e64 v3, 0, 1, s0
	v_add_nc_u32_e32 v3, v2, v3
.LBB6_1706:
	s_or_b32 exec_lo, exec_lo, s7
	s_mov_b32 s0, 0
	s_mov_b32 s7, -1
	global_store_b8 v[10:11], v3, off
.LBB6_1707:
	s_mov_b32 s8, 0
.LBB6_1708:
	s_delay_alu instid0(SALU_CYCLE_1)
	s_and_b32 vcc_lo, exec_lo, s8
	s_cbranch_vccz .LBB6_1711
; %bb.1709:
	s_cmp_eq_u32 s3, 29
	s_mov_b32 s0, -1
	s_cbranch_scc0 .LBB6_1711
; %bb.1710:
	s_wait_xcnt 0x0
	v_trunc_f64_e32 v[2:3], v[0:1]
	s_mov_b32 s0, 0
	s_mov_b32 s7, -1
	s_delay_alu instid0(VALU_DEP_1) | instskip(NEXT) | instid1(VALU_DEP_1)
	v_ldexp_f64 v[12:13], v[2:3], 0xffffffe0
	v_floor_f64_e32 v[12:13], v[12:13]
	s_delay_alu instid0(VALU_DEP_1) | instskip(SKIP_1) | instid1(VALU_DEP_2)
	v_fmamk_f64 v[2:3], v[12:13], 0xc1f00000, v[2:3]
	v_cvt_u32_f64_e32 v13, v[12:13]
	v_cvt_u32_f64_e32 v12, v[2:3]
	global_store_b64 v[10:11], v[12:13], off
.LBB6_1711:
	s_mov_b32 s8, 0
.LBB6_1712:
	s_delay_alu instid0(SALU_CYCLE_1)
	s_and_b32 vcc_lo, exec_lo, s8
	s_cbranch_vccz .LBB6_1728
; %bb.1713:
	s_cmp_lt_i32 s3, 27
	s_mov_b32 s7, -1
	s_cbranch_scc1 .LBB6_1719
; %bb.1714:
	s_wait_xcnt 0x0
	v_cvt_u32_f64_e32 v2, v[0:1]
	s_cmp_gt_i32 s3, 27
	s_cbranch_scc0 .LBB6_1716
; %bb.1715:
	s_mov_b32 s7, 0
	global_store_b32 v[10:11], v2, off
.LBB6_1716:
	s_and_not1_b32 vcc_lo, exec_lo, s7
	s_cbranch_vccnz .LBB6_1718
; %bb.1717:
	global_store_b16 v[10:11], v2, off
.LBB6_1718:
	s_mov_b32 s7, 0
.LBB6_1719:
	s_delay_alu instid0(SALU_CYCLE_1)
	s_and_not1_b32 vcc_lo, exec_lo, s7
	s_cbranch_vccnz .LBB6_1727
; %bb.1720:
	s_wait_xcnt 0x0
	v_cvt_f32_f64_e32 v2, v[0:1]
	v_mov_b32_e32 v5, 0x80
	s_mov_b32 s7, exec_lo
	s_delay_alu instid0(VALU_DEP_2) | instskip(NEXT) | instid1(VALU_DEP_1)
	v_and_b32_e32 v3, 0x7fffffff, v2
	v_cmpx_gt_u32_e32 0x43800000, v3
	s_cbranch_execz .LBB6_1726
; %bb.1721:
	v_cmp_lt_u32_e32 vcc_lo, 0x3bffffff, v3
	s_mov_b32 s8, 0
                                        ; implicit-def: $vgpr3
	s_and_saveexec_b32 s9, vcc_lo
	s_delay_alu instid0(SALU_CYCLE_1)
	s_xor_b32 s9, exec_lo, s9
	s_cbranch_execz .LBB6_2058
; %bb.1722:
	v_bfe_u32 v3, v2, 20, 1
	s_mov_b32 s8, exec_lo
	s_delay_alu instid0(VALU_DEP_1) | instskip(NEXT) | instid1(VALU_DEP_1)
	v_add3_u32 v3, v2, v3, 0x487ffff
	v_lshrrev_b32_e32 v3, 20, v3
	s_and_not1_saveexec_b32 s9, s9
	s_cbranch_execnz .LBB6_2059
.LBB6_1723:
	s_or_b32 exec_lo, exec_lo, s9
	v_mov_b32_e32 v5, 0
	s_and_saveexec_b32 s9, s8
.LBB6_1724:
	v_lshrrev_b32_e32 v2, 24, v2
	s_delay_alu instid0(VALU_DEP_1)
	v_and_or_b32 v5, 0x80, v2, v3
.LBB6_1725:
	s_or_b32 exec_lo, exec_lo, s9
.LBB6_1726:
	s_delay_alu instid0(SALU_CYCLE_1)
	s_or_b32 exec_lo, exec_lo, s7
	global_store_b8 v[10:11], v5, off
.LBB6_1727:
	s_mov_b32 s7, -1
.LBB6_1728:
	s_mov_b32 s8, 0
.LBB6_1729:
	s_delay_alu instid0(SALU_CYCLE_1)
	s_and_b32 vcc_lo, exec_lo, s8
	s_cbranch_vccz .LBB6_1769
; %bb.1730:
	s_cmp_gt_i32 s3, 22
	s_mov_b32 s6, -1
	s_cbranch_scc0 .LBB6_1762
; %bb.1731:
	s_cmp_lt_i32 s3, 24
	s_cbranch_scc1 .LBB6_1751
; %bb.1732:
	s_cmp_gt_i32 s3, 24
	s_cbranch_scc0 .LBB6_1740
; %bb.1733:
	s_wait_xcnt 0x0
	v_cvt_f32_f64_e32 v2, v[0:1]
	v_mov_b32_e32 v5, 0x80
	s_mov_b32 s6, exec_lo
	s_delay_alu instid0(VALU_DEP_2) | instskip(NEXT) | instid1(VALU_DEP_1)
	v_and_b32_e32 v3, 0x7fffffff, v2
	v_cmpx_gt_u32_e32 0x47800000, v3
	s_cbranch_execz .LBB6_1739
; %bb.1734:
	v_cmp_lt_u32_e32 vcc_lo, 0x37ffffff, v3
	s_mov_b32 s7, 0
                                        ; implicit-def: $vgpr3
	s_and_saveexec_b32 s8, vcc_lo
	s_delay_alu instid0(SALU_CYCLE_1)
	s_xor_b32 s8, exec_lo, s8
	s_cbranch_execz .LBB6_2061
; %bb.1735:
	v_bfe_u32 v3, v2, 21, 1
	s_mov_b32 s7, exec_lo
	s_delay_alu instid0(VALU_DEP_1) | instskip(NEXT) | instid1(VALU_DEP_1)
	v_add3_u32 v3, v2, v3, 0x88fffff
	v_lshrrev_b32_e32 v3, 21, v3
	s_and_not1_saveexec_b32 s8, s8
	s_cbranch_execnz .LBB6_2062
.LBB6_1736:
	s_or_b32 exec_lo, exec_lo, s8
	v_mov_b32_e32 v5, 0
	s_and_saveexec_b32 s8, s7
.LBB6_1737:
	v_lshrrev_b32_e32 v2, 24, v2
	s_delay_alu instid0(VALU_DEP_1)
	v_and_or_b32 v5, 0x80, v2, v3
.LBB6_1738:
	s_or_b32 exec_lo, exec_lo, s8
.LBB6_1739:
	s_delay_alu instid0(SALU_CYCLE_1)
	s_or_b32 exec_lo, exec_lo, s6
	s_mov_b32 s6, 0
	global_store_b8 v[10:11], v5, off
.LBB6_1740:
	s_and_b32 vcc_lo, exec_lo, s6
	s_cbranch_vccz .LBB6_1750
; %bb.1741:
	s_wait_xcnt 0x0
	v_cvt_f32_f64_e32 v2, v[0:1]
	s_mov_b32 s6, exec_lo
                                        ; implicit-def: $vgpr3
	s_delay_alu instid0(VALU_DEP_1) | instskip(NEXT) | instid1(VALU_DEP_1)
	v_and_b32_e32 v5, 0x7fffffff, v2
	v_cmpx_gt_u32_e32 0x43f00000, v5
	s_xor_b32 s6, exec_lo, s6
	s_cbranch_execz .LBB6_1747
; %bb.1742:
	s_mov_b32 s7, exec_lo
                                        ; implicit-def: $vgpr3
	v_cmpx_lt_u32_e32 0x3c7fffff, v5
	s_xor_b32 s7, exec_lo, s7
; %bb.1743:
	v_bfe_u32 v3, v2, 20, 1
	s_delay_alu instid0(VALU_DEP_1) | instskip(NEXT) | instid1(VALU_DEP_1)
	v_add3_u32 v3, v2, v3, 0x407ffff
	v_and_b32_e32 v5, 0xff00000, v3
	v_lshrrev_b32_e32 v3, 20, v3
	s_delay_alu instid0(VALU_DEP_2) | instskip(NEXT) | instid1(VALU_DEP_2)
	v_cmp_ne_u32_e32 vcc_lo, 0x7f00000, v5
	v_cndmask_b32_e32 v3, 0x7e, v3, vcc_lo
; %bb.1744:
	s_and_not1_saveexec_b32 s7, s7
; %bb.1745:
	v_add_f32_e64 v3, 0x46800000, |v2|
; %bb.1746:
	s_or_b32 exec_lo, exec_lo, s7
                                        ; implicit-def: $vgpr5
.LBB6_1747:
	s_and_not1_saveexec_b32 s6, s6
; %bb.1748:
	v_mov_b32_e32 v3, 0x7f
	v_cmp_lt_u32_e32 vcc_lo, 0x7f800000, v5
	s_delay_alu instid0(VALU_DEP_2)
	v_cndmask_b32_e32 v3, 0x7e, v3, vcc_lo
; %bb.1749:
	s_or_b32 exec_lo, exec_lo, s6
	v_lshrrev_b32_e32 v2, 24, v2
	s_delay_alu instid0(VALU_DEP_1)
	v_and_or_b32 v2, 0x80, v2, v3
	global_store_b8 v[10:11], v2, off
.LBB6_1750:
	s_mov_b32 s6, 0
.LBB6_1751:
	s_delay_alu instid0(SALU_CYCLE_1)
	s_and_not1_b32 vcc_lo, exec_lo, s6
	s_cbranch_vccnz .LBB6_1761
; %bb.1752:
	s_wait_xcnt 0x0
	v_cvt_f32_f64_e32 v2, v[0:1]
	s_mov_b32 s6, exec_lo
                                        ; implicit-def: $vgpr3
	s_delay_alu instid0(VALU_DEP_1) | instskip(NEXT) | instid1(VALU_DEP_1)
	v_and_b32_e32 v5, 0x7fffffff, v2
	v_cmpx_gt_u32_e32 0x47800000, v5
	s_xor_b32 s6, exec_lo, s6
	s_cbranch_execz .LBB6_1758
; %bb.1753:
	s_mov_b32 s7, exec_lo
                                        ; implicit-def: $vgpr3
	v_cmpx_lt_u32_e32 0x387fffff, v5
	s_xor_b32 s7, exec_lo, s7
; %bb.1754:
	v_bfe_u32 v3, v2, 21, 1
	s_delay_alu instid0(VALU_DEP_1) | instskip(NEXT) | instid1(VALU_DEP_1)
	v_add3_u32 v3, v2, v3, 0x80fffff
	v_lshrrev_b32_e32 v3, 21, v3
; %bb.1755:
	s_and_not1_saveexec_b32 s7, s7
; %bb.1756:
	v_add_f32_e64 v3, 0x43000000, |v2|
; %bb.1757:
	s_or_b32 exec_lo, exec_lo, s7
                                        ; implicit-def: $vgpr5
.LBB6_1758:
	s_and_not1_saveexec_b32 s6, s6
; %bb.1759:
	v_mov_b32_e32 v3, 0x7f
	v_cmp_lt_u32_e32 vcc_lo, 0x7f800000, v5
	s_delay_alu instid0(VALU_DEP_2)
	v_cndmask_b32_e32 v3, 0x7c, v3, vcc_lo
; %bb.1760:
	s_or_b32 exec_lo, exec_lo, s6
	v_lshrrev_b32_e32 v2, 24, v2
	s_delay_alu instid0(VALU_DEP_1)
	v_and_or_b32 v2, 0x80, v2, v3
	global_store_b8 v[10:11], v2, off
.LBB6_1761:
	s_mov_b32 s6, 0
	s_mov_b32 s7, -1
.LBB6_1762:
	s_and_not1_b32 vcc_lo, exec_lo, s6
	s_mov_b32 s6, 0
	s_cbranch_vccnz .LBB6_1769
; %bb.1763:
	s_cmp_gt_i32 s3, 14
	s_mov_b32 s6, -1
	s_cbranch_scc0 .LBB6_1767
; %bb.1764:
	s_cmp_eq_u32 s3, 15
	s_mov_b32 s0, -1
	s_cbranch_scc0 .LBB6_1766
; %bb.1765:
	s_wait_xcnt 0x0
	v_cvt_f32_f64_e32 v2, v[0:1]
	s_mov_b32 s0, 0
	s_mov_b32 s7, -1
	s_delay_alu instid0(VALU_DEP_1) | instskip(SKIP_1) | instid1(VALU_DEP_2)
	v_bfe_u32 v3, v2, 16, 1
	v_cmp_o_f32_e32 vcc_lo, v2, v2
	v_add3_u32 v3, v2, v3, 0x7fff
	s_delay_alu instid0(VALU_DEP_1) | instskip(NEXT) | instid1(VALU_DEP_1)
	v_lshrrev_b32_e32 v3, 16, v3
	v_cndmask_b32_e32 v2, 0x7fc0, v3, vcc_lo
	global_store_b16 v[10:11], v2, off
.LBB6_1766:
	s_mov_b32 s6, 0
.LBB6_1767:
	s_delay_alu instid0(SALU_CYCLE_1)
	s_and_b32 vcc_lo, exec_lo, s6
	s_mov_b32 s6, 0
	s_cbranch_vccz .LBB6_1769
; %bb.1768:
	s_cmp_lg_u32 s3, 11
	s_mov_b32 s6, -1
	s_cselect_b32 s0, -1, 0
.LBB6_1769:
	s_delay_alu instid0(SALU_CYCLE_1)
	s_and_b32 vcc_lo, exec_lo, s0
	s_cbranch_vccnz .LBB6_2060
; %bb.1770:
	s_and_not1_b32 vcc_lo, exec_lo, s6
	s_cbranch_vccnz .LBB6_1772
.LBB6_1771:
	v_cmp_neq_f64_e32 vcc_lo, 0, v[0:1]
	s_mov_b32 s7, -1
	s_wait_xcnt 0x0
	v_cndmask_b32_e64 v2, 0, 1, vcc_lo
	global_store_b8 v[10:11], v2, off
.LBB6_1772:
.LBB6_1773:
	s_and_not1_b32 vcc_lo, exec_lo, s7
	s_cbranch_vccz .LBB6_1813
	s_branch .LBB6_2007
.LBB6_1774:
	s_and_b32 vcc_lo, exec_lo, s0
	s_cbranch_vccz .LBB6_1773
; %bb.1775:
	s_and_b32 s0, 0xffff, s12
	s_mov_b32 s3, -1
	s_cmp_lt_i32 s0, 5
	s_cbranch_scc1 .LBB6_1796
; %bb.1776:
	s_cmp_lt_i32 s0, 8
	s_cbranch_scc1 .LBB6_1786
; %bb.1777:
	;; [unrolled: 3-line block ×3, first 2 shown]
	s_cmp_gt_i32 s0, 9
	s_cbranch_scc0 .LBB6_1780
; %bb.1779:
	s_wait_xcnt 0x0
	v_mov_b64_e32 v[2:3], 0
	s_mov_b32 s3, 0
	global_store_b128 v[10:11], v[0:3], off
.LBB6_1780:
	s_and_not1_b32 vcc_lo, exec_lo, s3
	s_cbranch_vccnz .LBB6_1782
; %bb.1781:
	s_wait_xcnt 0x0
	v_cvt_f32_f64_e32 v2, v[0:1]
	v_mov_b32_e32 v3, 0
	global_store_b64 v[10:11], v[2:3], off
.LBB6_1782:
	s_mov_b32 s3, 0
.LBB6_1783:
	s_delay_alu instid0(SALU_CYCLE_1)
	s_and_not1_b32 vcc_lo, exec_lo, s3
	s_cbranch_vccnz .LBB6_1785
; %bb.1784:
	s_wait_xcnt 0x0
	v_and_or_b32 v2, 0x1ff, v1, v0
	v_lshrrev_b32_e32 v3, 8, v1
	v_bfe_u32 v5, v1, 20, 11
	s_delay_alu instid0(VALU_DEP_3) | instskip(NEXT) | instid1(VALU_DEP_2)
	v_cmp_ne_u32_e32 vcc_lo, 0, v2
	v_sub_nc_u32_e32 v12, 0x3f1, v5
	v_add_nc_u32_e32 v5, 0xfffffc10, v5
	v_cndmask_b32_e64 v2, 0, 1, vcc_lo
	s_delay_alu instid0(VALU_DEP_1) | instskip(NEXT) | instid1(VALU_DEP_4)
	v_and_or_b32 v2, 0xffe, v3, v2
	v_med3_i32 v3, v12, 0, 13
	s_delay_alu instid0(VALU_DEP_2) | instskip(NEXT) | instid1(VALU_DEP_1)
	v_or_b32_e32 v12, 0x1000, v2
	v_lshrrev_b32_e32 v13, v3, v12
	s_delay_alu instid0(VALU_DEP_1) | instskip(NEXT) | instid1(VALU_DEP_1)
	v_lshlrev_b32_e32 v3, v3, v13
	v_cmp_ne_u32_e32 vcc_lo, v3, v12
	v_lshl_or_b32 v12, v5, 12, v2
	v_cndmask_b32_e64 v3, 0, 1, vcc_lo
	v_cmp_gt_i32_e32 vcc_lo, 1, v5
	s_delay_alu instid0(VALU_DEP_2) | instskip(NEXT) | instid1(VALU_DEP_1)
	v_or_b32_e32 v3, v13, v3
	v_cndmask_b32_e32 v3, v12, v3, vcc_lo
	s_delay_alu instid0(VALU_DEP_1) | instskip(NEXT) | instid1(VALU_DEP_1)
	v_dual_lshrrev_b32 v3, 2, v3 :: v_dual_bitop2_b32 v12, 7, v3 bitop3:0x40
	v_cmp_lt_i32_e32 vcc_lo, 5, v12
	v_cndmask_b32_e64 v13, 0, 1, vcc_lo
	v_cmp_eq_u32_e32 vcc_lo, 3, v12
	v_cndmask_b32_e64 v12, 0, 1, vcc_lo
	v_cmp_ne_u32_e32 vcc_lo, 0, v2
	s_delay_alu instid0(VALU_DEP_2) | instskip(SKIP_1) | instid1(VALU_DEP_1)
	v_or_b32_e32 v12, v12, v13
	v_mov_b32_e32 v13, 0x7e00
	v_dual_cndmask_b32 v2, 0x7c00, v13 :: v_dual_add_nc_u32 v3, v3, v12
	v_cmp_gt_i32_e32 vcc_lo, 31, v5
	s_delay_alu instid0(VALU_DEP_2) | instskip(SKIP_1) | instid1(VALU_DEP_2)
	v_dual_cndmask_b32 v3, 0x7c00, v3 :: v_dual_lshrrev_b32 v12, 16, v1
	v_cmp_eq_u32_e32 vcc_lo, 0x40f, v5
	v_cndmask_b32_e32 v2, v3, v2, vcc_lo
	s_delay_alu instid0(VALU_DEP_3) | instskip(NEXT) | instid1(VALU_DEP_1)
	v_and_b32_e32 v3, 0x8000, v12
	v_bitop3_b32 v2, v3, 0xffff, v2 bitop3:0xc8
	global_store_b32 v[10:11], v2, off
.LBB6_1785:
	s_mov_b32 s3, 0
.LBB6_1786:
	s_delay_alu instid0(SALU_CYCLE_1)
	s_and_not1_b32 vcc_lo, exec_lo, s3
	s_cbranch_vccnz .LBB6_1795
; %bb.1787:
	s_cmp_lt_i32 s0, 6
	s_mov_b32 s3, -1
	s_cbranch_scc1 .LBB6_1793
; %bb.1788:
	s_cmp_gt_i32 s0, 6
	s_cbranch_scc0 .LBB6_1790
; %bb.1789:
	s_mov_b32 s3, 0
	global_store_b64 v[10:11], v[0:1], off
.LBB6_1790:
	s_and_not1_b32 vcc_lo, exec_lo, s3
	s_cbranch_vccnz .LBB6_1792
; %bb.1791:
	s_wait_xcnt 0x0
	v_cvt_f32_f64_e32 v2, v[0:1]
	global_store_b32 v[10:11], v2, off
.LBB6_1792:
	s_mov_b32 s3, 0
.LBB6_1793:
	s_delay_alu instid0(SALU_CYCLE_1)
	s_and_not1_b32 vcc_lo, exec_lo, s3
	s_cbranch_vccnz .LBB6_1795
; %bb.1794:
	s_wait_xcnt 0x0
	v_and_or_b32 v2, 0x1ff, v1, v0
	v_lshrrev_b32_e32 v3, 8, v1
	v_bfe_u32 v5, v1, 20, 11
	s_delay_alu instid0(VALU_DEP_3) | instskip(NEXT) | instid1(VALU_DEP_2)
	v_cmp_ne_u32_e32 vcc_lo, 0, v2
	v_sub_nc_u32_e32 v12, 0x3f1, v5
	v_add_nc_u32_e32 v5, 0xfffffc10, v5
	v_cndmask_b32_e64 v2, 0, 1, vcc_lo
	s_delay_alu instid0(VALU_DEP_1) | instskip(NEXT) | instid1(VALU_DEP_4)
	v_and_or_b32 v2, 0xffe, v3, v2
	v_med3_i32 v3, v12, 0, 13
	s_delay_alu instid0(VALU_DEP_2) | instskip(NEXT) | instid1(VALU_DEP_1)
	v_or_b32_e32 v12, 0x1000, v2
	v_lshrrev_b32_e32 v13, v3, v12
	s_delay_alu instid0(VALU_DEP_1) | instskip(NEXT) | instid1(VALU_DEP_1)
	v_lshlrev_b32_e32 v3, v3, v13
	v_cmp_ne_u32_e32 vcc_lo, v3, v12
	v_lshl_or_b32 v12, v5, 12, v2
	v_cndmask_b32_e64 v3, 0, 1, vcc_lo
	v_cmp_gt_i32_e32 vcc_lo, 1, v5
	s_delay_alu instid0(VALU_DEP_2) | instskip(NEXT) | instid1(VALU_DEP_1)
	v_or_b32_e32 v3, v13, v3
	v_cndmask_b32_e32 v3, v12, v3, vcc_lo
	s_delay_alu instid0(VALU_DEP_1) | instskip(NEXT) | instid1(VALU_DEP_1)
	v_dual_lshrrev_b32 v3, 2, v3 :: v_dual_bitop2_b32 v12, 7, v3 bitop3:0x40
	v_cmp_lt_i32_e32 vcc_lo, 5, v12
	v_cndmask_b32_e64 v13, 0, 1, vcc_lo
	v_cmp_eq_u32_e32 vcc_lo, 3, v12
	v_cndmask_b32_e64 v12, 0, 1, vcc_lo
	v_cmp_ne_u32_e32 vcc_lo, 0, v2
	s_delay_alu instid0(VALU_DEP_2) | instskip(SKIP_1) | instid1(VALU_DEP_1)
	v_or_b32_e32 v12, v12, v13
	v_mov_b32_e32 v13, 0x7e00
	v_dual_cndmask_b32 v2, 0x7c00, v13 :: v_dual_add_nc_u32 v3, v3, v12
	v_cmp_gt_i32_e32 vcc_lo, 31, v5
	s_delay_alu instid0(VALU_DEP_2) | instskip(SKIP_1) | instid1(VALU_DEP_2)
	v_cndmask_b32_e32 v3, 0x7c00, v3, vcc_lo
	v_cmp_eq_u32_e32 vcc_lo, 0x40f, v5
	v_dual_cndmask_b32 v2, v3, v2 :: v_dual_lshrrev_b32 v3, 16, v1
	s_delay_alu instid0(VALU_DEP_1)
	v_and_or_b32 v2, 0x8000, v3, v2
	global_store_b16 v[10:11], v2, off
.LBB6_1795:
	s_mov_b32 s3, 0
.LBB6_1796:
	s_delay_alu instid0(SALU_CYCLE_1)
	s_and_not1_b32 vcc_lo, exec_lo, s3
	s_cbranch_vccnz .LBB6_1812
; %bb.1797:
	s_cmp_lt_i32 s0, 2
	s_mov_b32 s3, -1
	s_cbranch_scc1 .LBB6_1807
; %bb.1798:
	s_cmp_lt_i32 s0, 3
	s_cbranch_scc1 .LBB6_1804
; %bb.1799:
	s_cmp_gt_i32 s0, 3
	s_cbranch_scc0 .LBB6_1801
; %bb.1800:
	s_wait_xcnt 0x0
	v_trunc_f64_e32 v[2:3], v[0:1]
	s_mov_b32 s3, 0
	s_delay_alu instid0(VALU_DEP_1) | instskip(NEXT) | instid1(VALU_DEP_1)
	v_ldexp_f64 v[12:13], v[2:3], 0xffffffe0
	v_floor_f64_e32 v[12:13], v[12:13]
	s_delay_alu instid0(VALU_DEP_1) | instskip(SKIP_1) | instid1(VALU_DEP_2)
	v_fmamk_f64 v[2:3], v[12:13], 0xc1f00000, v[2:3]
	v_cvt_i32_f64_e32 v13, v[12:13]
	v_cvt_u32_f64_e32 v12, v[2:3]
	global_store_b64 v[10:11], v[12:13], off
.LBB6_1801:
	s_and_not1_b32 vcc_lo, exec_lo, s3
	s_cbranch_vccnz .LBB6_1803
; %bb.1802:
	s_wait_xcnt 0x0
	v_cvt_i32_f64_e32 v2, v[0:1]
	global_store_b32 v[10:11], v2, off
.LBB6_1803:
	s_mov_b32 s3, 0
.LBB6_1804:
	s_delay_alu instid0(SALU_CYCLE_1)
	s_and_not1_b32 vcc_lo, exec_lo, s3
	s_cbranch_vccnz .LBB6_1806
; %bb.1805:
	s_wait_xcnt 0x0
	v_cvt_i32_f64_e32 v2, v[0:1]
	global_store_b16 v[10:11], v2, off
.LBB6_1806:
	s_mov_b32 s3, 0
.LBB6_1807:
	s_delay_alu instid0(SALU_CYCLE_1)
	s_and_not1_b32 vcc_lo, exec_lo, s3
	s_cbranch_vccnz .LBB6_1812
; %bb.1808:
	s_cmp_gt_i32 s0, 0
	s_mov_b32 s0, -1
	s_cbranch_scc0 .LBB6_1810
; %bb.1809:
	s_wait_xcnt 0x0
	v_cvt_i32_f64_e32 v2, v[0:1]
	s_mov_b32 s0, 0
	global_store_b8 v[10:11], v2, off
.LBB6_1810:
	s_and_not1_b32 vcc_lo, exec_lo, s0
	s_cbranch_vccnz .LBB6_1812
; %bb.1811:
	s_wait_xcnt 0x0
	v_trunc_f64_e32 v[0:1], v[0:1]
	s_delay_alu instid0(VALU_DEP_1) | instskip(NEXT) | instid1(VALU_DEP_1)
	v_ldexp_f64 v[2:3], v[0:1], 0xffffffe0
	v_floor_f64_e32 v[2:3], v[2:3]
	s_delay_alu instid0(VALU_DEP_1) | instskip(NEXT) | instid1(VALU_DEP_1)
	v_fmamk_f64 v[0:1], v[2:3], 0xc1f00000, v[0:1]
	v_cvt_u32_f64_e32 v0, v[0:1]
	global_store_b8 v[10:11], v0, off
.LBB6_1812:
.LBB6_1813:
	s_wait_xcnt 0x0
	v_dual_mul_f64 v[0:1], v[16:17], v[16:17] :: v_dual_bitop2_b32 v5, 1, v27 bitop3:0x40
	s_mov_b64 s[6:7], 0x3de5e0b2f9a43bb8
	v_cmp_class_f64_e64 s0, v[6:7], 0x1f8
	s_cmp_lt_i32 s12, 11
	v_add_nc_u32_e32 v4, s2, v4
	v_cmp_eq_u32_e32 vcc_lo, 0, v5
	s_delay_alu instid0(VALU_DEP_2) | instskip(SKIP_4) | instid1(VALU_DEP_3)
	v_dual_mul_f64 v[14:15], 0.5, v[18:19] :: v_dual_ashrrev_i32 v5, 31, v4
	v_mul_f64_e32 v[2:3], 0.5, v[0:1]
	v_mul_f64_e64 v[24:25], v[16:17], -v[0:1]
	v_fmaak_f64 v[30:31], s[6:7], v[0:1], 0xbe5ae600b42fdfa7
	s_mov_b64 s[6:7], 0xbda907db46cc5e42
	v_add_f64_e64 v[10:11], -v[2:3], 1.0
	s_delay_alu instid0(VALU_DEP_1) | instskip(NEXT) | instid1(VALU_DEP_1)
	v_add_f64_e64 v[12:13], -v[10:11], 1.0
	v_add_f64_e64 v[2:3], v[12:13], -v[2:3]
	s_delay_alu instid0(VALU_DEP_4) | instskip(SKIP_1) | instid1(VALU_DEP_2)
	v_fmaak_f64 v[12:13], v[0:1], v[30:31], 0x3ec71de3796cde01
	v_mul_f64_e32 v[30:31], v[0:1], v[0:1]
	v_fmaak_f64 v[12:13], v[0:1], v[12:13], 0xbf2a01a019e83e5c
	s_delay_alu instid0(VALU_DEP_1) | instskip(NEXT) | instid1(VALU_DEP_1)
	v_fmaak_f64 v[12:13], v[0:1], v[12:13], 0x3f81111111110bb3
	v_fmac_f64_e32 v[14:15], v[24:25], v[12:13]
	v_fmaak_f64 v[12:13], s[6:7], v[0:1], 0x3e21eeb69037ab78
	s_mov_b32 s7, 0
	s_delay_alu instid0(VALU_DEP_1) | instskip(SKIP_1) | instid1(VALU_DEP_2)
	v_fmaak_f64 v[12:13], v[0:1], v[12:13], 0xbe927e4fa17f65f6
	v_fma_f64 v[2:3], v[16:17], -v[18:19], v[2:3]
	v_fmaak_f64 v[12:13], v[0:1], v[12:13], 0x3efa01a019f4ec90
	s_delay_alu instid0(VALU_DEP_1) | instskip(SKIP_1) | instid1(VALU_DEP_2)
	v_fmaak_f64 v[12:13], v[0:1], v[12:13], 0xbf56c16c16c16967
	v_fma_f64 v[14:15], v[0:1], v[14:15], -v[18:19]
	v_fmaak_f64 v[0:1], v[0:1], v[12:13], 0x3fa5555555555555
	s_delay_alu instid0(VALU_DEP_1) | instskip(NEXT) | instid1(VALU_DEP_3)
	v_fmac_f64_e32 v[2:3], v[30:31], v[0:1]
	v_fmamk_f64 v[0:1], v[24:25], 0xbfc5555555555555, v[14:15]
	s_delay_alu instid0(VALU_DEP_1) | instskip(NEXT) | instid1(VALU_DEP_3)
	v_add_f64_e64 v[0:1], v[16:17], -v[0:1]
	v_add_f64_e32 v[2:3], v[10:11], v[2:3]
	s_delay_alu instid0(VALU_DEP_1) | instskip(NEXT) | instid1(VALU_DEP_1)
	v_dual_cndmask_b32 v0, v2, v0, vcc_lo :: v_dual_lshlrev_b32 v2, 30, v27
	v_dual_cndmask_b32 v0, 0, v0, s0 :: v_dual_cndmask_b32 v1, v3, v1, vcc_lo
	s_delay_alu instid0(VALU_DEP_2) | instskip(SKIP_1) | instid1(VALU_DEP_2)
	v_xor_b32_e32 v2, v2, v7
	v_add_nc_u64_e32 v[6:7], s[4:5], v[4:5]
	v_bitop3_b32 v1, v1, v2, 0x80000000 bitop3:0x78
	s_delay_alu instid0(VALU_DEP_1)
	v_cndmask_b32_e64 v1, 0x7ff80000, v1, s0
	s_mov_b32 s0, -1
	s_cbranch_scc1 .LBB6_1968
; %bb.1814:
	s_and_b32 s3, 0xffff, s12
	s_mov_b32 s8, -1
	s_mov_b32 s6, 0
	s_cmp_gt_i32 s3, 25
	s_mov_b32 s0, 0
	s_cbranch_scc0 .LBB6_1847
; %bb.1815:
	s_cmp_gt_i32 s3, 28
	s_cbranch_scc0 .LBB6_1830
; %bb.1816:
	s_cmp_gt_i32 s3, 43
	;; [unrolled: 3-line block ×3, first 2 shown]
	s_cbranch_scc0 .LBB6_1820
; %bb.1818:
	s_mov_b32 s0, -1
	s_mov_b32 s8, 0
	s_cmp_eq_u32 s3, 46
	s_cbranch_scc0 .LBB6_1820
; %bb.1819:
	v_cvt_f32_f64_e32 v2, v[0:1]
	s_mov_b32 s0, 0
	s_mov_b32 s7, -1
	s_delay_alu instid0(VALU_DEP_1) | instskip(SKIP_1) | instid1(VALU_DEP_2)
	v_bfe_u32 v3, v2, 16, 1
	v_cmp_o_f32_e32 vcc_lo, v2, v2
	v_add3_u32 v3, v2, v3, 0x7fff
	s_delay_alu instid0(VALU_DEP_1) | instskip(NEXT) | instid1(VALU_DEP_1)
	v_lshrrev_b32_e32 v3, 16, v3
	v_cndmask_b32_e32 v2, 0x7fc0, v3, vcc_lo
	global_store_b32 v[6:7], v2, off
.LBB6_1820:
	s_and_b32 vcc_lo, exec_lo, s8
	s_cbranch_vccz .LBB6_1825
; %bb.1821:
	s_cmp_eq_u32 s3, 44
	s_mov_b32 s0, -1
	s_cbranch_scc0 .LBB6_1825
; %bb.1822:
	s_wait_xcnt 0x0
	v_cvt_f32_f64_e32 v2, v[0:1]
	v_mov_b32_e32 v3, 0xff
	s_mov_b32 s7, exec_lo
	s_delay_alu instid0(VALU_DEP_2) | instskip(NEXT) | instid1(VALU_DEP_1)
	v_bfe_u32 v5, v2, 23, 8
	v_cmpx_ne_u32_e32 0xff, v5
	s_cbranch_execz .LBB6_1824
; %bb.1823:
	v_and_b32_e32 v3, 0x400000, v2
	v_and_or_b32 v5, 0x3fffff, v2, v5
	v_lshrrev_b32_e32 v2, 23, v2
	s_delay_alu instid0(VALU_DEP_3) | instskip(NEXT) | instid1(VALU_DEP_3)
	v_cmp_ne_u32_e32 vcc_lo, 0, v3
	v_cmp_ne_u32_e64 s0, 0, v5
	s_and_b32 s0, vcc_lo, s0
	s_delay_alu instid0(SALU_CYCLE_1) | instskip(NEXT) | instid1(VALU_DEP_1)
	v_cndmask_b32_e64 v3, 0, 1, s0
	v_add_nc_u32_e32 v3, v2, v3
.LBB6_1824:
	s_or_b32 exec_lo, exec_lo, s7
	s_mov_b32 s0, 0
	s_mov_b32 s7, -1
	global_store_b8 v[6:7], v3, off
.LBB6_1825:
	s_mov_b32 s8, 0
.LBB6_1826:
	s_delay_alu instid0(SALU_CYCLE_1)
	s_and_b32 vcc_lo, exec_lo, s8
	s_cbranch_vccz .LBB6_1829
; %bb.1827:
	s_cmp_eq_u32 s3, 29
	s_mov_b32 s0, -1
	s_cbranch_scc0 .LBB6_1829
; %bb.1828:
	s_wait_xcnt 0x0
	v_trunc_f64_e32 v[2:3], v[0:1]
	s_mov_b32 s0, 0
	s_mov_b32 s7, -1
	s_delay_alu instid0(VALU_DEP_1) | instskip(NEXT) | instid1(VALU_DEP_1)
	v_ldexp_f64 v[10:11], v[2:3], 0xffffffe0
	v_floor_f64_e32 v[10:11], v[10:11]
	s_delay_alu instid0(VALU_DEP_1) | instskip(SKIP_1) | instid1(VALU_DEP_2)
	v_fmamk_f64 v[2:3], v[10:11], 0xc1f00000, v[2:3]
	v_cvt_u32_f64_e32 v11, v[10:11]
	v_cvt_u32_f64_e32 v10, v[2:3]
	global_store_b64 v[6:7], v[10:11], off
.LBB6_1829:
	s_mov_b32 s8, 0
.LBB6_1830:
	s_delay_alu instid0(SALU_CYCLE_1)
	s_and_b32 vcc_lo, exec_lo, s8
	s_cbranch_vccz .LBB6_1846
; %bb.1831:
	s_cmp_lt_i32 s3, 27
	s_mov_b32 s7, -1
	s_cbranch_scc1 .LBB6_1837
; %bb.1832:
	s_wait_xcnt 0x0
	v_cvt_u32_f64_e32 v2, v[0:1]
	s_cmp_gt_i32 s3, 27
	s_cbranch_scc0 .LBB6_1834
; %bb.1833:
	s_mov_b32 s7, 0
	global_store_b32 v[6:7], v2, off
.LBB6_1834:
	s_and_not1_b32 vcc_lo, exec_lo, s7
	s_cbranch_vccnz .LBB6_1836
; %bb.1835:
	global_store_b16 v[6:7], v2, off
.LBB6_1836:
	s_mov_b32 s7, 0
.LBB6_1837:
	s_delay_alu instid0(SALU_CYCLE_1)
	s_and_not1_b32 vcc_lo, exec_lo, s7
	s_cbranch_vccnz .LBB6_1845
; %bb.1838:
	s_wait_xcnt 0x0
	v_cvt_f32_f64_e32 v2, v[0:1]
	v_mov_b32_e32 v5, 0x80
	s_mov_b32 s7, exec_lo
	s_delay_alu instid0(VALU_DEP_2) | instskip(NEXT) | instid1(VALU_DEP_1)
	v_and_b32_e32 v3, 0x7fffffff, v2
	v_cmpx_gt_u32_e32 0x43800000, v3
	s_cbranch_execz .LBB6_1844
; %bb.1839:
	v_cmp_lt_u32_e32 vcc_lo, 0x3bffffff, v3
	s_mov_b32 s8, 0
                                        ; implicit-def: $vgpr3
	s_and_saveexec_b32 s9, vcc_lo
	s_delay_alu instid0(SALU_CYCLE_1)
	s_xor_b32 s9, exec_lo, s9
	s_cbranch_execz .LBB6_2063
; %bb.1840:
	v_bfe_u32 v3, v2, 20, 1
	s_mov_b32 s8, exec_lo
	s_delay_alu instid0(VALU_DEP_1) | instskip(NEXT) | instid1(VALU_DEP_1)
	v_add3_u32 v3, v2, v3, 0x487ffff
	v_lshrrev_b32_e32 v3, 20, v3
	s_and_not1_saveexec_b32 s9, s9
	s_cbranch_execnz .LBB6_2064
.LBB6_1841:
	s_or_b32 exec_lo, exec_lo, s9
	v_mov_b32_e32 v5, 0
	s_and_saveexec_b32 s9, s8
.LBB6_1842:
	v_lshrrev_b32_e32 v2, 24, v2
	s_delay_alu instid0(VALU_DEP_1)
	v_and_or_b32 v5, 0x80, v2, v3
.LBB6_1843:
	s_or_b32 exec_lo, exec_lo, s9
.LBB6_1844:
	s_delay_alu instid0(SALU_CYCLE_1)
	s_or_b32 exec_lo, exec_lo, s7
	global_store_b8 v[6:7], v5, off
.LBB6_1845:
	s_mov_b32 s7, -1
.LBB6_1846:
	s_mov_b32 s8, 0
.LBB6_1847:
	s_delay_alu instid0(SALU_CYCLE_1)
	s_and_b32 vcc_lo, exec_lo, s8
	s_cbranch_vccz .LBB6_1887
; %bb.1848:
	s_cmp_gt_i32 s3, 22
	s_mov_b32 s6, -1
	s_cbranch_scc0 .LBB6_1880
; %bb.1849:
	s_cmp_lt_i32 s3, 24
	s_cbranch_scc1 .LBB6_1869
; %bb.1850:
	s_cmp_gt_i32 s3, 24
	s_cbranch_scc0 .LBB6_1858
; %bb.1851:
	s_wait_xcnt 0x0
	v_cvt_f32_f64_e32 v2, v[0:1]
	v_mov_b32_e32 v5, 0x80
	s_mov_b32 s6, exec_lo
	s_delay_alu instid0(VALU_DEP_2) | instskip(NEXT) | instid1(VALU_DEP_1)
	v_and_b32_e32 v3, 0x7fffffff, v2
	v_cmpx_gt_u32_e32 0x47800000, v3
	s_cbranch_execz .LBB6_1857
; %bb.1852:
	v_cmp_lt_u32_e32 vcc_lo, 0x37ffffff, v3
	s_mov_b32 s7, 0
                                        ; implicit-def: $vgpr3
	s_and_saveexec_b32 s8, vcc_lo
	s_delay_alu instid0(SALU_CYCLE_1)
	s_xor_b32 s8, exec_lo, s8
	s_cbranch_execz .LBB6_2066
; %bb.1853:
	v_bfe_u32 v3, v2, 21, 1
	s_mov_b32 s7, exec_lo
	s_delay_alu instid0(VALU_DEP_1) | instskip(NEXT) | instid1(VALU_DEP_1)
	v_add3_u32 v3, v2, v3, 0x88fffff
	v_lshrrev_b32_e32 v3, 21, v3
	s_and_not1_saveexec_b32 s8, s8
	s_cbranch_execnz .LBB6_2067
.LBB6_1854:
	s_or_b32 exec_lo, exec_lo, s8
	v_mov_b32_e32 v5, 0
	s_and_saveexec_b32 s8, s7
.LBB6_1855:
	v_lshrrev_b32_e32 v2, 24, v2
	s_delay_alu instid0(VALU_DEP_1)
	v_and_or_b32 v5, 0x80, v2, v3
.LBB6_1856:
	s_or_b32 exec_lo, exec_lo, s8
.LBB6_1857:
	s_delay_alu instid0(SALU_CYCLE_1)
	s_or_b32 exec_lo, exec_lo, s6
	s_mov_b32 s6, 0
	global_store_b8 v[6:7], v5, off
.LBB6_1858:
	s_and_b32 vcc_lo, exec_lo, s6
	s_cbranch_vccz .LBB6_1868
; %bb.1859:
	s_wait_xcnt 0x0
	v_cvt_f32_f64_e32 v2, v[0:1]
	s_mov_b32 s6, exec_lo
                                        ; implicit-def: $vgpr3
	s_delay_alu instid0(VALU_DEP_1) | instskip(NEXT) | instid1(VALU_DEP_1)
	v_and_b32_e32 v5, 0x7fffffff, v2
	v_cmpx_gt_u32_e32 0x43f00000, v5
	s_xor_b32 s6, exec_lo, s6
	s_cbranch_execz .LBB6_1865
; %bb.1860:
	s_mov_b32 s7, exec_lo
                                        ; implicit-def: $vgpr3
	v_cmpx_lt_u32_e32 0x3c7fffff, v5
	s_xor_b32 s7, exec_lo, s7
; %bb.1861:
	v_bfe_u32 v3, v2, 20, 1
	s_delay_alu instid0(VALU_DEP_1) | instskip(NEXT) | instid1(VALU_DEP_1)
	v_add3_u32 v3, v2, v3, 0x407ffff
	v_and_b32_e32 v5, 0xff00000, v3
	v_lshrrev_b32_e32 v3, 20, v3
	s_delay_alu instid0(VALU_DEP_2) | instskip(NEXT) | instid1(VALU_DEP_2)
	v_cmp_ne_u32_e32 vcc_lo, 0x7f00000, v5
	v_cndmask_b32_e32 v3, 0x7e, v3, vcc_lo
; %bb.1862:
	s_and_not1_saveexec_b32 s7, s7
; %bb.1863:
	v_add_f32_e64 v3, 0x46800000, |v2|
; %bb.1864:
	s_or_b32 exec_lo, exec_lo, s7
                                        ; implicit-def: $vgpr5
.LBB6_1865:
	s_and_not1_saveexec_b32 s6, s6
; %bb.1866:
	v_mov_b32_e32 v3, 0x7f
	v_cmp_lt_u32_e32 vcc_lo, 0x7f800000, v5
	s_delay_alu instid0(VALU_DEP_2)
	v_cndmask_b32_e32 v3, 0x7e, v3, vcc_lo
; %bb.1867:
	s_or_b32 exec_lo, exec_lo, s6
	v_lshrrev_b32_e32 v2, 24, v2
	s_delay_alu instid0(VALU_DEP_1)
	v_and_or_b32 v2, 0x80, v2, v3
	global_store_b8 v[6:7], v2, off
.LBB6_1868:
	s_mov_b32 s6, 0
.LBB6_1869:
	s_delay_alu instid0(SALU_CYCLE_1)
	s_and_not1_b32 vcc_lo, exec_lo, s6
	s_cbranch_vccnz .LBB6_1879
; %bb.1870:
	s_wait_xcnt 0x0
	v_cvt_f32_f64_e32 v2, v[0:1]
	s_mov_b32 s6, exec_lo
                                        ; implicit-def: $vgpr3
	s_delay_alu instid0(VALU_DEP_1) | instskip(NEXT) | instid1(VALU_DEP_1)
	v_and_b32_e32 v5, 0x7fffffff, v2
	v_cmpx_gt_u32_e32 0x47800000, v5
	s_xor_b32 s6, exec_lo, s6
	s_cbranch_execz .LBB6_1876
; %bb.1871:
	s_mov_b32 s7, exec_lo
                                        ; implicit-def: $vgpr3
	v_cmpx_lt_u32_e32 0x387fffff, v5
	s_xor_b32 s7, exec_lo, s7
; %bb.1872:
	v_bfe_u32 v3, v2, 21, 1
	s_delay_alu instid0(VALU_DEP_1) | instskip(NEXT) | instid1(VALU_DEP_1)
	v_add3_u32 v3, v2, v3, 0x80fffff
	v_lshrrev_b32_e32 v3, 21, v3
; %bb.1873:
	s_and_not1_saveexec_b32 s7, s7
; %bb.1874:
	v_add_f32_e64 v3, 0x43000000, |v2|
; %bb.1875:
	s_or_b32 exec_lo, exec_lo, s7
                                        ; implicit-def: $vgpr5
.LBB6_1876:
	s_and_not1_saveexec_b32 s6, s6
; %bb.1877:
	v_mov_b32_e32 v3, 0x7f
	v_cmp_lt_u32_e32 vcc_lo, 0x7f800000, v5
	s_delay_alu instid0(VALU_DEP_2)
	v_cndmask_b32_e32 v3, 0x7c, v3, vcc_lo
; %bb.1878:
	s_or_b32 exec_lo, exec_lo, s6
	v_lshrrev_b32_e32 v2, 24, v2
	s_delay_alu instid0(VALU_DEP_1)
	v_and_or_b32 v2, 0x80, v2, v3
	global_store_b8 v[6:7], v2, off
.LBB6_1879:
	s_mov_b32 s6, 0
	s_mov_b32 s7, -1
.LBB6_1880:
	s_and_not1_b32 vcc_lo, exec_lo, s6
	s_mov_b32 s6, 0
	s_cbranch_vccnz .LBB6_1887
; %bb.1881:
	s_cmp_gt_i32 s3, 14
	s_mov_b32 s6, -1
	s_cbranch_scc0 .LBB6_1885
; %bb.1882:
	s_cmp_eq_u32 s3, 15
	s_mov_b32 s0, -1
	s_cbranch_scc0 .LBB6_1884
; %bb.1883:
	s_wait_xcnt 0x0
	v_cvt_f32_f64_e32 v2, v[0:1]
	s_mov_b32 s0, 0
	s_mov_b32 s7, -1
	s_delay_alu instid0(VALU_DEP_1) | instskip(SKIP_1) | instid1(VALU_DEP_2)
	v_bfe_u32 v3, v2, 16, 1
	v_cmp_o_f32_e32 vcc_lo, v2, v2
	v_add3_u32 v3, v2, v3, 0x7fff
	s_delay_alu instid0(VALU_DEP_1) | instskip(NEXT) | instid1(VALU_DEP_1)
	v_lshrrev_b32_e32 v3, 16, v3
	v_cndmask_b32_e32 v2, 0x7fc0, v3, vcc_lo
	global_store_b16 v[6:7], v2, off
.LBB6_1884:
	s_mov_b32 s6, 0
.LBB6_1885:
	s_delay_alu instid0(SALU_CYCLE_1)
	s_and_b32 vcc_lo, exec_lo, s6
	s_mov_b32 s6, 0
	s_cbranch_vccz .LBB6_1887
; %bb.1886:
	s_cmp_lg_u32 s3, 11
	s_mov_b32 s6, -1
	s_cselect_b32 s0, -1, 0
.LBB6_1887:
	s_delay_alu instid0(SALU_CYCLE_1)
	s_and_b32 vcc_lo, exec_lo, s0
	s_cbranch_vccnz .LBB6_2065
; %bb.1888:
	s_and_not1_b32 vcc_lo, exec_lo, s6
	s_cbranch_vccnz .LBB6_1890
.LBB6_1889:
	v_cmp_neq_f64_e32 vcc_lo, 0, v[0:1]
	s_mov_b32 s7, -1
	s_wait_xcnt 0x0
	v_cndmask_b32_e64 v2, 0, 1, vcc_lo
	global_store_b8 v[6:7], v2, off
.LBB6_1890:
.LBB6_1891:
	s_and_not1_b32 vcc_lo, exec_lo, s7
	s_cbranch_vccnz .LBB6_2007
.LBB6_1892:
	s_wait_xcnt 0x0
	v_mul_f64_e32 v[0:1], v[20:21], v[20:21]
	v_dual_mul_f64 v[12:13], 0.5, v[22:23] :: v_dual_bitop2_b32 v5, 1, v28 bitop3:0x40
	v_cmp_class_f64_e64 s0, v[8:9], 0x1f8
	s_mov_b64 s[6:7], 0x3de5e0b2f9a43bb8
	s_mov_b32 s3, 0
	s_cmp_lt_i32 s12, 11
	v_cmp_eq_u32_e32 vcc_lo, 0, v5
	v_lshlrev_b32_e32 v5, 30, v28
	v_mul_f64_e32 v[2:3], 0.5, v[0:1]
	v_mul_f64_e64 v[14:15], v[20:21], -v[0:1]
	v_fmaak_f64 v[16:17], s[6:7], v[0:1], 0xbe5ae600b42fdfa7
	s_mov_b64 s[6:7], 0xbda907db46cc5e42
	s_delay_alu instid0(VALU_DEP_3) | instskip(NEXT) | instid1(VALU_DEP_1)
	v_add_f64_e64 v[6:7], -v[2:3], 1.0
	v_add_f64_e64 v[10:11], -v[6:7], 1.0
	s_delay_alu instid0(VALU_DEP_1) | instskip(NEXT) | instid1(VALU_DEP_4)
	v_add_f64_e64 v[2:3], v[10:11], -v[2:3]
	v_fmaak_f64 v[10:11], v[0:1], v[16:17], 0x3ec71de3796cde01
	v_mul_f64_e32 v[16:17], v[0:1], v[0:1]
	s_delay_alu instid0(VALU_DEP_2) | instskip(NEXT) | instid1(VALU_DEP_1)
	v_fmaak_f64 v[10:11], v[0:1], v[10:11], 0xbf2a01a019e83e5c
	v_fmaak_f64 v[10:11], v[0:1], v[10:11], 0x3f81111111110bb3
	s_delay_alu instid0(VALU_DEP_1) | instskip(SKIP_1) | instid1(VALU_DEP_1)
	v_fmac_f64_e32 v[12:13], v[14:15], v[10:11]
	v_fmaak_f64 v[10:11], s[6:7], v[0:1], 0x3e21eeb69037ab78
	v_fmaak_f64 v[10:11], v[0:1], v[10:11], 0xbe927e4fa17f65f6
	v_fma_f64 v[2:3], v[20:21], -v[22:23], v[2:3]
	s_delay_alu instid0(VALU_DEP_2) | instskip(NEXT) | instid1(VALU_DEP_1)
	v_fmaak_f64 v[10:11], v[0:1], v[10:11], 0x3efa01a019f4ec90
	v_fmaak_f64 v[10:11], v[0:1], v[10:11], 0xbf56c16c16c16967
	v_fma_f64 v[12:13], v[0:1], v[12:13], -v[22:23]
	s_delay_alu instid0(VALU_DEP_2) | instskip(NEXT) | instid1(VALU_DEP_1)
	v_fmaak_f64 v[0:1], v[0:1], v[10:11], 0x3fa5555555555555
	v_fmac_f64_e32 v[2:3], v[16:17], v[0:1]
	s_delay_alu instid0(VALU_DEP_3) | instskip(NEXT) | instid1(VALU_DEP_1)
	v_fmamk_f64 v[0:1], v[14:15], 0xbfc5555555555555, v[12:13]
	v_add_f64_e64 v[0:1], v[20:21], -v[0:1]
	s_delay_alu instid0(VALU_DEP_3) | instskip(NEXT) | instid1(VALU_DEP_1)
	v_add_f64_e32 v[2:3], v[6:7], v[2:3]
	v_cndmask_b32_e32 v2, v2, v0, vcc_lo
	v_dual_add_nc_u32 v0, s2, v4 :: v_dual_bitop2_b32 v4, v5, v9 bitop3:0x14
	s_delay_alu instid0(VALU_DEP_1) | instskip(NEXT) | instid1(VALU_DEP_1)
	v_dual_cndmask_b32 v3, v3, v1, vcc_lo :: v_dual_ashrrev_i32 v1, 31, v0
	v_bitop3_b32 v3, v3, v4, 0x80000000 bitop3:0x78
	s_delay_alu instid0(VALU_DEP_2) | instskip(SKIP_1) | instid1(VALU_DEP_3)
	v_add_nc_u64_e32 v[4:5], s[4:5], v[0:1]
	v_cndmask_b32_e64 v0, 0, v2, s0
	v_cndmask_b32_e64 v1, 0x7ff80000, v3, s0
	s_mov_b32 s0, -1
	s_cbranch_scc1 .LBB6_2008
; %bb.1893:
	s_and_b32 s2, 0xffff, s12
	s_mov_b32 s4, -1
	s_cmp_gt_i32 s2, 25
	s_mov_b32 s0, 0
	s_cbranch_scc0 .LBB6_1926
; %bb.1894:
	s_cmp_gt_i32 s2, 28
	s_cbranch_scc0 .LBB6_1910
; %bb.1895:
	s_cmp_gt_i32 s2, 43
	;; [unrolled: 3-line block ×3, first 2 shown]
	s_cbranch_scc0 .LBB6_1900
; %bb.1897:
	s_cmp_eq_u32 s2, 46
	s_mov_b32 s0, -1
	s_cbranch_scc0 .LBB6_1899
; %bb.1898:
	v_cvt_f32_f64_e32 v2, v[0:1]
	s_mov_b32 s0, 0
	s_delay_alu instid0(VALU_DEP_1) | instskip(SKIP_1) | instid1(VALU_DEP_2)
	v_bfe_u32 v3, v2, 16, 1
	v_cmp_o_f32_e32 vcc_lo, v2, v2
	v_add3_u32 v3, v2, v3, 0x7fff
	s_delay_alu instid0(VALU_DEP_1) | instskip(NEXT) | instid1(VALU_DEP_1)
	v_lshrrev_b32_e32 v3, 16, v3
	v_cndmask_b32_e32 v2, 0x7fc0, v3, vcc_lo
	global_store_b32 v[4:5], v2, off
.LBB6_1899:
	s_mov_b32 s4, 0
.LBB6_1900:
	s_delay_alu instid0(SALU_CYCLE_1)
	s_and_b32 vcc_lo, exec_lo, s4
	s_cbranch_vccz .LBB6_1905
; %bb.1901:
	s_cmp_eq_u32 s2, 44
	s_mov_b32 s0, -1
	s_cbranch_scc0 .LBB6_1905
; %bb.1902:
	s_wait_xcnt 0x0
	v_cvt_f32_f64_e32 v2, v[0:1]
	v_mov_b32_e32 v3, 0xff
	s_mov_b32 s4, exec_lo
	s_delay_alu instid0(VALU_DEP_2) | instskip(NEXT) | instid1(VALU_DEP_1)
	v_bfe_u32 v6, v2, 23, 8
	v_cmpx_ne_u32_e32 0xff, v6
	s_cbranch_execz .LBB6_1904
; %bb.1903:
	v_and_b32_e32 v3, 0x400000, v2
	v_and_or_b32 v6, 0x3fffff, v2, v6
	v_lshrrev_b32_e32 v2, 23, v2
	s_delay_alu instid0(VALU_DEP_3) | instskip(NEXT) | instid1(VALU_DEP_3)
	v_cmp_ne_u32_e32 vcc_lo, 0, v3
	v_cmp_ne_u32_e64 s0, 0, v6
	s_and_b32 s0, vcc_lo, s0
	s_delay_alu instid0(SALU_CYCLE_1) | instskip(NEXT) | instid1(VALU_DEP_1)
	v_cndmask_b32_e64 v3, 0, 1, s0
	v_add_nc_u32_e32 v3, v2, v3
.LBB6_1904:
	s_or_b32 exec_lo, exec_lo, s4
	s_mov_b32 s0, 0
	global_store_b8 v[4:5], v3, off
.LBB6_1905:
	s_mov_b32 s4, 0
.LBB6_1906:
	s_delay_alu instid0(SALU_CYCLE_1)
	s_and_b32 vcc_lo, exec_lo, s4
	s_cbranch_vccz .LBB6_1909
; %bb.1907:
	s_cmp_eq_u32 s2, 29
	s_mov_b32 s0, -1
	s_cbranch_scc0 .LBB6_1909
; %bb.1908:
	s_wait_xcnt 0x0
	v_trunc_f64_e32 v[2:3], v[0:1]
	s_mov_b32 s0, 0
	s_delay_alu instid0(VALU_DEP_1) | instskip(NEXT) | instid1(VALU_DEP_1)
	v_ldexp_f64 v[6:7], v[2:3], 0xffffffe0
	v_floor_f64_e32 v[6:7], v[6:7]
	s_delay_alu instid0(VALU_DEP_1) | instskip(SKIP_1) | instid1(VALU_DEP_2)
	v_fmamk_f64 v[2:3], v[6:7], 0xc1f00000, v[2:3]
	v_cvt_u32_f64_e32 v7, v[6:7]
	v_cvt_u32_f64_e32 v6, v[2:3]
	global_store_b64 v[4:5], v[6:7], off
.LBB6_1909:
	s_mov_b32 s4, 0
.LBB6_1910:
	s_delay_alu instid0(SALU_CYCLE_1)
	s_and_b32 vcc_lo, exec_lo, s4
	s_cbranch_vccz .LBB6_1925
; %bb.1911:
	s_cmp_lt_i32 s2, 27
	s_mov_b32 s4, -1
	s_cbranch_scc1 .LBB6_1917
; %bb.1912:
	s_wait_xcnt 0x0
	v_cvt_u32_f64_e32 v2, v[0:1]
	s_cmp_gt_i32 s2, 27
	s_cbranch_scc0 .LBB6_1914
; %bb.1913:
	s_mov_b32 s4, 0
	global_store_b32 v[4:5], v2, off
.LBB6_1914:
	s_and_not1_b32 vcc_lo, exec_lo, s4
	s_cbranch_vccnz .LBB6_1916
; %bb.1915:
	global_store_b16 v[4:5], v2, off
.LBB6_1916:
	s_mov_b32 s4, 0
.LBB6_1917:
	s_delay_alu instid0(SALU_CYCLE_1)
	s_and_not1_b32 vcc_lo, exec_lo, s4
	s_cbranch_vccnz .LBB6_1925
; %bb.1918:
	s_wait_xcnt 0x0
	v_cvt_f32_f64_e32 v2, v[0:1]
	v_mov_b32_e32 v6, 0x80
	s_mov_b32 s4, exec_lo
	s_delay_alu instid0(VALU_DEP_2) | instskip(NEXT) | instid1(VALU_DEP_1)
	v_and_b32_e32 v3, 0x7fffffff, v2
	v_cmpx_gt_u32_e32 0x43800000, v3
	s_cbranch_execz .LBB6_1924
; %bb.1919:
	v_cmp_lt_u32_e32 vcc_lo, 0x3bffffff, v3
	s_mov_b32 s5, 0
                                        ; implicit-def: $vgpr3
	s_and_saveexec_b32 s6, vcc_lo
	s_delay_alu instid0(SALU_CYCLE_1)
	s_xor_b32 s6, exec_lo, s6
	s_cbranch_execz .LBB6_2068
; %bb.1920:
	v_bfe_u32 v3, v2, 20, 1
	s_mov_b32 s5, exec_lo
	s_delay_alu instid0(VALU_DEP_1) | instskip(NEXT) | instid1(VALU_DEP_1)
	v_add3_u32 v3, v2, v3, 0x487ffff
	v_lshrrev_b32_e32 v3, 20, v3
	s_and_not1_saveexec_b32 s6, s6
	s_cbranch_execnz .LBB6_2069
.LBB6_1921:
	s_or_b32 exec_lo, exec_lo, s6
	v_mov_b32_e32 v6, 0
	s_and_saveexec_b32 s6, s5
.LBB6_1922:
	v_lshrrev_b32_e32 v2, 24, v2
	s_delay_alu instid0(VALU_DEP_1)
	v_and_or_b32 v6, 0x80, v2, v3
.LBB6_1923:
	s_or_b32 exec_lo, exec_lo, s6
.LBB6_1924:
	s_delay_alu instid0(SALU_CYCLE_1)
	s_or_b32 exec_lo, exec_lo, s4
	global_store_b8 v[4:5], v6, off
.LBB6_1925:
	s_mov_b32 s4, 0
.LBB6_1926:
	s_delay_alu instid0(SALU_CYCLE_1)
	s_and_b32 vcc_lo, exec_lo, s4
	s_cbranch_vccz .LBB6_1966
; %bb.1927:
	s_cmp_gt_i32 s2, 22
	s_mov_b32 s3, -1
	s_cbranch_scc0 .LBB6_1959
; %bb.1928:
	s_cmp_lt_i32 s2, 24
	s_cbranch_scc1 .LBB6_1948
; %bb.1929:
	s_cmp_gt_i32 s2, 24
	s_cbranch_scc0 .LBB6_1937
; %bb.1930:
	s_wait_xcnt 0x0
	v_cvt_f32_f64_e32 v2, v[0:1]
	v_mov_b32_e32 v6, 0x80
	s_mov_b32 s3, exec_lo
	s_delay_alu instid0(VALU_DEP_2) | instskip(NEXT) | instid1(VALU_DEP_1)
	v_and_b32_e32 v3, 0x7fffffff, v2
	v_cmpx_gt_u32_e32 0x47800000, v3
	s_cbranch_execz .LBB6_1936
; %bb.1931:
	v_cmp_lt_u32_e32 vcc_lo, 0x37ffffff, v3
	s_mov_b32 s4, 0
                                        ; implicit-def: $vgpr3
	s_and_saveexec_b32 s5, vcc_lo
	s_delay_alu instid0(SALU_CYCLE_1)
	s_xor_b32 s5, exec_lo, s5
	s_cbranch_execz .LBB6_2071
; %bb.1932:
	v_bfe_u32 v3, v2, 21, 1
	s_mov_b32 s4, exec_lo
	s_delay_alu instid0(VALU_DEP_1) | instskip(NEXT) | instid1(VALU_DEP_1)
	v_add3_u32 v3, v2, v3, 0x88fffff
	v_lshrrev_b32_e32 v3, 21, v3
	s_and_not1_saveexec_b32 s5, s5
	s_cbranch_execnz .LBB6_2072
.LBB6_1933:
	s_or_b32 exec_lo, exec_lo, s5
	v_mov_b32_e32 v6, 0
	s_and_saveexec_b32 s5, s4
.LBB6_1934:
	v_lshrrev_b32_e32 v2, 24, v2
	s_delay_alu instid0(VALU_DEP_1)
	v_and_or_b32 v6, 0x80, v2, v3
.LBB6_1935:
	s_or_b32 exec_lo, exec_lo, s5
.LBB6_1936:
	s_delay_alu instid0(SALU_CYCLE_1)
	s_or_b32 exec_lo, exec_lo, s3
	s_mov_b32 s3, 0
	global_store_b8 v[4:5], v6, off
.LBB6_1937:
	s_and_b32 vcc_lo, exec_lo, s3
	s_cbranch_vccz .LBB6_1947
; %bb.1938:
	s_wait_xcnt 0x0
	v_cvt_f32_f64_e32 v2, v[0:1]
	s_mov_b32 s3, exec_lo
                                        ; implicit-def: $vgpr3
	s_delay_alu instid0(VALU_DEP_1) | instskip(NEXT) | instid1(VALU_DEP_1)
	v_and_b32_e32 v6, 0x7fffffff, v2
	v_cmpx_gt_u32_e32 0x43f00000, v6
	s_xor_b32 s3, exec_lo, s3
	s_cbranch_execz .LBB6_1944
; %bb.1939:
	s_mov_b32 s4, exec_lo
                                        ; implicit-def: $vgpr3
	v_cmpx_lt_u32_e32 0x3c7fffff, v6
	s_xor_b32 s4, exec_lo, s4
; %bb.1940:
	v_bfe_u32 v3, v2, 20, 1
	s_delay_alu instid0(VALU_DEP_1) | instskip(NEXT) | instid1(VALU_DEP_1)
	v_add3_u32 v3, v2, v3, 0x407ffff
	v_and_b32_e32 v6, 0xff00000, v3
	v_lshrrev_b32_e32 v3, 20, v3
	s_delay_alu instid0(VALU_DEP_2) | instskip(NEXT) | instid1(VALU_DEP_2)
	v_cmp_ne_u32_e32 vcc_lo, 0x7f00000, v6
	v_cndmask_b32_e32 v3, 0x7e, v3, vcc_lo
; %bb.1941:
	s_and_not1_saveexec_b32 s4, s4
; %bb.1942:
	v_add_f32_e64 v3, 0x46800000, |v2|
; %bb.1943:
	s_or_b32 exec_lo, exec_lo, s4
                                        ; implicit-def: $vgpr6
.LBB6_1944:
	s_and_not1_saveexec_b32 s3, s3
; %bb.1945:
	v_mov_b32_e32 v3, 0x7f
	v_cmp_lt_u32_e32 vcc_lo, 0x7f800000, v6
	s_delay_alu instid0(VALU_DEP_2)
	v_cndmask_b32_e32 v3, 0x7e, v3, vcc_lo
; %bb.1946:
	s_or_b32 exec_lo, exec_lo, s3
	v_lshrrev_b32_e32 v2, 24, v2
	s_delay_alu instid0(VALU_DEP_1)
	v_and_or_b32 v2, 0x80, v2, v3
	global_store_b8 v[4:5], v2, off
.LBB6_1947:
	s_mov_b32 s3, 0
.LBB6_1948:
	s_delay_alu instid0(SALU_CYCLE_1)
	s_and_not1_b32 vcc_lo, exec_lo, s3
	s_cbranch_vccnz .LBB6_1958
; %bb.1949:
	s_wait_xcnt 0x0
	v_cvt_f32_f64_e32 v2, v[0:1]
	s_mov_b32 s3, exec_lo
                                        ; implicit-def: $vgpr3
	s_delay_alu instid0(VALU_DEP_1) | instskip(NEXT) | instid1(VALU_DEP_1)
	v_and_b32_e32 v6, 0x7fffffff, v2
	v_cmpx_gt_u32_e32 0x47800000, v6
	s_xor_b32 s3, exec_lo, s3
	s_cbranch_execz .LBB6_1955
; %bb.1950:
	s_mov_b32 s4, exec_lo
                                        ; implicit-def: $vgpr3
	v_cmpx_lt_u32_e32 0x387fffff, v6
	s_xor_b32 s4, exec_lo, s4
; %bb.1951:
	v_bfe_u32 v3, v2, 21, 1
	s_delay_alu instid0(VALU_DEP_1) | instskip(NEXT) | instid1(VALU_DEP_1)
	v_add3_u32 v3, v2, v3, 0x80fffff
	v_lshrrev_b32_e32 v3, 21, v3
; %bb.1952:
	s_and_not1_saveexec_b32 s4, s4
; %bb.1953:
	v_add_f32_e64 v3, 0x43000000, |v2|
; %bb.1954:
	s_or_b32 exec_lo, exec_lo, s4
                                        ; implicit-def: $vgpr6
.LBB6_1955:
	s_and_not1_saveexec_b32 s3, s3
; %bb.1956:
	v_mov_b32_e32 v3, 0x7f
	v_cmp_lt_u32_e32 vcc_lo, 0x7f800000, v6
	s_delay_alu instid0(VALU_DEP_2)
	v_cndmask_b32_e32 v3, 0x7c, v3, vcc_lo
; %bb.1957:
	s_or_b32 exec_lo, exec_lo, s3
	v_lshrrev_b32_e32 v2, 24, v2
	s_delay_alu instid0(VALU_DEP_1)
	v_and_or_b32 v2, 0x80, v2, v3
	global_store_b8 v[4:5], v2, off
.LBB6_1958:
	s_mov_b32 s3, 0
.LBB6_1959:
	s_delay_alu instid0(SALU_CYCLE_1)
	s_and_not1_b32 vcc_lo, exec_lo, s3
	s_mov_b32 s3, 0
	s_cbranch_vccnz .LBB6_1966
; %bb.1960:
	s_cmp_gt_i32 s2, 14
	s_mov_b32 s3, -1
	s_cbranch_scc0 .LBB6_1964
; %bb.1961:
	s_cmp_eq_u32 s2, 15
	s_mov_b32 s0, -1
	s_cbranch_scc0 .LBB6_1963
; %bb.1962:
	s_wait_xcnt 0x0
	v_cvt_f32_f64_e32 v2, v[0:1]
	s_mov_b32 s0, 0
	s_delay_alu instid0(VALU_DEP_1) | instskip(SKIP_1) | instid1(VALU_DEP_2)
	v_bfe_u32 v3, v2, 16, 1
	v_cmp_o_f32_e32 vcc_lo, v2, v2
	v_add3_u32 v3, v2, v3, 0x7fff
	s_delay_alu instid0(VALU_DEP_1) | instskip(NEXT) | instid1(VALU_DEP_1)
	v_lshrrev_b32_e32 v3, 16, v3
	v_cndmask_b32_e32 v2, 0x7fc0, v3, vcc_lo
	global_store_b16 v[4:5], v2, off
.LBB6_1963:
	s_mov_b32 s3, 0
.LBB6_1964:
	s_delay_alu instid0(SALU_CYCLE_1)
	s_and_b32 vcc_lo, exec_lo, s3
	s_mov_b32 s3, 0
	s_cbranch_vccz .LBB6_1966
; %bb.1965:
	s_cmp_lg_u32 s2, 11
	s_mov_b32 s3, -1
	s_cselect_b32 s0, -1, 0
.LBB6_1966:
	s_delay_alu instid0(SALU_CYCLE_1)
	s_and_b32 vcc_lo, exec_lo, s0
	s_cbranch_vccnz .LBB6_2070
.LBB6_1967:
	s_mov_b32 s0, 0
	s_branch .LBB6_2008
.LBB6_1968:
	s_and_b32 vcc_lo, exec_lo, s0
	s_cbranch_vccz .LBB6_1891
; %bb.1969:
	s_and_b32 s0, 0xffff, s12
	s_mov_b32 s3, -1
	s_cmp_lt_i32 s0, 5
	s_cbranch_scc1 .LBB6_1990
; %bb.1970:
	s_cmp_lt_i32 s0, 8
	s_cbranch_scc1 .LBB6_1980
; %bb.1971:
	;; [unrolled: 3-line block ×3, first 2 shown]
	s_cmp_gt_i32 s0, 9
	s_cbranch_scc0 .LBB6_1974
; %bb.1973:
	s_wait_xcnt 0x0
	v_mov_b64_e32 v[2:3], 0
	s_mov_b32 s3, 0
	global_store_b128 v[6:7], v[0:3], off
.LBB6_1974:
	s_and_not1_b32 vcc_lo, exec_lo, s3
	s_cbranch_vccnz .LBB6_1976
; %bb.1975:
	s_wait_xcnt 0x0
	v_cvt_f32_f64_e32 v2, v[0:1]
	v_mov_b32_e32 v3, 0
	global_store_b64 v[6:7], v[2:3], off
.LBB6_1976:
	s_mov_b32 s3, 0
.LBB6_1977:
	s_delay_alu instid0(SALU_CYCLE_1)
	s_and_not1_b32 vcc_lo, exec_lo, s3
	s_cbranch_vccnz .LBB6_1979
; %bb.1978:
	s_wait_xcnt 0x0
	v_and_or_b32 v2, 0x1ff, v1, v0
	v_lshrrev_b32_e32 v3, 8, v1
	v_bfe_u32 v5, v1, 20, 11
	s_delay_alu instid0(VALU_DEP_3) | instskip(NEXT) | instid1(VALU_DEP_2)
	v_cmp_ne_u32_e32 vcc_lo, 0, v2
	v_sub_nc_u32_e32 v10, 0x3f1, v5
	v_add_nc_u32_e32 v5, 0xfffffc10, v5
	v_cndmask_b32_e64 v2, 0, 1, vcc_lo
	s_delay_alu instid0(VALU_DEP_1) | instskip(NEXT) | instid1(VALU_DEP_4)
	v_and_or_b32 v2, 0xffe, v3, v2
	v_med3_i32 v3, v10, 0, 13
	s_delay_alu instid0(VALU_DEP_2) | instskip(NEXT) | instid1(VALU_DEP_1)
	v_or_b32_e32 v10, 0x1000, v2
	v_lshrrev_b32_e32 v11, v3, v10
	s_delay_alu instid0(VALU_DEP_1) | instskip(NEXT) | instid1(VALU_DEP_1)
	v_lshlrev_b32_e32 v3, v3, v11
	v_cmp_ne_u32_e32 vcc_lo, v3, v10
	v_lshl_or_b32 v10, v5, 12, v2
	v_cndmask_b32_e64 v3, 0, 1, vcc_lo
	v_cmp_gt_i32_e32 vcc_lo, 1, v5
	s_delay_alu instid0(VALU_DEP_2) | instskip(NEXT) | instid1(VALU_DEP_1)
	v_or_b32_e32 v3, v11, v3
	v_cndmask_b32_e32 v3, v10, v3, vcc_lo
	s_delay_alu instid0(VALU_DEP_1) | instskip(NEXT) | instid1(VALU_DEP_1)
	v_dual_lshrrev_b32 v3, 2, v3 :: v_dual_bitop2_b32 v10, 7, v3 bitop3:0x40
	v_cmp_lt_i32_e32 vcc_lo, 5, v10
	v_cndmask_b32_e64 v11, 0, 1, vcc_lo
	v_cmp_eq_u32_e32 vcc_lo, 3, v10
	v_cndmask_b32_e64 v10, 0, 1, vcc_lo
	v_cmp_ne_u32_e32 vcc_lo, 0, v2
	s_delay_alu instid0(VALU_DEP_2) | instskip(SKIP_1) | instid1(VALU_DEP_1)
	v_or_b32_e32 v10, v10, v11
	v_mov_b32_e32 v11, 0x7e00
	v_dual_cndmask_b32 v2, 0x7c00, v11 :: v_dual_add_nc_u32 v3, v3, v10
	v_cmp_gt_i32_e32 vcc_lo, 31, v5
	s_delay_alu instid0(VALU_DEP_2) | instskip(SKIP_1) | instid1(VALU_DEP_2)
	v_dual_cndmask_b32 v3, 0x7c00, v3 :: v_dual_lshrrev_b32 v10, 16, v1
	v_cmp_eq_u32_e32 vcc_lo, 0x40f, v5
	v_cndmask_b32_e32 v2, v3, v2, vcc_lo
	s_delay_alu instid0(VALU_DEP_3) | instskip(NEXT) | instid1(VALU_DEP_1)
	v_and_b32_e32 v3, 0x8000, v10
	v_bitop3_b32 v2, v3, 0xffff, v2 bitop3:0xc8
	global_store_b32 v[6:7], v2, off
.LBB6_1979:
	s_mov_b32 s3, 0
.LBB6_1980:
	s_delay_alu instid0(SALU_CYCLE_1)
	s_and_not1_b32 vcc_lo, exec_lo, s3
	s_cbranch_vccnz .LBB6_1989
; %bb.1981:
	s_cmp_lt_i32 s0, 6
	s_mov_b32 s3, -1
	s_cbranch_scc1 .LBB6_1987
; %bb.1982:
	s_cmp_gt_i32 s0, 6
	s_cbranch_scc0 .LBB6_1984
; %bb.1983:
	s_mov_b32 s3, 0
	global_store_b64 v[6:7], v[0:1], off
.LBB6_1984:
	s_and_not1_b32 vcc_lo, exec_lo, s3
	s_cbranch_vccnz .LBB6_1986
; %bb.1985:
	s_wait_xcnt 0x0
	v_cvt_f32_f64_e32 v2, v[0:1]
	global_store_b32 v[6:7], v2, off
.LBB6_1986:
	s_mov_b32 s3, 0
.LBB6_1987:
	s_delay_alu instid0(SALU_CYCLE_1)
	s_and_not1_b32 vcc_lo, exec_lo, s3
	s_cbranch_vccnz .LBB6_1989
; %bb.1988:
	s_wait_xcnt 0x0
	v_and_or_b32 v2, 0x1ff, v1, v0
	v_lshrrev_b32_e32 v3, 8, v1
	v_bfe_u32 v5, v1, 20, 11
	s_delay_alu instid0(VALU_DEP_3) | instskip(NEXT) | instid1(VALU_DEP_2)
	v_cmp_ne_u32_e32 vcc_lo, 0, v2
	v_sub_nc_u32_e32 v10, 0x3f1, v5
	v_add_nc_u32_e32 v5, 0xfffffc10, v5
	v_cndmask_b32_e64 v2, 0, 1, vcc_lo
	s_delay_alu instid0(VALU_DEP_1) | instskip(NEXT) | instid1(VALU_DEP_4)
	v_and_or_b32 v2, 0xffe, v3, v2
	v_med3_i32 v3, v10, 0, 13
	s_delay_alu instid0(VALU_DEP_2) | instskip(NEXT) | instid1(VALU_DEP_1)
	v_or_b32_e32 v10, 0x1000, v2
	v_lshrrev_b32_e32 v11, v3, v10
	s_delay_alu instid0(VALU_DEP_1) | instskip(NEXT) | instid1(VALU_DEP_1)
	v_lshlrev_b32_e32 v3, v3, v11
	v_cmp_ne_u32_e32 vcc_lo, v3, v10
	v_lshl_or_b32 v10, v5, 12, v2
	v_cndmask_b32_e64 v3, 0, 1, vcc_lo
	v_cmp_gt_i32_e32 vcc_lo, 1, v5
	s_delay_alu instid0(VALU_DEP_2) | instskip(NEXT) | instid1(VALU_DEP_1)
	v_or_b32_e32 v3, v11, v3
	v_cndmask_b32_e32 v3, v10, v3, vcc_lo
	s_delay_alu instid0(VALU_DEP_1) | instskip(NEXT) | instid1(VALU_DEP_1)
	v_dual_lshrrev_b32 v3, 2, v3 :: v_dual_bitop2_b32 v10, 7, v3 bitop3:0x40
	v_cmp_lt_i32_e32 vcc_lo, 5, v10
	v_cndmask_b32_e64 v11, 0, 1, vcc_lo
	v_cmp_eq_u32_e32 vcc_lo, 3, v10
	v_cndmask_b32_e64 v10, 0, 1, vcc_lo
	v_cmp_ne_u32_e32 vcc_lo, 0, v2
	s_delay_alu instid0(VALU_DEP_2) | instskip(SKIP_1) | instid1(VALU_DEP_1)
	v_or_b32_e32 v10, v10, v11
	v_mov_b32_e32 v11, 0x7e00
	v_dual_cndmask_b32 v2, 0x7c00, v11 :: v_dual_add_nc_u32 v3, v3, v10
	v_cmp_gt_i32_e32 vcc_lo, 31, v5
	s_delay_alu instid0(VALU_DEP_2) | instskip(SKIP_1) | instid1(VALU_DEP_2)
	v_cndmask_b32_e32 v3, 0x7c00, v3, vcc_lo
	v_cmp_eq_u32_e32 vcc_lo, 0x40f, v5
	v_dual_cndmask_b32 v2, v3, v2 :: v_dual_lshrrev_b32 v3, 16, v1
	s_delay_alu instid0(VALU_DEP_1)
	v_and_or_b32 v2, 0x8000, v3, v2
	global_store_b16 v[6:7], v2, off
.LBB6_1989:
	s_mov_b32 s3, 0
.LBB6_1990:
	s_delay_alu instid0(SALU_CYCLE_1)
	s_and_not1_b32 vcc_lo, exec_lo, s3
	s_cbranch_vccnz .LBB6_2006
; %bb.1991:
	s_cmp_lt_i32 s0, 2
	s_mov_b32 s3, -1
	s_cbranch_scc1 .LBB6_2001
; %bb.1992:
	s_cmp_lt_i32 s0, 3
	s_cbranch_scc1 .LBB6_1998
; %bb.1993:
	s_cmp_gt_i32 s0, 3
	s_cbranch_scc0 .LBB6_1995
; %bb.1994:
	s_wait_xcnt 0x0
	v_trunc_f64_e32 v[2:3], v[0:1]
	s_mov_b32 s3, 0
	s_delay_alu instid0(VALU_DEP_1) | instskip(NEXT) | instid1(VALU_DEP_1)
	v_ldexp_f64 v[10:11], v[2:3], 0xffffffe0
	v_floor_f64_e32 v[10:11], v[10:11]
	s_delay_alu instid0(VALU_DEP_1) | instskip(SKIP_1) | instid1(VALU_DEP_2)
	v_fmamk_f64 v[2:3], v[10:11], 0xc1f00000, v[2:3]
	v_cvt_i32_f64_e32 v11, v[10:11]
	v_cvt_u32_f64_e32 v10, v[2:3]
	global_store_b64 v[6:7], v[10:11], off
.LBB6_1995:
	s_and_not1_b32 vcc_lo, exec_lo, s3
	s_cbranch_vccnz .LBB6_1997
; %bb.1996:
	s_wait_xcnt 0x0
	v_cvt_i32_f64_e32 v2, v[0:1]
	global_store_b32 v[6:7], v2, off
.LBB6_1997:
	s_mov_b32 s3, 0
.LBB6_1998:
	s_delay_alu instid0(SALU_CYCLE_1)
	s_and_not1_b32 vcc_lo, exec_lo, s3
	s_cbranch_vccnz .LBB6_2000
; %bb.1999:
	s_wait_xcnt 0x0
	v_cvt_i32_f64_e32 v2, v[0:1]
	global_store_b16 v[6:7], v2, off
.LBB6_2000:
	s_mov_b32 s3, 0
.LBB6_2001:
	s_delay_alu instid0(SALU_CYCLE_1)
	s_and_not1_b32 vcc_lo, exec_lo, s3
	s_cbranch_vccnz .LBB6_2006
; %bb.2002:
	s_cmp_gt_i32 s0, 0
	s_mov_b32 s0, -1
	s_cbranch_scc0 .LBB6_2004
; %bb.2003:
	s_wait_xcnt 0x0
	v_cvt_i32_f64_e32 v2, v[0:1]
	s_mov_b32 s0, 0
	global_store_b8 v[6:7], v2, off
.LBB6_2004:
	s_and_not1_b32 vcc_lo, exec_lo, s0
	s_cbranch_vccnz .LBB6_2006
; %bb.2005:
	s_wait_xcnt 0x0
	v_trunc_f64_e32 v[0:1], v[0:1]
	s_delay_alu instid0(VALU_DEP_1) | instskip(NEXT) | instid1(VALU_DEP_1)
	v_ldexp_f64 v[2:3], v[0:1], 0xffffffe0
	v_floor_f64_e32 v[2:3], v[2:3]
	s_delay_alu instid0(VALU_DEP_1) | instskip(NEXT) | instid1(VALU_DEP_1)
	v_fmamk_f64 v[0:1], v[2:3], 0xc1f00000, v[0:1]
	v_cvt_u32_f64_e32 v0, v[0:1]
	global_store_b8 v[6:7], v0, off
.LBB6_2006:
	s_branch .LBB6_1892
.LBB6_2007:
	s_mov_b32 s0, 0
	s_mov_b32 s3, 0
                                        ; implicit-def: $sgpr12
                                        ; implicit-def: $vgpr4_vgpr5
                                        ; implicit-def: $vgpr0_vgpr1
.LBB6_2008:
	s_and_not1_b32 s2, s11, exec_lo
	s_and_b32 s4, s1, exec_lo
	s_and_b32 s0, s0, exec_lo
	;; [unrolled: 1-line block ×3, first 2 shown]
	s_or_b32 s11, s2, s4
.LBB6_2009:
	s_wait_xcnt 0x0
	s_or_b32 exec_lo, exec_lo, s10
	s_and_saveexec_b32 s2, s11
	s_cbranch_execz .LBB6_2012
; %bb.2010:
	; divergent unreachable
	s_or_b32 exec_lo, exec_lo, s2
	s_and_saveexec_b32 s2, s1
	s_delay_alu instid0(SALU_CYCLE_1)
	s_xor_b32 s1, exec_lo, s2
	s_cbranch_execnz .LBB6_2013
.LBB6_2011:
	s_or_b32 exec_lo, exec_lo, s1
	s_and_saveexec_b32 s1, s0
	s_cbranch_execnz .LBB6_2014
	s_branch .LBB6_2051
.LBB6_2012:
	s_or_b32 exec_lo, exec_lo, s2
	s_and_saveexec_b32 s2, s1
	s_delay_alu instid0(SALU_CYCLE_1)
	s_xor_b32 s1, exec_lo, s2
	s_cbranch_execz .LBB6_2011
.LBB6_2013:
	s_wait_loadcnt 0x0
	s_delay_alu instid0(VALU_DEP_1)
	v_cmp_neq_f64_e32 vcc_lo, 0, v[0:1]
	v_cndmask_b32_e64 v2, 0, 1, vcc_lo
	global_store_b8 v[4:5], v2, off
	s_wait_xcnt 0x0
	s_or_b32 exec_lo, exec_lo, s1
	s_and_saveexec_b32 s1, s0
	s_cbranch_execz .LBB6_2051
.LBB6_2014:
	s_sext_i32_i16 s1, s12
	s_mov_b32 s0, -1
	s_cmp_lt_i32 s1, 5
	s_cbranch_scc1 .LBB6_2035
; %bb.2015:
	s_cmp_lt_i32 s1, 8
	s_cbranch_scc1 .LBB6_2025
; %bb.2016:
	;; [unrolled: 3-line block ×3, first 2 shown]
	s_cmp_gt_i32 s1, 9
	s_cbranch_scc0 .LBB6_2019
; %bb.2018:
	s_wait_loadcnt 0x0
	v_mov_b64_e32 v[2:3], 0
	s_mov_b32 s0, 0
	global_store_b128 v[4:5], v[0:3], off
.LBB6_2019:
	s_and_not1_b32 vcc_lo, exec_lo, s0
	s_cbranch_vccnz .LBB6_2021
; %bb.2020:
	s_wait_loadcnt 0x0
	v_cvt_f32_f64_e32 v2, v[0:1]
	v_mov_b32_e32 v3, 0
	global_store_b64 v[4:5], v[2:3], off
.LBB6_2021:
	s_mov_b32 s0, 0
.LBB6_2022:
	s_delay_alu instid0(SALU_CYCLE_1)
	s_and_not1_b32 vcc_lo, exec_lo, s0
	s_cbranch_vccnz .LBB6_2024
; %bb.2023:
	s_wait_loadcnt 0x0
	v_and_or_b32 v2, 0x1ff, v1, v0
	v_lshrrev_b32_e32 v3, 8, v1
	v_bfe_u32 v6, v1, 20, 11
	s_delay_alu instid0(VALU_DEP_3) | instskip(NEXT) | instid1(VALU_DEP_2)
	v_cmp_ne_u32_e32 vcc_lo, 0, v2
	v_sub_nc_u32_e32 v7, 0x3f1, v6
	v_cndmask_b32_e64 v2, 0, 1, vcc_lo
	s_delay_alu instid0(VALU_DEP_1) | instskip(NEXT) | instid1(VALU_DEP_3)
	v_and_or_b32 v2, 0xffe, v3, v2
	v_med3_i32 v3, v7, 0, 13
	s_delay_alu instid0(VALU_DEP_2) | instskip(NEXT) | instid1(VALU_DEP_1)
	v_or_b32_e32 v7, 0x1000, v2
	v_lshrrev_b32_e32 v8, v3, v7
	s_delay_alu instid0(VALU_DEP_1) | instskip(NEXT) | instid1(VALU_DEP_1)
	v_lshlrev_b32_e32 v3, v3, v8
	v_cmp_ne_u32_e32 vcc_lo, v3, v7
	v_cndmask_b32_e64 v3, 0, 1, vcc_lo
	s_delay_alu instid0(VALU_DEP_1) | instskip(SKIP_1) | instid1(VALU_DEP_1)
	v_or_b32_e32 v3, v8, v3
	v_add_nc_u32_e32 v6, 0xfffffc10, v6
	v_lshl_or_b32 v7, v6, 12, v2
	v_cmp_gt_i32_e32 vcc_lo, 1, v6
	s_delay_alu instid0(VALU_DEP_2) | instskip(NEXT) | instid1(VALU_DEP_1)
	v_cndmask_b32_e32 v3, v7, v3, vcc_lo
	v_dual_lshrrev_b32 v3, 2, v3 :: v_dual_bitop2_b32 v7, 7, v3 bitop3:0x40
	s_delay_alu instid0(VALU_DEP_1) | instskip(SKIP_4) | instid1(VALU_DEP_2)
	v_cmp_lt_i32_e32 vcc_lo, 5, v7
	v_cndmask_b32_e64 v8, 0, 1, vcc_lo
	v_cmp_eq_u32_e32 vcc_lo, 3, v7
	v_cndmask_b32_e64 v7, 0, 1, vcc_lo
	v_cmp_ne_u32_e32 vcc_lo, 0, v2
	v_or_b32_e32 v7, v7, v8
	s_delay_alu instid0(VALU_DEP_1) | instskip(NEXT) | instid1(VALU_DEP_1)
	v_dual_mov_b32 v8, 0x7e00 :: v_dual_add_nc_u32 v3, v3, v7
	v_cndmask_b32_e32 v2, 0x7c00, v8, vcc_lo
	v_cmp_gt_i32_e32 vcc_lo, 31, v6
	v_lshrrev_b32_e32 v7, 16, v1
	s_delay_alu instid0(VALU_DEP_4) | instskip(SKIP_1) | instid1(VALU_DEP_2)
	v_cndmask_b32_e32 v3, 0x7c00, v3, vcc_lo
	v_cmp_eq_u32_e32 vcc_lo, 0x40f, v6
	v_cndmask_b32_e32 v2, v3, v2, vcc_lo
	s_delay_alu instid0(VALU_DEP_4) | instskip(NEXT) | instid1(VALU_DEP_1)
	v_and_b32_e32 v3, 0x8000, v7
	v_bitop3_b32 v2, v3, 0xffff, v2 bitop3:0xc8
	global_store_b32 v[4:5], v2, off
.LBB6_2024:
	s_mov_b32 s0, 0
.LBB6_2025:
	s_delay_alu instid0(SALU_CYCLE_1)
	s_and_not1_b32 vcc_lo, exec_lo, s0
	s_cbranch_vccnz .LBB6_2034
; %bb.2026:
	s_sext_i32_i16 s1, s12
	s_mov_b32 s0, -1
	s_cmp_lt_i32 s1, 6
	s_cbranch_scc1 .LBB6_2032
; %bb.2027:
	s_cmp_gt_i32 s1, 6
	s_cbranch_scc0 .LBB6_2029
; %bb.2028:
	s_mov_b32 s0, 0
	s_wait_loadcnt 0x0
	global_store_b64 v[4:5], v[0:1], off
.LBB6_2029:
	s_and_not1_b32 vcc_lo, exec_lo, s0
	s_cbranch_vccnz .LBB6_2031
; %bb.2030:
	s_wait_loadcnt 0x0
	v_cvt_f32_f64_e32 v2, v[0:1]
	global_store_b32 v[4:5], v2, off
.LBB6_2031:
	s_mov_b32 s0, 0
.LBB6_2032:
	s_delay_alu instid0(SALU_CYCLE_1)
	s_and_not1_b32 vcc_lo, exec_lo, s0
	s_cbranch_vccnz .LBB6_2034
; %bb.2033:
	s_wait_loadcnt 0x0
	v_and_or_b32 v2, 0x1ff, v1, v0
	v_lshrrev_b32_e32 v3, 8, v1
	v_bfe_u32 v6, v1, 20, 11
	s_delay_alu instid0(VALU_DEP_3) | instskip(NEXT) | instid1(VALU_DEP_2)
	v_cmp_ne_u32_e32 vcc_lo, 0, v2
	v_sub_nc_u32_e32 v7, 0x3f1, v6
	v_cndmask_b32_e64 v2, 0, 1, vcc_lo
	s_delay_alu instid0(VALU_DEP_1) | instskip(NEXT) | instid1(VALU_DEP_3)
	v_and_or_b32 v2, 0xffe, v3, v2
	v_med3_i32 v3, v7, 0, 13
	s_delay_alu instid0(VALU_DEP_2) | instskip(NEXT) | instid1(VALU_DEP_1)
	v_or_b32_e32 v7, 0x1000, v2
	v_lshrrev_b32_e32 v8, v3, v7
	s_delay_alu instid0(VALU_DEP_1) | instskip(NEXT) | instid1(VALU_DEP_1)
	v_lshlrev_b32_e32 v3, v3, v8
	v_cmp_ne_u32_e32 vcc_lo, v3, v7
	v_cndmask_b32_e64 v3, 0, 1, vcc_lo
	s_delay_alu instid0(VALU_DEP_1) | instskip(SKIP_1) | instid1(VALU_DEP_1)
	v_or_b32_e32 v3, v8, v3
	v_add_nc_u32_e32 v6, 0xfffffc10, v6
	v_lshl_or_b32 v7, v6, 12, v2
	v_cmp_gt_i32_e32 vcc_lo, 1, v6
	s_delay_alu instid0(VALU_DEP_2) | instskip(NEXT) | instid1(VALU_DEP_1)
	v_cndmask_b32_e32 v3, v7, v3, vcc_lo
	v_dual_lshrrev_b32 v3, 2, v3 :: v_dual_bitop2_b32 v7, 7, v3 bitop3:0x40
	s_delay_alu instid0(VALU_DEP_1) | instskip(SKIP_4) | instid1(VALU_DEP_2)
	v_cmp_lt_i32_e32 vcc_lo, 5, v7
	v_cndmask_b32_e64 v8, 0, 1, vcc_lo
	v_cmp_eq_u32_e32 vcc_lo, 3, v7
	v_cndmask_b32_e64 v7, 0, 1, vcc_lo
	v_cmp_ne_u32_e32 vcc_lo, 0, v2
	v_or_b32_e32 v7, v7, v8
	s_delay_alu instid0(VALU_DEP_1) | instskip(NEXT) | instid1(VALU_DEP_1)
	v_dual_mov_b32 v8, 0x7e00 :: v_dual_add_nc_u32 v3, v3, v7
	v_cndmask_b32_e32 v2, 0x7c00, v8, vcc_lo
	v_cmp_gt_i32_e32 vcc_lo, 31, v6
	s_delay_alu instid0(VALU_DEP_3) | instskip(SKIP_1) | instid1(VALU_DEP_2)
	v_cndmask_b32_e32 v3, 0x7c00, v3, vcc_lo
	v_cmp_eq_u32_e32 vcc_lo, 0x40f, v6
	v_dual_cndmask_b32 v2, v3, v2 :: v_dual_lshrrev_b32 v3, 16, v1
	s_delay_alu instid0(VALU_DEP_1)
	v_and_or_b32 v2, 0x8000, v3, v2
	global_store_b16 v[4:5], v2, off
.LBB6_2034:
	s_mov_b32 s0, 0
.LBB6_2035:
	s_delay_alu instid0(SALU_CYCLE_1)
	s_and_not1_b32 vcc_lo, exec_lo, s0
	s_cbranch_vccnz .LBB6_2051
; %bb.2036:
	s_sext_i32_i16 s1, s12
	s_mov_b32 s0, -1
	s_cmp_lt_i32 s1, 2
	s_cbranch_scc1 .LBB6_2046
; %bb.2037:
	s_cmp_lt_i32 s1, 3
	s_cbranch_scc1 .LBB6_2043
; %bb.2038:
	s_cmp_gt_i32 s1, 3
	s_cbranch_scc0 .LBB6_2040
; %bb.2039:
	s_wait_loadcnt 0x0
	v_trunc_f64_e32 v[2:3], v[0:1]
	s_mov_b32 s0, 0
	s_delay_alu instid0(VALU_DEP_1) | instskip(NEXT) | instid1(VALU_DEP_1)
	v_ldexp_f64 v[6:7], v[2:3], 0xffffffe0
	v_floor_f64_e32 v[6:7], v[6:7]
	s_delay_alu instid0(VALU_DEP_1) | instskip(SKIP_1) | instid1(VALU_DEP_2)
	v_fmamk_f64 v[2:3], v[6:7], 0xc1f00000, v[2:3]
	v_cvt_i32_f64_e32 v7, v[6:7]
	v_cvt_u32_f64_e32 v6, v[2:3]
	global_store_b64 v[4:5], v[6:7], off
.LBB6_2040:
	s_and_not1_b32 vcc_lo, exec_lo, s0
	s_cbranch_vccnz .LBB6_2042
; %bb.2041:
	s_wait_loadcnt 0x0
	v_cvt_i32_f64_e32 v2, v[0:1]
	global_store_b32 v[4:5], v2, off
.LBB6_2042:
	s_mov_b32 s0, 0
.LBB6_2043:
	s_delay_alu instid0(SALU_CYCLE_1)
	s_and_not1_b32 vcc_lo, exec_lo, s0
	s_cbranch_vccnz .LBB6_2045
; %bb.2044:
	s_wait_loadcnt 0x0
	v_cvt_i32_f64_e32 v2, v[0:1]
	global_store_b16 v[4:5], v2, off
.LBB6_2045:
	s_mov_b32 s0, 0
.LBB6_2046:
	s_delay_alu instid0(SALU_CYCLE_1)
	s_and_not1_b32 vcc_lo, exec_lo, s0
	s_cbranch_vccnz .LBB6_2051
; %bb.2047:
	s_sext_i32_i16 s0, s12
	s_delay_alu instid0(SALU_CYCLE_1)
	s_cmp_gt_i32 s0, 0
	s_mov_b32 s0, -1
	s_cbranch_scc0 .LBB6_2049
; %bb.2048:
	s_wait_loadcnt 0x0
	v_cvt_i32_f64_e32 v2, v[0:1]
	s_mov_b32 s0, 0
	global_store_b8 v[4:5], v2, off
.LBB6_2049:
	s_and_not1_b32 vcc_lo, exec_lo, s0
	s_cbranch_vccnz .LBB6_2051
; %bb.2050:
	s_wait_loadcnt 0x0
	v_trunc_f64_e32 v[0:1], v[0:1]
	s_delay_alu instid0(VALU_DEP_1) | instskip(NEXT) | instid1(VALU_DEP_1)
	v_ldexp_f64 v[2:3], v[0:1], 0xffffffe0
	v_floor_f64_e32 v[2:3], v[2:3]
	s_delay_alu instid0(VALU_DEP_1) | instskip(NEXT) | instid1(VALU_DEP_1)
	v_fmamk_f64 v[0:1], v[2:3], 0xc1f00000, v[0:1]
	v_cvt_u32_f64_e32 v0, v[0:1]
	global_store_b8 v[4:5], v0, off
	s_endpgm
.LBB6_2051:
	s_endpgm
.LBB6_2052:
	s_or_b32 s1, s1, exec_lo
	s_trap 2
	s_cbranch_execz .LBB6_1521
	s_branch .LBB6_1522
.LBB6_2053:
	s_and_not1_saveexec_b32 s9, s9
	s_cbranch_execz .LBB6_1605
.LBB6_2054:
	v_add_f32_e64 v3, 0x46000000, |v2|
	s_and_not1_b32 s8, s8, exec_lo
	s_delay_alu instid0(VALU_DEP_1) | instskip(NEXT) | instid1(VALU_DEP_1)
	v_and_b32_e32 v3, 0xff, v3
	v_cmp_ne_u32_e32 vcc_lo, 0, v3
	s_and_b32 s13, vcc_lo, exec_lo
	s_delay_alu instid0(SALU_CYCLE_1)
	s_or_b32 s8, s8, s13
	s_or_b32 exec_lo, exec_lo, s9
	v_mov_b32_e32 v11, 0
	s_and_saveexec_b32 s9, s8
	s_cbranch_execnz .LBB6_1606
	s_branch .LBB6_1607
.LBB6_2055:
	s_or_b32 s1, s1, exec_lo
	s_trap 2
	s_cbranch_execz .LBB6_1653
	s_branch .LBB6_1654
.LBB6_2056:
	s_and_not1_saveexec_b32 s8, s8
	s_cbranch_execz .LBB6_1618
.LBB6_2057:
	v_add_f32_e64 v3, 0x42800000, |v2|
	s_and_not1_b32 s7, s7, exec_lo
	s_delay_alu instid0(VALU_DEP_1) | instskip(NEXT) | instid1(VALU_DEP_1)
	v_and_b32_e32 v3, 0xff, v3
	v_cmp_ne_u32_e32 vcc_lo, 0, v3
	s_and_b32 s9, vcc_lo, exec_lo
	s_delay_alu instid0(SALU_CYCLE_1)
	s_or_b32 s7, s7, s9
	s_or_b32 exec_lo, exec_lo, s8
	v_mov_b32_e32 v11, 0
	s_and_saveexec_b32 s8, s7
	s_cbranch_execnz .LBB6_1619
	s_branch .LBB6_1620
.LBB6_2058:
	s_and_not1_saveexec_b32 s9, s9
	s_cbranch_execz .LBB6_1723
.LBB6_2059:
	v_add_f32_e64 v3, 0x46000000, |v2|
	s_and_not1_b32 s8, s8, exec_lo
	s_delay_alu instid0(VALU_DEP_1) | instskip(NEXT) | instid1(VALU_DEP_1)
	v_and_b32_e32 v3, 0xff, v3
	v_cmp_ne_u32_e32 vcc_lo, 0, v3
	s_and_b32 s13, vcc_lo, exec_lo
	s_delay_alu instid0(SALU_CYCLE_1)
	s_or_b32 s8, s8, s13
	s_or_b32 exec_lo, exec_lo, s9
	v_mov_b32_e32 v5, 0
	s_and_saveexec_b32 s9, s8
	s_cbranch_execnz .LBB6_1724
	s_branch .LBB6_1725
.LBB6_2060:
	s_or_b32 s1, s1, exec_lo
	s_trap 2
	s_cbranch_execz .LBB6_1771
	s_branch .LBB6_1772
.LBB6_2061:
	s_and_not1_saveexec_b32 s8, s8
	s_cbranch_execz .LBB6_1736
.LBB6_2062:
	v_add_f32_e64 v3, 0x42800000, |v2|
	s_and_not1_b32 s7, s7, exec_lo
	s_delay_alu instid0(VALU_DEP_1) | instskip(NEXT) | instid1(VALU_DEP_1)
	v_and_b32_e32 v3, 0xff, v3
	v_cmp_ne_u32_e32 vcc_lo, 0, v3
	s_and_b32 s9, vcc_lo, exec_lo
	s_delay_alu instid0(SALU_CYCLE_1)
	s_or_b32 s7, s7, s9
	s_or_b32 exec_lo, exec_lo, s8
	v_mov_b32_e32 v5, 0
	s_and_saveexec_b32 s8, s7
	s_cbranch_execnz .LBB6_1737
	s_branch .LBB6_1738
.LBB6_2063:
	s_and_not1_saveexec_b32 s9, s9
	s_cbranch_execz .LBB6_1841
.LBB6_2064:
	v_add_f32_e64 v3, 0x46000000, |v2|
	s_and_not1_b32 s8, s8, exec_lo
	s_delay_alu instid0(VALU_DEP_1) | instskip(NEXT) | instid1(VALU_DEP_1)
	v_and_b32_e32 v3, 0xff, v3
	v_cmp_ne_u32_e32 vcc_lo, 0, v3
	s_and_b32 s13, vcc_lo, exec_lo
	s_delay_alu instid0(SALU_CYCLE_1)
	s_or_b32 s8, s8, s13
	s_or_b32 exec_lo, exec_lo, s9
	v_mov_b32_e32 v5, 0
	s_and_saveexec_b32 s9, s8
	s_cbranch_execnz .LBB6_1842
	s_branch .LBB6_1843
.LBB6_2065:
	s_or_b32 s1, s1, exec_lo
	s_trap 2
	s_cbranch_execz .LBB6_1889
	s_branch .LBB6_1890
.LBB6_2066:
	s_and_not1_saveexec_b32 s8, s8
	s_cbranch_execz .LBB6_1854
.LBB6_2067:
	v_add_f32_e64 v3, 0x42800000, |v2|
	s_and_not1_b32 s7, s7, exec_lo
	s_delay_alu instid0(VALU_DEP_1) | instskip(NEXT) | instid1(VALU_DEP_1)
	v_and_b32_e32 v3, 0xff, v3
	v_cmp_ne_u32_e32 vcc_lo, 0, v3
	s_and_b32 s9, vcc_lo, exec_lo
	s_delay_alu instid0(SALU_CYCLE_1)
	s_or_b32 s7, s7, s9
	s_or_b32 exec_lo, exec_lo, s8
	v_mov_b32_e32 v5, 0
	s_and_saveexec_b32 s8, s7
	s_cbranch_execnz .LBB6_1855
	s_branch .LBB6_1856
.LBB6_2068:
	s_and_not1_saveexec_b32 s6, s6
	s_cbranch_execz .LBB6_1921
.LBB6_2069:
	v_add_f32_e64 v3, 0x46000000, |v2|
	s_and_not1_b32 s5, s5, exec_lo
	s_delay_alu instid0(VALU_DEP_1) | instskip(NEXT) | instid1(VALU_DEP_1)
	v_and_b32_e32 v3, 0xff, v3
	v_cmp_ne_u32_e32 vcc_lo, 0, v3
	s_and_b32 s7, vcc_lo, exec_lo
	s_delay_alu instid0(SALU_CYCLE_1)
	s_or_b32 s5, s5, s7
	s_or_b32 exec_lo, exec_lo, s6
	v_mov_b32_e32 v6, 0
	s_and_saveexec_b32 s6, s5
	s_cbranch_execnz .LBB6_1922
	s_branch .LBB6_1923
.LBB6_2070:
	s_mov_b32 s3, 0
	s_or_b32 s1, s1, exec_lo
	s_trap 2
	s_branch .LBB6_1967
.LBB6_2071:
	s_and_not1_saveexec_b32 s5, s5
	s_cbranch_execz .LBB6_1933
.LBB6_2072:
	v_add_f32_e64 v3, 0x42800000, |v2|
	s_and_not1_b32 s4, s4, exec_lo
	s_delay_alu instid0(VALU_DEP_1) | instskip(NEXT) | instid1(VALU_DEP_1)
	v_and_b32_e32 v3, 0xff, v3
	v_cmp_ne_u32_e32 vcc_lo, 0, v3
	s_and_b32 s6, vcc_lo, exec_lo
	s_delay_alu instid0(SALU_CYCLE_1)
	s_or_b32 s4, s4, s6
	s_or_b32 exec_lo, exec_lo, s5
	v_mov_b32_e32 v6, 0
	s_and_saveexec_b32 s5, s4
	s_cbranch_execnz .LBB6_1934
	s_branch .LBB6_1935
	.section	.rodata,"a",@progbits
	.p2align	6, 0x0
	.amdhsa_kernel _ZN2at6native32elementwise_kernel_manual_unrollILi128ELi4EZNS0_15gpu_kernel_implIZZZNS0_15sin_kernel_cudaERNS_18TensorIteratorBaseEENKUlvE0_clEvENKUlvE_clEvEUldE_EEvS4_RKT_EUlibE_EEviT1_
		.amdhsa_group_segment_fixed_size 0
		.amdhsa_private_segment_fixed_size 0
		.amdhsa_kernarg_size 40
		.amdhsa_user_sgpr_count 2
		.amdhsa_user_sgpr_dispatch_ptr 0
		.amdhsa_user_sgpr_queue_ptr 0
		.amdhsa_user_sgpr_kernarg_segment_ptr 1
		.amdhsa_user_sgpr_dispatch_id 0
		.amdhsa_user_sgpr_kernarg_preload_length 0
		.amdhsa_user_sgpr_kernarg_preload_offset 0
		.amdhsa_user_sgpr_private_segment_size 0
		.amdhsa_wavefront_size32 1
		.amdhsa_uses_dynamic_stack 0
		.amdhsa_enable_private_segment 0
		.amdhsa_system_sgpr_workgroup_id_x 1
		.amdhsa_system_sgpr_workgroup_id_y 0
		.amdhsa_system_sgpr_workgroup_id_z 0
		.amdhsa_system_sgpr_workgroup_info 0
		.amdhsa_system_vgpr_workitem_id 0
		.amdhsa_next_free_vgpr 56
		.amdhsa_next_free_sgpr 26
		.amdhsa_named_barrier_count 0
		.amdhsa_reserve_vcc 1
		.amdhsa_float_round_mode_32 0
		.amdhsa_float_round_mode_16_64 0
		.amdhsa_float_denorm_mode_32 3
		.amdhsa_float_denorm_mode_16_64 3
		.amdhsa_fp16_overflow 0
		.amdhsa_memory_ordered 1
		.amdhsa_forward_progress 1
		.amdhsa_inst_pref_size 255
		.amdhsa_round_robin_scheduling 0
		.amdhsa_exception_fp_ieee_invalid_op 0
		.amdhsa_exception_fp_denorm_src 0
		.amdhsa_exception_fp_ieee_div_zero 0
		.amdhsa_exception_fp_ieee_overflow 0
		.amdhsa_exception_fp_ieee_underflow 0
		.amdhsa_exception_fp_ieee_inexact 0
		.amdhsa_exception_int_div_zero 0
	.end_amdhsa_kernel
	.section	.text._ZN2at6native32elementwise_kernel_manual_unrollILi128ELi4EZNS0_15gpu_kernel_implIZZZNS0_15sin_kernel_cudaERNS_18TensorIteratorBaseEENKUlvE0_clEvENKUlvE_clEvEUldE_EEvS4_RKT_EUlibE_EEviT1_,"axG",@progbits,_ZN2at6native32elementwise_kernel_manual_unrollILi128ELi4EZNS0_15gpu_kernel_implIZZZNS0_15sin_kernel_cudaERNS_18TensorIteratorBaseEENKUlvE0_clEvENKUlvE_clEvEUldE_EEvS4_RKT_EUlibE_EEviT1_,comdat
.Lfunc_end6:
	.size	_ZN2at6native32elementwise_kernel_manual_unrollILi128ELi4EZNS0_15gpu_kernel_implIZZZNS0_15sin_kernel_cudaERNS_18TensorIteratorBaseEENKUlvE0_clEvENKUlvE_clEvEUldE_EEvS4_RKT_EUlibE_EEviT1_, .Lfunc_end6-_ZN2at6native32elementwise_kernel_manual_unrollILi128ELi4EZNS0_15gpu_kernel_implIZZZNS0_15sin_kernel_cudaERNS_18TensorIteratorBaseEENKUlvE0_clEvENKUlvE_clEvEUldE_EEvS4_RKT_EUlibE_EEviT1_
                                        ; -- End function
	.set _ZN2at6native32elementwise_kernel_manual_unrollILi128ELi4EZNS0_15gpu_kernel_implIZZZNS0_15sin_kernel_cudaERNS_18TensorIteratorBaseEENKUlvE0_clEvENKUlvE_clEvEUldE_EEvS4_RKT_EUlibE_EEviT1_.num_vgpr, 56
	.set _ZN2at6native32elementwise_kernel_manual_unrollILi128ELi4EZNS0_15gpu_kernel_implIZZZNS0_15sin_kernel_cudaERNS_18TensorIteratorBaseEENKUlvE0_clEvENKUlvE_clEvEUldE_EEvS4_RKT_EUlibE_EEviT1_.num_agpr, 0
	.set _ZN2at6native32elementwise_kernel_manual_unrollILi128ELi4EZNS0_15gpu_kernel_implIZZZNS0_15sin_kernel_cudaERNS_18TensorIteratorBaseEENKUlvE0_clEvENKUlvE_clEvEUldE_EEvS4_RKT_EUlibE_EEviT1_.numbered_sgpr, 26
	.set _ZN2at6native32elementwise_kernel_manual_unrollILi128ELi4EZNS0_15gpu_kernel_implIZZZNS0_15sin_kernel_cudaERNS_18TensorIteratorBaseEENKUlvE0_clEvENKUlvE_clEvEUldE_EEvS4_RKT_EUlibE_EEviT1_.num_named_barrier, 0
	.set _ZN2at6native32elementwise_kernel_manual_unrollILi128ELi4EZNS0_15gpu_kernel_implIZZZNS0_15sin_kernel_cudaERNS_18TensorIteratorBaseEENKUlvE0_clEvENKUlvE_clEvEUldE_EEvS4_RKT_EUlibE_EEviT1_.private_seg_size, 0
	.set _ZN2at6native32elementwise_kernel_manual_unrollILi128ELi4EZNS0_15gpu_kernel_implIZZZNS0_15sin_kernel_cudaERNS_18TensorIteratorBaseEENKUlvE0_clEvENKUlvE_clEvEUldE_EEvS4_RKT_EUlibE_EEviT1_.uses_vcc, 1
	.set _ZN2at6native32elementwise_kernel_manual_unrollILi128ELi4EZNS0_15gpu_kernel_implIZZZNS0_15sin_kernel_cudaERNS_18TensorIteratorBaseEENKUlvE0_clEvENKUlvE_clEvEUldE_EEvS4_RKT_EUlibE_EEviT1_.uses_flat_scratch, 0
	.set _ZN2at6native32elementwise_kernel_manual_unrollILi128ELi4EZNS0_15gpu_kernel_implIZZZNS0_15sin_kernel_cudaERNS_18TensorIteratorBaseEENKUlvE0_clEvENKUlvE_clEvEUldE_EEvS4_RKT_EUlibE_EEviT1_.has_dyn_sized_stack, 0
	.set _ZN2at6native32elementwise_kernel_manual_unrollILi128ELi4EZNS0_15gpu_kernel_implIZZZNS0_15sin_kernel_cudaERNS_18TensorIteratorBaseEENKUlvE0_clEvENKUlvE_clEvEUldE_EEvS4_RKT_EUlibE_EEviT1_.has_recursion, 0
	.set _ZN2at6native32elementwise_kernel_manual_unrollILi128ELi4EZNS0_15gpu_kernel_implIZZZNS0_15sin_kernel_cudaERNS_18TensorIteratorBaseEENKUlvE0_clEvENKUlvE_clEvEUldE_EEvS4_RKT_EUlibE_EEviT1_.has_indirect_call, 0
	.section	.AMDGPU.csdata,"",@progbits
; Kernel info:
; codeLenInByte = 50728
; TotalNumSgprs: 28
; NumVgprs: 56
; ScratchSize: 0
; MemoryBound: 1
; FloatMode: 240
; IeeeMode: 1
; LDSByteSize: 0 bytes/workgroup (compile time only)
; SGPRBlocks: 0
; VGPRBlocks: 3
; NumSGPRsForWavesPerEU: 28
; NumVGPRsForWavesPerEU: 56
; NamedBarCnt: 0
; Occupancy: 16
; WaveLimiterHint : 0
; COMPUTE_PGM_RSRC2:SCRATCH_EN: 0
; COMPUTE_PGM_RSRC2:USER_SGPR: 2
; COMPUTE_PGM_RSRC2:TRAP_HANDLER: 0
; COMPUTE_PGM_RSRC2:TGID_X_EN: 1
; COMPUTE_PGM_RSRC2:TGID_Y_EN: 0
; COMPUTE_PGM_RSRC2:TGID_Z_EN: 0
; COMPUTE_PGM_RSRC2:TIDIG_COMP_CNT: 0
	.section	.text._ZN2at6native32elementwise_kernel_manual_unrollILi128ELi4EZNS0_15gpu_kernel_implIZZZNS0_15sin_kernel_cudaERNS_18TensorIteratorBaseEENKUlvE0_clEvENKUlvE_clEvEUldE_EEvS4_RKT_EUlibE0_EEviT1_,"axG",@progbits,_ZN2at6native32elementwise_kernel_manual_unrollILi128ELi4EZNS0_15gpu_kernel_implIZZZNS0_15sin_kernel_cudaERNS_18TensorIteratorBaseEENKUlvE0_clEvENKUlvE_clEvEUldE_EEvS4_RKT_EUlibE0_EEviT1_,comdat
	.globl	_ZN2at6native32elementwise_kernel_manual_unrollILi128ELi4EZNS0_15gpu_kernel_implIZZZNS0_15sin_kernel_cudaERNS_18TensorIteratorBaseEENKUlvE0_clEvENKUlvE_clEvEUldE_EEvS4_RKT_EUlibE0_EEviT1_ ; -- Begin function _ZN2at6native32elementwise_kernel_manual_unrollILi128ELi4EZNS0_15gpu_kernel_implIZZZNS0_15sin_kernel_cudaERNS_18TensorIteratorBaseEENKUlvE0_clEvENKUlvE_clEvEUldE_EEvS4_RKT_EUlibE0_EEviT1_
	.p2align	8
	.type	_ZN2at6native32elementwise_kernel_manual_unrollILi128ELi4EZNS0_15gpu_kernel_implIZZZNS0_15sin_kernel_cudaERNS_18TensorIteratorBaseEENKUlvE0_clEvENKUlvE_clEvEUldE_EEvS4_RKT_EUlibE0_EEviT1_,@function
_ZN2at6native32elementwise_kernel_manual_unrollILi128ELi4EZNS0_15gpu_kernel_implIZZZNS0_15sin_kernel_cudaERNS_18TensorIteratorBaseEENKUlvE0_clEvENKUlvE_clEvEUldE_EEvS4_RKT_EUlibE0_EEviT1_: ; @_ZN2at6native32elementwise_kernel_manual_unrollILi128ELi4EZNS0_15gpu_kernel_implIZZZNS0_15sin_kernel_cudaERNS_18TensorIteratorBaseEENKUlvE0_clEvENKUlvE_clEvEUldE_EEvS4_RKT_EUlibE0_EEviT1_
; %bb.0:
	s_clause 0x1
	s_load_b32 s28, s[0:1], 0x8
	s_load_b32 s36, s[0:1], 0x0
	s_bfe_u32 s2, ttmp6, 0x4000c
	s_and_b32 s3, ttmp6, 15
	s_add_co_i32 s2, s2, 1
	s_getreg_b32 s4, hwreg(HW_REG_IB_STS2, 6, 4)
	s_mul_i32 s2, ttmp9, s2
	s_mov_b32 s30, 0
	s_add_co_i32 s3, s3, s2
	s_cmp_eq_u32 s4, 0
	s_mov_b32 s23, -1
	s_cselect_b32 s2, ttmp9, s3
	s_mov_b32 s8, 0
	v_lshl_or_b32 v4, s2, 9, v0
	s_add_nc_u64 s[2:3], s[0:1], 8
	s_wait_xcnt 0x0
	s_mov_b32 s0, exec_lo
	s_delay_alu instid0(VALU_DEP_1) | instskip(SKIP_2) | instid1(SALU_CYCLE_1)
	v_or_b32_e32 v3, 0x180, v4
	s_wait_kmcnt 0x0
	s_add_co_i32 s29, s28, -1
	s_cmp_gt_u32 s29, 1
	s_cselect_b32 s31, -1, 0
	v_cmpx_le_i32_e64 s36, v3
	s_xor_b32 s33, exec_lo, s0
	s_cbranch_execz .LBB7_1109
; %bb.1:
	v_mov_b32_e32 v0, 0
	s_clause 0x3
	s_load_b128 s[12:15], s[2:3], 0x4
	s_load_b64 s[0:1], s[2:3], 0x14
	s_load_b128 s[8:11], s[2:3], 0xc4
	s_load_b128 s[4:7], s[2:3], 0x148
	s_cmp_lg_u32 s28, 0
	s_mov_b32 s17, 0
	s_cselect_b32 s38, -1, 0
	global_load_u16 v0, v0, s[2:3] offset:345
	s_min_u32 s37, s29, 15
	s_cmp_gt_u32 s28, 1
	s_add_nc_u64 s[20:21], s[2:3], 0xc4
	s_cselect_b32 s35, -1, 0
	s_mov_b32 s19, s17
	s_mov_b32 s40, s17
	;; [unrolled: 1-line block ×3, first 2 shown]
	s_mov_b32 s41, exec_lo
	s_wait_kmcnt 0x0
	s_mov_b32 s16, s13
	s_mov_b32 s18, s0
	s_wait_loadcnt 0x0
	v_readfirstlane_b32 s34, v0
	s_and_b32 s13, 0xffff, s34
	s_delay_alu instid0(SALU_CYCLE_1)
	s_lshr_b32 s13, s13, 8
	v_cmpx_gt_i32_e64 s36, v4
	s_cbranch_execz .LBB7_271
; %bb.2:
	s_and_not1_b32 vcc_lo, exec_lo, s31
	s_cbranch_vccnz .LBB7_8
; %bb.3:
	s_and_not1_b32 vcc_lo, exec_lo, s38
	s_cbranch_vccnz .LBB7_9
; %bb.4:
	s_add_co_i32 s0, s37, 1
	s_cmp_eq_u32 s29, 2
	s_cbranch_scc1 .LBB7_10
; %bb.5:
	v_dual_mov_b32 v0, 0 :: v_dual_mov_b32 v2, 0
	v_mov_b32_e32 v3, v4
	s_and_b32 s22, s0, 28
	s_mov_b32 s23, 0
	s_mov_b64 s[24:25], s[2:3]
	s_mov_b64 s[26:27], s[20:21]
.LBB7_6:                                ; =>This Inner Loop Header: Depth=1
	s_clause 0x1
	s_load_b256 s[44:51], s[24:25], 0x4
	s_load_b128 s[60:63], s[24:25], 0x24
	s_load_b256 s[52:59], s[26:27], 0x0
	s_add_co_i32 s23, s23, 4
	s_wait_xcnt 0x0
	s_add_nc_u64 s[24:25], s[24:25], 48
	s_cmp_lg_u32 s22, s23
	s_add_nc_u64 s[26:27], s[26:27], 32
	s_wait_kmcnt 0x0
	v_mul_hi_u32 v1, s45, v3
	s_delay_alu instid0(VALU_DEP_1) | instskip(NEXT) | instid1(VALU_DEP_1)
	v_add_nc_u32_e32 v1, v3, v1
	v_lshrrev_b32_e32 v1, s46, v1
	s_delay_alu instid0(VALU_DEP_1) | instskip(NEXT) | instid1(VALU_DEP_1)
	v_mul_lo_u32 v7, v1, s44
	v_sub_nc_u32_e32 v3, v3, v7
	v_mul_hi_u32 v5, s48, v1
	s_delay_alu instid0(VALU_DEP_2) | instskip(SKIP_1) | instid1(VALU_DEP_3)
	v_mad_u32 v2, v3, s53, v2
	v_mad_u32 v0, v3, s52, v0
	v_add_nc_u32_e32 v5, v1, v5
	s_delay_alu instid0(VALU_DEP_1) | instskip(NEXT) | instid1(VALU_DEP_1)
	v_lshrrev_b32_e32 v5, s49, v5
	v_mul_lo_u32 v7, v5, s47
	s_delay_alu instid0(VALU_DEP_1) | instskip(SKIP_1) | instid1(VALU_DEP_2)
	v_sub_nc_u32_e32 v1, v1, v7
	v_mul_hi_u32 v6, s51, v5
	v_mad_u32 v2, v1, s55, v2
	v_mad_u32 v0, v1, s54, v0
	s_delay_alu instid0(VALU_DEP_3) | instskip(NEXT) | instid1(VALU_DEP_1)
	v_add_nc_u32_e32 v6, v5, v6
	v_lshrrev_b32_e32 v6, s60, v6
	s_delay_alu instid0(VALU_DEP_1) | instskip(SKIP_1) | instid1(VALU_DEP_1)
	v_mul_hi_u32 v8, s62, v6
	v_mul_lo_u32 v7, v6, s50
	v_dual_add_nc_u32 v3, v6, v8 :: v_dual_sub_nc_u32 v1, v5, v7
	s_delay_alu instid0(VALU_DEP_1) | instskip(NEXT) | instid1(VALU_DEP_2)
	v_lshrrev_b32_e32 v3, s63, v3
	v_mad_u32 v2, v1, s57, v2
	v_mad_u32 v0, v1, s56, v0
	s_delay_alu instid0(VALU_DEP_3) | instskip(NEXT) | instid1(VALU_DEP_1)
	v_mul_lo_u32 v5, v3, s61
	v_sub_nc_u32_e32 v1, v6, v5
	s_delay_alu instid0(VALU_DEP_1) | instskip(NEXT) | instid1(VALU_DEP_4)
	v_mad_u32 v2, v1, s59, v2
	v_mad_u32 v0, v1, s58, v0
	s_cbranch_scc1 .LBB7_6
; %bb.7:
	s_delay_alu instid0(VALU_DEP_2)
	v_mov_b32_e32 v1, v2
	s_and_b32 s0, s0, 3
	s_mov_b32 s23, 0
	s_cmp_eq_u32 s0, 0
	s_cbranch_scc0 .LBB7_11
	s_branch .LBB7_14
.LBB7_8:
                                        ; implicit-def: $vgpr2
                                        ; implicit-def: $vgpr0
	s_branch .LBB7_15
.LBB7_9:
	v_dual_mov_b32 v2, 0 :: v_dual_mov_b32 v0, 0
	s_branch .LBB7_14
.LBB7_10:
	v_mov_b64_e32 v[0:1], 0
	v_mov_b32_e32 v3, v4
	s_mov_b32 s22, 0
                                        ; implicit-def: $vgpr2
	s_and_b32 s0, s0, 3
	s_mov_b32 s23, 0
	s_cmp_eq_u32 s0, 0
	s_cbranch_scc1 .LBB7_14
.LBB7_11:
	s_lshl_b32 s24, s22, 3
	s_mov_b32 s25, s23
	s_mul_u64 s[26:27], s[22:23], 12
	s_add_nc_u64 s[24:25], s[2:3], s[24:25]
	s_delay_alu instid0(SALU_CYCLE_1)
	s_add_nc_u64 s[22:23], s[24:25], 0xc4
	s_add_nc_u64 s[24:25], s[2:3], s[26:27]
.LBB7_12:                               ; =>This Inner Loop Header: Depth=1
	s_load_b96 s[44:46], s[24:25], 0x4
	s_load_b64 s[26:27], s[22:23], 0x0
	s_add_co_i32 s0, s0, -1
	s_wait_xcnt 0x0
	s_add_nc_u64 s[24:25], s[24:25], 12
	s_cmp_lg_u32 s0, 0
	s_add_nc_u64 s[22:23], s[22:23], 8
	s_wait_kmcnt 0x0
	v_mul_hi_u32 v2, s45, v3
	s_delay_alu instid0(VALU_DEP_1) | instskip(NEXT) | instid1(VALU_DEP_1)
	v_add_nc_u32_e32 v2, v3, v2
	v_lshrrev_b32_e32 v2, s46, v2
	s_delay_alu instid0(VALU_DEP_1) | instskip(NEXT) | instid1(VALU_DEP_1)
	v_mul_lo_u32 v5, v2, s44
	v_sub_nc_u32_e32 v3, v3, v5
	s_delay_alu instid0(VALU_DEP_1)
	v_mad_u32 v1, v3, s27, v1
	v_mad_u32 v0, v3, s26, v0
	v_mov_b32_e32 v3, v2
	s_cbranch_scc1 .LBB7_12
; %bb.13:
	s_delay_alu instid0(VALU_DEP_3)
	v_mov_b32_e32 v2, v1
.LBB7_14:
	s_cbranch_execnz .LBB7_17
.LBB7_15:
	v_mov_b32_e32 v5, 0
	s_and_not1_b32 vcc_lo, exec_lo, s35
	s_delay_alu instid0(VALU_DEP_1) | instskip(NEXT) | instid1(VALU_DEP_1)
	v_mul_u64_e32 v[0:1], s[16:17], v[4:5]
	v_add_nc_u32_e32 v0, v4, v1
	s_delay_alu instid0(VALU_DEP_1) | instskip(NEXT) | instid1(VALU_DEP_1)
	v_lshrrev_b32_e32 v6, s14, v0
	v_mul_lo_u32 v0, v6, s12
	s_delay_alu instid0(VALU_DEP_1) | instskip(NEXT) | instid1(VALU_DEP_1)
	v_sub_nc_u32_e32 v0, v4, v0
	v_mul_lo_u32 v2, v0, s9
	v_mul_lo_u32 v0, v0, s8
	s_cbranch_vccnz .LBB7_17
; %bb.16:
	v_mov_b32_e32 v7, v5
	s_delay_alu instid0(VALU_DEP_1) | instskip(NEXT) | instid1(VALU_DEP_1)
	v_mul_u64_e32 v[8:9], s[18:19], v[6:7]
	v_add_nc_u32_e32 v1, v6, v9
	s_delay_alu instid0(VALU_DEP_1) | instskip(NEXT) | instid1(VALU_DEP_1)
	v_lshrrev_b32_e32 v1, s1, v1
	v_mul_lo_u32 v1, v1, s15
	s_delay_alu instid0(VALU_DEP_1) | instskip(NEXT) | instid1(VALU_DEP_1)
	v_sub_nc_u32_e32 v1, v6, v1
	v_mad_u32 v0, v1, s10, v0
	v_mad_u32 v2, v1, s11, v2
.LBB7_17:
	v_mov_b32_e32 v3, 0
	s_and_b32 s0, 0xffff, s13
	s_delay_alu instid0(SALU_CYCLE_1) | instskip(NEXT) | instid1(VALU_DEP_1)
	s_cmp_lt_i32 s0, 11
	v_add_nc_u64_e32 v[2:3], s[6:7], v[2:3]
	s_cbranch_scc1 .LBB7_24
; %bb.18:
	s_cmp_gt_i32 s0, 25
	s_cbranch_scc0 .LBB7_76
; %bb.19:
	s_cmp_gt_i32 s0, 28
	s_cbranch_scc0 .LBB7_77
	;; [unrolled: 3-line block ×4, first 2 shown]
; %bb.22:
	s_cmp_eq_u32 s0, 46
	s_mov_b32 s24, 0
	s_cbranch_scc0 .LBB7_83
; %bb.23:
	global_load_b32 v1, v[2:3], off
	s_mov_b32 s23, -1
	s_mov_b32 s22, 0
	s_wait_loadcnt 0x0
	v_lshlrev_b32_e32 v1, 16, v1
	s_delay_alu instid0(VALU_DEP_1)
	v_cvt_f64_f32_e32 v[6:7], v1
	s_branch .LBB7_85
.LBB7_24:
	s_mov_b32 s22, 0
	s_mov_b32 s23, 0
                                        ; implicit-def: $vgpr6_vgpr7
	s_cbranch_execnz .LBB7_221
.LBB7_25:
	s_and_not1_b32 vcc_lo, exec_lo, s23
	s_cbranch_vccnz .LBB7_268
.LBB7_26:
	s_wait_loadcnt 0x0
	s_delay_alu instid0(VALU_DEP_1) | instskip(SKIP_1) | instid1(SALU_CYCLE_1)
	v_cmp_ngt_f64_e64 s0, 0x41d00000, |v[6:7]|
                                        ; implicit-def: $vgpr1
                                        ; implicit-def: $vgpr2_vgpr3
                                        ; implicit-def: $vgpr8_vgpr9
	s_and_saveexec_b32 s23, s0
	s_xor_b32 s0, exec_lo, s23
	s_cbranch_execz .LBB7_28
; %bb.27:
	v_ldexp_f64 v[2:3], |v[6:7]|, 0xffffff80
	v_cmp_le_f64_e64 vcc_lo, 0x7b000000, |v[6:7]|
	v_trig_preop_f64 v[8:9], |v[6:7]|, 0
	v_and_b32_e32 v1, 0x7fffffff, v7
	v_trig_preop_f64 v[10:11], |v[6:7]|, 1
	v_trig_preop_f64 v[20:21], |v[6:7]|, 2
	s_mov_b64 s[24:25], 0x3ff921fb54442d18
	s_delay_alu instid0(VALU_DEP_3) | instskip(SKIP_1) | instid1(VALU_DEP_1)
	v_dual_mov_b32 v28, 0 :: v_dual_cndmask_b32 v3, v1, v3
	v_cndmask_b32_e32 v2, v6, v2, vcc_lo
	v_mul_f64_e32 v[12:13], v[8:9], v[2:3]
	v_mul_f64_e32 v[14:15], v[10:11], v[2:3]
	;; [unrolled: 1-line block ×3, first 2 shown]
	s_delay_alu instid0(VALU_DEP_3) | instskip(NEXT) | instid1(VALU_DEP_3)
	v_fma_f64 v[8:9], v[8:9], v[2:3], -v[12:13]
	v_fma_f64 v[10:11], v[10:11], v[2:3], -v[14:15]
	s_delay_alu instid0(VALU_DEP_3) | instskip(NEXT) | instid1(VALU_DEP_3)
	v_fma_f64 v[2:3], v[20:21], v[2:3], -v[26:27]
	v_add_f64_e32 v[16:17], v[14:15], v[8:9]
	s_delay_alu instid0(VALU_DEP_1) | instskip(SKIP_1) | instid1(VALU_DEP_2)
	v_add_f64_e64 v[18:19], v[16:17], -v[14:15]
	v_add_f64_e32 v[24:25], v[12:13], v[16:17]
	v_add_f64_e64 v[22:23], v[16:17], -v[18:19]
	v_add_f64_e64 v[8:9], v[8:9], -v[18:19]
	s_delay_alu instid0(VALU_DEP_3) | instskip(NEXT) | instid1(VALU_DEP_3)
	v_ldexp_f64 v[18:19], v[24:25], -2
	v_add_f64_e64 v[14:15], v[14:15], -v[22:23]
	v_add_f64_e32 v[22:23], v[26:27], v[10:11]
	s_delay_alu instid0(VALU_DEP_3) | instskip(NEXT) | instid1(VALU_DEP_3)
	v_cmp_neq_f64_e64 vcc_lo, 0x7ff00000, |v[18:19]|
	v_add_f64_e32 v[8:9], v[8:9], v[14:15]
	v_fract_f64_e32 v[14:15], v[18:19]
	s_delay_alu instid0(VALU_DEP_1) | instskip(NEXT) | instid1(VALU_DEP_1)
	v_ldexp_f64 v[14:15], v[14:15], 2
	v_dual_add_f64 v[12:13], v[24:25], -v[12:13] :: v_dual_cndmask_b32 v14, 0, v14, vcc_lo
	s_delay_alu instid0(VALU_DEP_1) | instskip(SKIP_1) | instid1(VALU_DEP_1)
	v_dual_add_f64 v[12:13], v[16:17], -v[12:13] :: v_dual_cndmask_b32 v15, 0, v15, vcc_lo
	v_add_f64_e32 v[16:17], v[22:23], v[8:9]
	v_add_f64_e32 v[18:19], v[12:13], v[16:17]
	v_add_f64_e64 v[30:31], v[16:17], -v[22:23]
	s_delay_alu instid0(VALU_DEP_2) | instskip(NEXT) | instid1(VALU_DEP_2)
	v_add_f64_e32 v[24:25], v[18:19], v[14:15]
	v_add_f64_e64 v[36:37], v[16:17], -v[30:31]
	v_add_f64_e64 v[8:9], v[8:9], -v[30:31]
	;; [unrolled: 1-line block ×3, first 2 shown]
	s_delay_alu instid0(VALU_DEP_4) | instskip(SKIP_1) | instid1(VALU_DEP_3)
	v_cmp_gt_f64_e32 vcc_lo, 0, v[24:25]
	v_add_f64_e64 v[24:25], v[22:23], -v[26:27]
	v_add_f64_e64 v[12:13], v[16:17], -v[12:13]
	v_cndmask_b32_e64 v29, 0, 0x40100000, vcc_lo
	s_delay_alu instid0(VALU_DEP_3) | instskip(SKIP_2) | instid1(VALU_DEP_4)
	v_add_f64_e64 v[34:35], v[22:23], -v[24:25]
	v_add_f64_e64 v[10:11], v[10:11], -v[24:25]
	v_add_f64_e64 v[22:23], v[22:23], -v[36:37]
	v_add_f64_e32 v[14:15], v[14:15], v[28:29]
	s_delay_alu instid0(VALU_DEP_4) | instskip(NEXT) | instid1(VALU_DEP_3)
	v_add_f64_e64 v[24:25], v[26:27], -v[34:35]
	v_add_f64_e32 v[8:9], v[8:9], v[22:23]
	s_delay_alu instid0(VALU_DEP_3) | instskip(NEXT) | instid1(VALU_DEP_3)
	v_add_f64_e32 v[32:33], v[18:19], v[14:15]
	v_add_f64_e32 v[10:11], v[10:11], v[24:25]
	s_delay_alu instid0(VALU_DEP_2) | instskip(NEXT) | instid1(VALU_DEP_2)
	v_cvt_i32_f64_e32 v1, v[32:33]
	v_add_f64_e32 v[8:9], v[10:11], v[8:9]
	s_delay_alu instid0(VALU_DEP_2) | instskip(NEXT) | instid1(VALU_DEP_2)
	v_cvt_f64_i32_e32 v[30:31], v1
	v_add_f64_e32 v[2:3], v[2:3], v[8:9]
	s_delay_alu instid0(VALU_DEP_2) | instskip(NEXT) | instid1(VALU_DEP_2)
	v_add_f64_e64 v[14:15], v[14:15], -v[30:31]
	v_add_f64_e32 v[2:3], v[12:13], v[2:3]
	s_delay_alu instid0(VALU_DEP_2) | instskip(NEXT) | instid1(VALU_DEP_1)
	v_add_f64_e32 v[10:11], v[18:19], v[14:15]
	v_add_f64_e64 v[8:9], v[10:11], -v[14:15]
	v_cmp_le_f64_e32 vcc_lo, 0.5, v[10:11]
	s_delay_alu instid0(VALU_DEP_2) | instskip(SKIP_2) | instid1(VALU_DEP_3)
	v_add_f64_e64 v[8:9], v[18:19], -v[8:9]
	v_cndmask_b32_e64 v29, 0, 0x3ff00000, vcc_lo
	v_add_co_ci_u32_e64 v1, null, 0, v1, vcc_lo
	v_add_f64_e32 v[2:3], v[2:3], v[8:9]
	s_delay_alu instid0(VALU_DEP_3) | instskip(NEXT) | instid1(VALU_DEP_1)
	v_add_f64_e64 v[8:9], v[10:11], -v[28:29]
	v_add_f64_e32 v[10:11], v[8:9], v[2:3]
	s_delay_alu instid0(VALU_DEP_1) | instskip(SKIP_1) | instid1(VALU_DEP_2)
	v_mul_f64_e32 v[12:13], 0x3ff921fb54442d18, v[10:11]
	v_add_f64_e64 v[8:9], v[10:11], -v[8:9]
	v_fma_f64 v[14:15], v[10:11], s[24:25], -v[12:13]
	s_delay_alu instid0(VALU_DEP_2) | instskip(NEXT) | instid1(VALU_DEP_2)
	v_add_f64_e64 v[2:3], v[2:3], -v[8:9]
	v_fmamk_f64 v[8:9], v[10:11], 0x3c91a62633145c07, v[14:15]
	s_delay_alu instid0(VALU_DEP_1) | instskip(NEXT) | instid1(VALU_DEP_1)
	v_fmac_f64_e32 v[8:9], 0x3ff921fb54442d18, v[2:3]
	v_add_f64_e32 v[2:3], v[12:13], v[8:9]
	s_delay_alu instid0(VALU_DEP_1) | instskip(NEXT) | instid1(VALU_DEP_1)
	v_add_f64_e64 v[10:11], v[2:3], -v[12:13]
	v_add_f64_e64 v[8:9], v[8:9], -v[10:11]
.LBB7_28:
	s_and_not1_saveexec_b32 s0, s0
	s_cbranch_execz .LBB7_30
; %bb.29:
	s_mov_b64 s[24:25], 0x3fe45f306dc9c883
	s_delay_alu instid0(SALU_CYCLE_1) | instskip(SKIP_1) | instid1(VALU_DEP_1)
	v_mul_f64_e64 v[2:3], |v[6:7]|, s[24:25]
	s_mov_b64 s[24:25], 0xbff921fb54442d18
	v_rndne_f64_e32 v[10:11], v[2:3]
	s_delay_alu instid0(VALU_DEP_1) | instskip(SKIP_2) | instid1(VALU_DEP_3)
	v_fma_f64 v[2:3], v[10:11], s[24:25], |v[6:7]|
	v_mul_f64_e32 v[8:9], 0xbc91a62633145c00, v[10:11]
	v_cvt_i32_f64_e32 v1, v[10:11]
	v_fmamk_f64 v[16:17], v[10:11], 0xbc91a62633145c00, v[2:3]
	s_delay_alu instid0(VALU_DEP_3) | instskip(NEXT) | instid1(VALU_DEP_1)
	v_add_f64_e32 v[12:13], v[2:3], v[8:9]
	v_add_f64_e64 v[14:15], v[2:3], -v[12:13]
	s_delay_alu instid0(VALU_DEP_3) | instskip(NEXT) | instid1(VALU_DEP_2)
	v_add_f64_e64 v[2:3], v[12:13], -v[16:17]
	v_add_f64_e32 v[12:13], v[14:15], v[8:9]
	v_fmamk_f64 v[8:9], v[10:11], 0x3c91a62633145c00, v[8:9]
	s_delay_alu instid0(VALU_DEP_2) | instskip(NEXT) | instid1(VALU_DEP_1)
	v_add_f64_e32 v[2:3], v[2:3], v[12:13]
	v_add_f64_e64 v[2:3], v[2:3], -v[8:9]
	s_delay_alu instid0(VALU_DEP_1) | instskip(NEXT) | instid1(VALU_DEP_1)
	v_fmamk_f64 v[8:9], v[10:11], 0xb97b839a252049c0, v[2:3]
	v_add_f64_e32 v[2:3], v[16:17], v[8:9]
	s_delay_alu instid0(VALU_DEP_1) | instskip(NEXT) | instid1(VALU_DEP_1)
	v_add_f64_e64 v[12:13], v[2:3], -v[16:17]
	v_add_f64_e64 v[8:9], v[8:9], -v[12:13]
.LBB7_30:
	s_or_b32 exec_lo, exec_lo, s0
	v_dual_mul_f64 v[10:11], v[2:3], v[2:3] :: v_dual_bitop2_b32 v5, 1, v1 bitop3:0x40
	v_cmp_class_f64_e64 s0, v[6:7], 0x1f8
	s_mov_b64 s[24:25], 0x3de5e0b2f9a43bb8
	s_mov_b32 s23, 0
	v_lshlrev_b32_e32 v1, 30, v1
	v_cmp_eq_u32_e32 vcc_lo, 0, v5
	s_delay_alu instid0(VALU_DEP_2) | instskip(SKIP_1) | instid1(VALU_DEP_1)
	v_dual_mul_f64 v[18:19], 0.5, v[8:9] :: v_dual_bitop2_b32 v5, v1, v7 bitop3:0x14
	v_mov_b32_e32 v1, 0
	v_add_nc_u64_e32 v[6:7], s[4:5], v[0:1]
	v_mul_f64_e32 v[12:13], 0.5, v[10:11]
	v_mul_f64_e64 v[20:21], v[2:3], -v[10:11]
	v_fmaak_f64 v[22:23], s[24:25], v[10:11], 0xbe5ae600b42fdfa7
	s_mov_b64 s[24:25], 0xbda907db46cc5e42
	s_delay_alu instid0(VALU_DEP_3) | instskip(NEXT) | instid1(VALU_DEP_1)
	v_add_f64_e64 v[14:15], -v[12:13], 1.0
	v_add_f64_e64 v[16:17], -v[14:15], 1.0
	s_delay_alu instid0(VALU_DEP_1) | instskip(NEXT) | instid1(VALU_DEP_4)
	v_add_f64_e64 v[12:13], v[16:17], -v[12:13]
	v_fmaak_f64 v[16:17], v[10:11], v[22:23], 0x3ec71de3796cde01
	v_mul_f64_e32 v[22:23], v[10:11], v[10:11]
	s_delay_alu instid0(VALU_DEP_2) | instskip(NEXT) | instid1(VALU_DEP_1)
	v_fmaak_f64 v[16:17], v[10:11], v[16:17], 0xbf2a01a019e83e5c
	v_fmaak_f64 v[16:17], v[10:11], v[16:17], 0x3f81111111110bb3
	s_delay_alu instid0(VALU_DEP_1) | instskip(SKIP_4) | instid1(VALU_DEP_1)
	v_fmac_f64_e32 v[18:19], v[20:21], v[16:17]
	v_fmaak_f64 v[16:17], s[24:25], v[10:11], 0x3e21eeb69037ab78
	s_and_b32 s24, s34, 0xff
	s_mov_b32 s25, -1
	s_cmp_lt_i32 s24, 11
	v_fmaak_f64 v[16:17], v[10:11], v[16:17], 0xbe927e4fa17f65f6
	v_fma_f64 v[12:13], v[2:3], -v[8:9], v[12:13]
	s_delay_alu instid0(VALU_DEP_2) | instskip(NEXT) | instid1(VALU_DEP_1)
	v_fmaak_f64 v[16:17], v[10:11], v[16:17], 0x3efa01a019f4ec90
	v_fmaak_f64 v[16:17], v[10:11], v[16:17], 0xbf56c16c16c16967
	v_fma_f64 v[8:9], v[10:11], v[18:19], -v[8:9]
	s_delay_alu instid0(VALU_DEP_2) | instskip(NEXT) | instid1(VALU_DEP_1)
	v_fmaak_f64 v[10:11], v[10:11], v[16:17], 0x3fa5555555555555
	v_fmac_f64_e32 v[12:13], v[22:23], v[10:11]
	s_delay_alu instid0(VALU_DEP_3) | instskip(NEXT) | instid1(VALU_DEP_1)
	v_fmamk_f64 v[8:9], v[20:21], 0xbfc5555555555555, v[8:9]
	v_add_f64_e64 v[2:3], v[2:3], -v[8:9]
	s_delay_alu instid0(VALU_DEP_3) | instskip(NEXT) | instid1(VALU_DEP_1)
	v_add_f64_e32 v[8:9], v[14:15], v[12:13]
	v_dual_cndmask_b32 v3, v9, v3 :: v_dual_cndmask_b32 v2, v8, v2
	s_delay_alu instid0(VALU_DEP_1) | instskip(NEXT) | instid1(VALU_DEP_2)
	v_bitop3_b32 v3, v3, v5, 0x80000000 bitop3:0x78
	v_cndmask_b32_e64 v0, 0, v2, s0
	s_delay_alu instid0(VALU_DEP_2)
	v_cndmask_b32_e64 v1, 0x7ff80000, v3, s0
	s_mov_b32 s0, 0
	s_cbranch_scc1 .LBB7_37
; %bb.31:
	s_and_b32 s25, 0xffff, s24
	s_delay_alu instid0(SALU_CYCLE_1)
	s_cmp_gt_i32 s25, 25
	s_cbranch_scc0 .LBB7_78
; %bb.32:
	s_cmp_gt_i32 s25, 28
	s_cbranch_scc0 .LBB7_80
; %bb.33:
	;; [unrolled: 3-line block ×4, first 2 shown]
	s_mov_b32 s26, 0
	s_mov_b32 s23, -1
	s_cmp_eq_u32 s25, 46
	s_cbranch_scc0 .LBB7_89
; %bb.36:
	v_cvt_f32_f64_e32 v2, v[0:1]
	s_mov_b32 s0, -1
	s_mov_b32 s23, 0
	s_delay_alu instid0(VALU_DEP_1) | instskip(SKIP_1) | instid1(VALU_DEP_2)
	v_bfe_u32 v3, v2, 16, 1
	v_cmp_o_f32_e32 vcc_lo, v2, v2
	v_add3_u32 v3, v2, v3, 0x7fff
	s_delay_alu instid0(VALU_DEP_1) | instskip(NEXT) | instid1(VALU_DEP_1)
	v_lshrrev_b32_e32 v3, 16, v3
	v_cndmask_b32_e32 v2, 0x7fc0, v3, vcc_lo
	global_store_b32 v[6:7], v2, off
	s_branch .LBB7_89
.LBB7_37:
	s_and_b32 vcc_lo, exec_lo, s25
	s_cbranch_vccz .LBB7_158
; %bb.38:
	s_and_b32 s0, 0xffff, s24
	s_mov_b32 s24, -1
	s_cmp_lt_i32 s0, 5
	s_cbranch_scc1 .LBB7_59
; %bb.39:
	s_cmp_lt_i32 s0, 8
	s_cbranch_scc1 .LBB7_49
; %bb.40:
	;; [unrolled: 3-line block ×3, first 2 shown]
	s_cmp_gt_i32 s0, 9
	s_cbranch_scc0 .LBB7_43
; %bb.42:
	s_wait_xcnt 0x0
	v_mov_b64_e32 v[2:3], 0
	s_mov_b32 s24, 0
	global_store_b128 v[6:7], v[0:3], off
.LBB7_43:
	s_and_not1_b32 vcc_lo, exec_lo, s24
	s_cbranch_vccnz .LBB7_45
; %bb.44:
	s_wait_xcnt 0x0
	v_cvt_f32_f64_e32 v2, v[0:1]
	v_mov_b32_e32 v3, 0
	global_store_b64 v[6:7], v[2:3], off
.LBB7_45:
	s_mov_b32 s24, 0
.LBB7_46:
	s_delay_alu instid0(SALU_CYCLE_1)
	s_and_not1_b32 vcc_lo, exec_lo, s24
	s_cbranch_vccnz .LBB7_48
; %bb.47:
	s_wait_xcnt 0x0
	v_and_or_b32 v2, 0x1ff, v1, v0
	v_lshrrev_b32_e32 v3, 8, v1
	v_bfe_u32 v5, v1, 20, 11
	s_delay_alu instid0(VALU_DEP_3) | instskip(NEXT) | instid1(VALU_DEP_2)
	v_cmp_ne_u32_e32 vcc_lo, 0, v2
	v_sub_nc_u32_e32 v8, 0x3f1, v5
	v_add_nc_u32_e32 v5, 0xfffffc10, v5
	v_cndmask_b32_e64 v2, 0, 1, vcc_lo
	s_delay_alu instid0(VALU_DEP_1) | instskip(NEXT) | instid1(VALU_DEP_4)
	v_and_or_b32 v2, 0xffe, v3, v2
	v_med3_i32 v3, v8, 0, 13
	s_delay_alu instid0(VALU_DEP_2) | instskip(NEXT) | instid1(VALU_DEP_1)
	v_or_b32_e32 v8, 0x1000, v2
	v_lshrrev_b32_e32 v9, v3, v8
	s_delay_alu instid0(VALU_DEP_1) | instskip(NEXT) | instid1(VALU_DEP_1)
	v_lshlrev_b32_e32 v3, v3, v9
	v_cmp_ne_u32_e32 vcc_lo, v3, v8
	v_lshl_or_b32 v8, v5, 12, v2
	v_cndmask_b32_e64 v3, 0, 1, vcc_lo
	v_cmp_gt_i32_e32 vcc_lo, 1, v5
	s_delay_alu instid0(VALU_DEP_2) | instskip(NEXT) | instid1(VALU_DEP_1)
	v_or_b32_e32 v3, v9, v3
	v_cndmask_b32_e32 v3, v8, v3, vcc_lo
	s_delay_alu instid0(VALU_DEP_1) | instskip(NEXT) | instid1(VALU_DEP_1)
	v_dual_lshrrev_b32 v3, 2, v3 :: v_dual_bitop2_b32 v8, 7, v3 bitop3:0x40
	v_cmp_lt_i32_e32 vcc_lo, 5, v8
	v_cndmask_b32_e64 v9, 0, 1, vcc_lo
	v_cmp_eq_u32_e32 vcc_lo, 3, v8
	v_cndmask_b32_e64 v8, 0, 1, vcc_lo
	v_cmp_ne_u32_e32 vcc_lo, 0, v2
	s_delay_alu instid0(VALU_DEP_2) | instskip(SKIP_1) | instid1(VALU_DEP_1)
	v_or_b32_e32 v8, v8, v9
	v_mov_b32_e32 v9, 0x7e00
	v_dual_cndmask_b32 v2, 0x7c00, v9 :: v_dual_add_nc_u32 v3, v3, v8
	v_cmp_gt_i32_e32 vcc_lo, 31, v5
	s_delay_alu instid0(VALU_DEP_2) | instskip(SKIP_1) | instid1(VALU_DEP_2)
	v_dual_cndmask_b32 v3, 0x7c00, v3 :: v_dual_lshrrev_b32 v8, 16, v1
	v_cmp_eq_u32_e32 vcc_lo, 0x40f, v5
	v_cndmask_b32_e32 v2, v3, v2, vcc_lo
	s_delay_alu instid0(VALU_DEP_3) | instskip(NEXT) | instid1(VALU_DEP_1)
	v_and_b32_e32 v3, 0x8000, v8
	v_bitop3_b32 v2, v3, 0xffff, v2 bitop3:0xc8
	global_store_b32 v[6:7], v2, off
.LBB7_48:
	s_mov_b32 s24, 0
.LBB7_49:
	s_delay_alu instid0(SALU_CYCLE_1)
	s_and_not1_b32 vcc_lo, exec_lo, s24
	s_cbranch_vccnz .LBB7_58
; %bb.50:
	s_cmp_lt_i32 s0, 6
	s_mov_b32 s24, -1
	s_cbranch_scc1 .LBB7_56
; %bb.51:
	s_cmp_gt_i32 s0, 6
	s_cbranch_scc0 .LBB7_53
; %bb.52:
	s_mov_b32 s24, 0
	global_store_b64 v[6:7], v[0:1], off
.LBB7_53:
	s_and_not1_b32 vcc_lo, exec_lo, s24
	s_cbranch_vccnz .LBB7_55
; %bb.54:
	s_wait_xcnt 0x0
	v_cvt_f32_f64_e32 v2, v[0:1]
	global_store_b32 v[6:7], v2, off
.LBB7_55:
	s_mov_b32 s24, 0
.LBB7_56:
	s_delay_alu instid0(SALU_CYCLE_1)
	s_and_not1_b32 vcc_lo, exec_lo, s24
	s_cbranch_vccnz .LBB7_58
; %bb.57:
	s_wait_xcnt 0x0
	v_and_or_b32 v2, 0x1ff, v1, v0
	v_lshrrev_b32_e32 v3, 8, v1
	v_bfe_u32 v5, v1, 20, 11
	s_delay_alu instid0(VALU_DEP_3) | instskip(NEXT) | instid1(VALU_DEP_2)
	v_cmp_ne_u32_e32 vcc_lo, 0, v2
	v_sub_nc_u32_e32 v8, 0x3f1, v5
	v_add_nc_u32_e32 v5, 0xfffffc10, v5
	v_cndmask_b32_e64 v2, 0, 1, vcc_lo
	s_delay_alu instid0(VALU_DEP_1) | instskip(NEXT) | instid1(VALU_DEP_4)
	v_and_or_b32 v2, 0xffe, v3, v2
	v_med3_i32 v3, v8, 0, 13
	s_delay_alu instid0(VALU_DEP_2) | instskip(NEXT) | instid1(VALU_DEP_1)
	v_or_b32_e32 v8, 0x1000, v2
	v_lshrrev_b32_e32 v9, v3, v8
	s_delay_alu instid0(VALU_DEP_1) | instskip(NEXT) | instid1(VALU_DEP_1)
	v_lshlrev_b32_e32 v3, v3, v9
	v_cmp_ne_u32_e32 vcc_lo, v3, v8
	v_lshl_or_b32 v8, v5, 12, v2
	v_cndmask_b32_e64 v3, 0, 1, vcc_lo
	v_cmp_gt_i32_e32 vcc_lo, 1, v5
	s_delay_alu instid0(VALU_DEP_2) | instskip(NEXT) | instid1(VALU_DEP_1)
	v_or_b32_e32 v3, v9, v3
	v_cndmask_b32_e32 v3, v8, v3, vcc_lo
	s_delay_alu instid0(VALU_DEP_1) | instskip(NEXT) | instid1(VALU_DEP_1)
	v_dual_lshrrev_b32 v3, 2, v3 :: v_dual_bitop2_b32 v8, 7, v3 bitop3:0x40
	v_cmp_lt_i32_e32 vcc_lo, 5, v8
	v_cndmask_b32_e64 v9, 0, 1, vcc_lo
	v_cmp_eq_u32_e32 vcc_lo, 3, v8
	v_cndmask_b32_e64 v8, 0, 1, vcc_lo
	v_cmp_ne_u32_e32 vcc_lo, 0, v2
	s_delay_alu instid0(VALU_DEP_2) | instskip(SKIP_1) | instid1(VALU_DEP_1)
	v_or_b32_e32 v8, v8, v9
	v_mov_b32_e32 v9, 0x7e00
	v_dual_cndmask_b32 v2, 0x7c00, v9 :: v_dual_add_nc_u32 v3, v3, v8
	v_cmp_gt_i32_e32 vcc_lo, 31, v5
	s_delay_alu instid0(VALU_DEP_2) | instskip(SKIP_1) | instid1(VALU_DEP_2)
	v_cndmask_b32_e32 v3, 0x7c00, v3, vcc_lo
	v_cmp_eq_u32_e32 vcc_lo, 0x40f, v5
	v_dual_cndmask_b32 v2, v3, v2 :: v_dual_lshrrev_b32 v3, 16, v1
	s_delay_alu instid0(VALU_DEP_1)
	v_and_or_b32 v2, 0x8000, v3, v2
	global_store_b16 v[6:7], v2, off
.LBB7_58:
	s_mov_b32 s24, 0
.LBB7_59:
	s_delay_alu instid0(SALU_CYCLE_1)
	s_and_not1_b32 vcc_lo, exec_lo, s24
	s_cbranch_vccnz .LBB7_75
; %bb.60:
	s_cmp_lt_i32 s0, 2
	s_mov_b32 s24, -1
	s_cbranch_scc1 .LBB7_70
; %bb.61:
	s_cmp_lt_i32 s0, 3
	s_cbranch_scc1 .LBB7_67
; %bb.62:
	s_cmp_gt_i32 s0, 3
	s_cbranch_scc0 .LBB7_64
; %bb.63:
	s_wait_xcnt 0x0
	v_trunc_f64_e32 v[2:3], v[0:1]
	s_mov_b32 s24, 0
	s_delay_alu instid0(VALU_DEP_1) | instskip(NEXT) | instid1(VALU_DEP_1)
	v_ldexp_f64 v[8:9], v[2:3], 0xffffffe0
	v_floor_f64_e32 v[8:9], v[8:9]
	s_delay_alu instid0(VALU_DEP_1) | instskip(SKIP_1) | instid1(VALU_DEP_2)
	v_fmamk_f64 v[2:3], v[8:9], 0xc1f00000, v[2:3]
	v_cvt_i32_f64_e32 v9, v[8:9]
	v_cvt_u32_f64_e32 v8, v[2:3]
	global_store_b64 v[6:7], v[8:9], off
.LBB7_64:
	s_and_not1_b32 vcc_lo, exec_lo, s24
	s_cbranch_vccnz .LBB7_66
; %bb.65:
	s_wait_xcnt 0x0
	v_cvt_i32_f64_e32 v2, v[0:1]
	global_store_b32 v[6:7], v2, off
.LBB7_66:
	s_mov_b32 s24, 0
.LBB7_67:
	s_delay_alu instid0(SALU_CYCLE_1)
	s_and_not1_b32 vcc_lo, exec_lo, s24
	s_cbranch_vccnz .LBB7_69
; %bb.68:
	s_wait_xcnt 0x0
	v_cvt_i32_f64_e32 v2, v[0:1]
	global_store_b16 v[6:7], v2, off
.LBB7_69:
	s_mov_b32 s24, 0
.LBB7_70:
	s_delay_alu instid0(SALU_CYCLE_1)
	s_and_not1_b32 vcc_lo, exec_lo, s24
	s_cbranch_vccnz .LBB7_75
; %bb.71:
	s_cmp_gt_i32 s0, 0
	s_mov_b32 s0, -1
	s_cbranch_scc0 .LBB7_73
; %bb.72:
	s_wait_xcnt 0x0
	v_cvt_i32_f64_e32 v2, v[0:1]
	s_mov_b32 s0, 0
	global_store_b8 v[6:7], v2, off
.LBB7_73:
	s_and_not1_b32 vcc_lo, exec_lo, s0
	s_cbranch_vccnz .LBB7_75
; %bb.74:
	s_wait_xcnt 0x0
	v_trunc_f64_e32 v[0:1], v[0:1]
	s_delay_alu instid0(VALU_DEP_1) | instskip(NEXT) | instid1(VALU_DEP_1)
	v_ldexp_f64 v[2:3], v[0:1], 0xffffffe0
	v_floor_f64_e32 v[2:3], v[2:3]
	s_delay_alu instid0(VALU_DEP_1) | instskip(NEXT) | instid1(VALU_DEP_1)
	v_fmamk_f64 v[0:1], v[2:3], 0xc1f00000, v[0:1]
	v_cvt_u32_f64_e32 v0, v[0:1]
	global_store_b8 v[6:7], v0, off
.LBB7_75:
	s_branch .LBB7_159
.LBB7_76:
	s_mov_b32 s22, 0
	s_mov_b32 s23, 0
                                        ; implicit-def: $vgpr6_vgpr7
	s_cbranch_execnz .LBB7_186
	s_branch .LBB7_220
.LBB7_77:
	s_mov_b32 s24, -1
	s_mov_b32 s22, 0
	s_mov_b32 s23, 0
                                        ; implicit-def: $vgpr6_vgpr7
	s_branch .LBB7_167
.LBB7_78:
	s_mov_b32 s26, -1
	s_branch .LBB7_116
.LBB7_79:
	s_mov_b32 s24, -1
	s_mov_b32 s22, 0
	s_mov_b32 s23, 0
                                        ; implicit-def: $vgpr6_vgpr7
	s_branch .LBB7_162
.LBB7_80:
	s_mov_b32 s26, -1
	s_branch .LBB7_99
.LBB7_81:
	s_mov_b32 s24, -1
	s_mov_b32 s22, 0
	s_branch .LBB7_84
.LBB7_82:
	s_mov_b32 s26, -1
	s_branch .LBB7_95
.LBB7_83:
	s_mov_b32 s22, -1
.LBB7_84:
	s_mov_b32 s23, 0
                                        ; implicit-def: $vgpr6_vgpr7
.LBB7_85:
	s_and_b32 vcc_lo, exec_lo, s24
	s_cbranch_vccz .LBB7_161
; %bb.86:
	s_cmp_eq_u32 s0, 44
	s_cbranch_scc0 .LBB7_160
; %bb.87:
	global_load_u8 v1, v[2:3], off
	s_mov_b32 s22, 0
	s_mov_b32 s23, -1
	s_wait_loadcnt 0x0
	v_cmp_ne_u32_e32 vcc_lo, 0xff, v1
	v_lshlrev_b32_e32 v5, 23, v1
	s_delay_alu instid0(VALU_DEP_1) | instskip(NEXT) | instid1(VALU_DEP_1)
	v_cvt_f64_f32_e32 v[6:7], v5
	v_cndmask_b32_e32 v5, 0x20000000, v6, vcc_lo
	s_delay_alu instid0(VALU_DEP_2) | instskip(SKIP_1) | instid1(VALU_DEP_2)
	v_cndmask_b32_e32 v6, 0x7ff80000, v7, vcc_lo
	v_cmp_ne_u32_e32 vcc_lo, 0, v1
	v_cndmask_b32_e32 v7, 0x38000000, v6, vcc_lo
	s_delay_alu instid0(VALU_DEP_4)
	v_cndmask_b32_e32 v6, 0, v5, vcc_lo
	s_branch .LBB7_161
.LBB7_88:
	s_mov_b32 s26, -1
.LBB7_89:
	s_delay_alu instid0(SALU_CYCLE_1)
	s_and_b32 vcc_lo, exec_lo, s26
	s_cbranch_vccz .LBB7_94
; %bb.90:
	s_cmp_eq_u32 s25, 44
	s_mov_b32 s23, -1
	s_cbranch_scc0 .LBB7_94
; %bb.91:
	s_wait_xcnt 0x0
	v_cvt_f32_f64_e32 v2, v[0:1]
	v_mov_b32_e32 v3, 0xff
	s_mov_b32 s23, exec_lo
	s_delay_alu instid0(VALU_DEP_2) | instskip(NEXT) | instid1(VALU_DEP_1)
	v_bfe_u32 v5, v2, 23, 8
	v_cmpx_ne_u32_e32 0xff, v5
	s_cbranch_execz .LBB7_93
; %bb.92:
	v_and_b32_e32 v3, 0x400000, v2
	v_and_or_b32 v5, 0x3fffff, v2, v5
	v_lshrrev_b32_e32 v2, 23, v2
	s_delay_alu instid0(VALU_DEP_3) | instskip(NEXT) | instid1(VALU_DEP_3)
	v_cmp_ne_u32_e32 vcc_lo, 0, v3
	v_cmp_ne_u32_e64 s0, 0, v5
	s_and_b32 s0, vcc_lo, s0
	s_delay_alu instid0(SALU_CYCLE_1) | instskip(NEXT) | instid1(VALU_DEP_1)
	v_cndmask_b32_e64 v3, 0, 1, s0
	v_add_nc_u32_e32 v3, v2, v3
.LBB7_93:
	s_or_b32 exec_lo, exec_lo, s23
	s_mov_b32 s0, -1
	s_mov_b32 s23, 0
	global_store_b8 v[6:7], v3, off
.LBB7_94:
	s_mov_b32 s26, 0
.LBB7_95:
	s_delay_alu instid0(SALU_CYCLE_1)
	s_and_b32 vcc_lo, exec_lo, s26
	s_cbranch_vccz .LBB7_98
; %bb.96:
	s_cmp_eq_u32 s25, 29
	s_mov_b32 s23, -1
	s_cbranch_scc0 .LBB7_98
; %bb.97:
	s_wait_xcnt 0x0
	v_trunc_f64_e32 v[2:3], v[0:1]
	s_mov_b32 s0, -1
	s_mov_b32 s23, 0
	s_mov_b32 s26, 0
	s_delay_alu instid0(VALU_DEP_1) | instskip(NEXT) | instid1(VALU_DEP_1)
	v_ldexp_f64 v[8:9], v[2:3], 0xffffffe0
	v_floor_f64_e32 v[8:9], v[8:9]
	s_delay_alu instid0(VALU_DEP_1) | instskip(SKIP_1) | instid1(VALU_DEP_2)
	v_fmamk_f64 v[2:3], v[8:9], 0xc1f00000, v[2:3]
	v_cvt_u32_f64_e32 v9, v[8:9]
	v_cvt_u32_f64_e32 v8, v[2:3]
	global_store_b64 v[6:7], v[8:9], off
	s_branch .LBB7_99
.LBB7_98:
	s_mov_b32 s26, 0
.LBB7_99:
	s_delay_alu instid0(SALU_CYCLE_1)
	s_and_b32 vcc_lo, exec_lo, s26
	s_cbranch_vccz .LBB7_115
; %bb.100:
	s_cmp_lt_i32 s25, 27
	s_mov_b32 s0, -1
	s_cbranch_scc1 .LBB7_106
; %bb.101:
	s_wait_xcnt 0x0
	v_cvt_u32_f64_e32 v2, v[0:1]
	s_cmp_gt_i32 s25, 27
	s_cbranch_scc0 .LBB7_103
; %bb.102:
	s_mov_b32 s0, 0
	global_store_b32 v[6:7], v2, off
.LBB7_103:
	s_and_not1_b32 vcc_lo, exec_lo, s0
	s_cbranch_vccnz .LBB7_105
; %bb.104:
	global_store_b16 v[6:7], v2, off
.LBB7_105:
	s_mov_b32 s0, 0
.LBB7_106:
	s_delay_alu instid0(SALU_CYCLE_1)
	s_and_not1_b32 vcc_lo, exec_lo, s0
	s_cbranch_vccnz .LBB7_114
; %bb.107:
	s_wait_xcnt 0x0
	v_cvt_f32_f64_e32 v2, v[0:1]
	v_mov_b32_e32 v5, 0x80
	s_mov_b32 s0, exec_lo
	s_delay_alu instid0(VALU_DEP_2) | instskip(NEXT) | instid1(VALU_DEP_1)
	v_and_b32_e32 v3, 0x7fffffff, v2
	v_cmpx_gt_u32_e32 0x43800000, v3
	s_cbranch_execz .LBB7_113
; %bb.108:
	v_cmp_lt_u32_e32 vcc_lo, 0x3bffffff, v3
	s_mov_b32 s26, 0
                                        ; implicit-def: $vgpr3
	s_and_saveexec_b32 s27, vcc_lo
	s_delay_alu instid0(SALU_CYCLE_1)
	s_xor_b32 s27, exec_lo, s27
	s_cbranch_execz .LBB7_357
; %bb.109:
	v_bfe_u32 v3, v2, 20, 1
	s_mov_b32 s26, exec_lo
	s_delay_alu instid0(VALU_DEP_1) | instskip(NEXT) | instid1(VALU_DEP_1)
	v_add3_u32 v3, v2, v3, 0x487ffff
	v_lshrrev_b32_e32 v3, 20, v3
	s_and_not1_saveexec_b32 s27, s27
	s_cbranch_execnz .LBB7_358
.LBB7_110:
	s_or_b32 exec_lo, exec_lo, s27
	v_mov_b32_e32 v5, 0
	s_and_saveexec_b32 s27, s26
.LBB7_111:
	v_lshrrev_b32_e32 v2, 24, v2
	s_delay_alu instid0(VALU_DEP_1)
	v_and_or_b32 v5, 0x80, v2, v3
.LBB7_112:
	s_or_b32 exec_lo, exec_lo, s27
.LBB7_113:
	s_delay_alu instid0(SALU_CYCLE_1)
	s_or_b32 exec_lo, exec_lo, s0
	global_store_b8 v[6:7], v5, off
.LBB7_114:
	s_mov_b32 s0, -1
.LBB7_115:
	s_mov_b32 s26, 0
.LBB7_116:
	s_delay_alu instid0(SALU_CYCLE_1)
	s_and_b32 vcc_lo, exec_lo, s26
	s_cbranch_vccz .LBB7_157
; %bb.117:
	s_cmp_gt_i32 s25, 22
	s_mov_b32 s26, -1
	s_cbranch_scc0 .LBB7_149
; %bb.118:
	s_cmp_lt_i32 s25, 24
	s_mov_b32 s0, -1
	s_cbranch_scc1 .LBB7_138
; %bb.119:
	s_cmp_gt_i32 s25, 24
	s_cbranch_scc0 .LBB7_127
; %bb.120:
	s_wait_xcnt 0x0
	v_cvt_f32_f64_e32 v2, v[0:1]
	v_mov_b32_e32 v5, 0x80
	s_mov_b32 s0, exec_lo
	s_delay_alu instid0(VALU_DEP_2) | instskip(NEXT) | instid1(VALU_DEP_1)
	v_and_b32_e32 v3, 0x7fffffff, v2
	v_cmpx_gt_u32_e32 0x47800000, v3
	s_cbranch_execz .LBB7_126
; %bb.121:
	v_cmp_lt_u32_e32 vcc_lo, 0x37ffffff, v3
	s_mov_b32 s26, 0
                                        ; implicit-def: $vgpr3
	s_and_saveexec_b32 s27, vcc_lo
	s_delay_alu instid0(SALU_CYCLE_1)
	s_xor_b32 s27, exec_lo, s27
	s_cbranch_execz .LBB7_361
; %bb.122:
	v_bfe_u32 v3, v2, 21, 1
	s_mov_b32 s26, exec_lo
	s_delay_alu instid0(VALU_DEP_1) | instskip(NEXT) | instid1(VALU_DEP_1)
	v_add3_u32 v3, v2, v3, 0x88fffff
	v_lshrrev_b32_e32 v3, 21, v3
	s_and_not1_saveexec_b32 s27, s27
	s_cbranch_execnz .LBB7_362
.LBB7_123:
	s_or_b32 exec_lo, exec_lo, s27
	v_mov_b32_e32 v5, 0
	s_and_saveexec_b32 s27, s26
.LBB7_124:
	v_lshrrev_b32_e32 v2, 24, v2
	s_delay_alu instid0(VALU_DEP_1)
	v_and_or_b32 v5, 0x80, v2, v3
.LBB7_125:
	s_or_b32 exec_lo, exec_lo, s27
.LBB7_126:
	s_delay_alu instid0(SALU_CYCLE_1)
	s_or_b32 exec_lo, exec_lo, s0
	s_mov_b32 s0, 0
	global_store_b8 v[6:7], v5, off
.LBB7_127:
	s_and_b32 vcc_lo, exec_lo, s0
	s_cbranch_vccz .LBB7_137
; %bb.128:
	s_wait_xcnt 0x0
	v_cvt_f32_f64_e32 v2, v[0:1]
	s_mov_b32 s0, exec_lo
                                        ; implicit-def: $vgpr3
	s_delay_alu instid0(VALU_DEP_1) | instskip(NEXT) | instid1(VALU_DEP_1)
	v_and_b32_e32 v5, 0x7fffffff, v2
	v_cmpx_gt_u32_e32 0x43f00000, v5
	s_xor_b32 s0, exec_lo, s0
	s_cbranch_execz .LBB7_134
; %bb.129:
	s_mov_b32 s26, exec_lo
                                        ; implicit-def: $vgpr3
	v_cmpx_lt_u32_e32 0x3c7fffff, v5
	s_xor_b32 s26, exec_lo, s26
; %bb.130:
	v_bfe_u32 v3, v2, 20, 1
	s_delay_alu instid0(VALU_DEP_1) | instskip(NEXT) | instid1(VALU_DEP_1)
	v_add3_u32 v3, v2, v3, 0x407ffff
	v_and_b32_e32 v5, 0xff00000, v3
	v_lshrrev_b32_e32 v3, 20, v3
	s_delay_alu instid0(VALU_DEP_2) | instskip(NEXT) | instid1(VALU_DEP_2)
	v_cmp_ne_u32_e32 vcc_lo, 0x7f00000, v5
	v_cndmask_b32_e32 v3, 0x7e, v3, vcc_lo
; %bb.131:
	s_and_not1_saveexec_b32 s26, s26
; %bb.132:
	v_add_f32_e64 v3, 0x46800000, |v2|
; %bb.133:
	s_or_b32 exec_lo, exec_lo, s26
                                        ; implicit-def: $vgpr5
.LBB7_134:
	s_and_not1_saveexec_b32 s0, s0
; %bb.135:
	v_mov_b32_e32 v3, 0x7f
	v_cmp_lt_u32_e32 vcc_lo, 0x7f800000, v5
	s_delay_alu instid0(VALU_DEP_2)
	v_cndmask_b32_e32 v3, 0x7e, v3, vcc_lo
; %bb.136:
	s_or_b32 exec_lo, exec_lo, s0
	v_lshrrev_b32_e32 v2, 24, v2
	s_delay_alu instid0(VALU_DEP_1)
	v_and_or_b32 v2, 0x80, v2, v3
	global_store_b8 v[6:7], v2, off
.LBB7_137:
	s_mov_b32 s0, 0
.LBB7_138:
	s_delay_alu instid0(SALU_CYCLE_1)
	s_and_not1_b32 vcc_lo, exec_lo, s0
	s_cbranch_vccnz .LBB7_148
; %bb.139:
	s_wait_xcnt 0x0
	v_cvt_f32_f64_e32 v2, v[0:1]
	s_mov_b32 s0, exec_lo
                                        ; implicit-def: $vgpr3
	s_delay_alu instid0(VALU_DEP_1) | instskip(NEXT) | instid1(VALU_DEP_1)
	v_and_b32_e32 v5, 0x7fffffff, v2
	v_cmpx_gt_u32_e32 0x47800000, v5
	s_xor_b32 s0, exec_lo, s0
	s_cbranch_execz .LBB7_145
; %bb.140:
	s_mov_b32 s26, exec_lo
                                        ; implicit-def: $vgpr3
	v_cmpx_lt_u32_e32 0x387fffff, v5
	s_xor_b32 s26, exec_lo, s26
; %bb.141:
	v_bfe_u32 v3, v2, 21, 1
	s_delay_alu instid0(VALU_DEP_1) | instskip(NEXT) | instid1(VALU_DEP_1)
	v_add3_u32 v3, v2, v3, 0x80fffff
	v_lshrrev_b32_e32 v3, 21, v3
; %bb.142:
	s_and_not1_saveexec_b32 s26, s26
; %bb.143:
	v_add_f32_e64 v3, 0x43000000, |v2|
; %bb.144:
	s_or_b32 exec_lo, exec_lo, s26
                                        ; implicit-def: $vgpr5
.LBB7_145:
	s_and_not1_saveexec_b32 s0, s0
; %bb.146:
	v_mov_b32_e32 v3, 0x7f
	v_cmp_lt_u32_e32 vcc_lo, 0x7f800000, v5
	s_delay_alu instid0(VALU_DEP_2)
	v_cndmask_b32_e32 v3, 0x7c, v3, vcc_lo
; %bb.147:
	s_or_b32 exec_lo, exec_lo, s0
	v_lshrrev_b32_e32 v2, 24, v2
	s_delay_alu instid0(VALU_DEP_1)
	v_and_or_b32 v2, 0x80, v2, v3
	global_store_b8 v[6:7], v2, off
.LBB7_148:
	s_mov_b32 s26, 0
	s_mov_b32 s0, -1
.LBB7_149:
	s_and_not1_b32 vcc_lo, exec_lo, s26
	s_cbranch_vccnz .LBB7_157
; %bb.150:
	s_cmp_gt_i32 s25, 14
	s_mov_b32 s26, -1
	s_cbranch_scc0 .LBB7_154
; %bb.151:
	s_cmp_eq_u32 s25, 15
	s_mov_b32 s23, -1
	s_cbranch_scc0 .LBB7_153
; %bb.152:
	s_wait_xcnt 0x0
	v_cvt_f32_f64_e32 v2, v[0:1]
	s_mov_b32 s0, -1
	s_mov_b32 s23, 0
	s_delay_alu instid0(VALU_DEP_1) | instskip(SKIP_1) | instid1(VALU_DEP_2)
	v_bfe_u32 v3, v2, 16, 1
	v_cmp_o_f32_e32 vcc_lo, v2, v2
	v_add3_u32 v3, v2, v3, 0x7fff
	s_delay_alu instid0(VALU_DEP_1) | instskip(NEXT) | instid1(VALU_DEP_1)
	v_lshrrev_b32_e32 v3, 16, v3
	v_cndmask_b32_e32 v2, 0x7fc0, v3, vcc_lo
	global_store_b16 v[6:7], v2, off
.LBB7_153:
	s_mov_b32 s26, 0
.LBB7_154:
	s_delay_alu instid0(SALU_CYCLE_1)
	s_and_b32 vcc_lo, exec_lo, s26
	s_cbranch_vccz .LBB7_157
; %bb.155:
	s_cmp_eq_u32 s25, 11
	s_mov_b32 s23, -1
	s_cbranch_scc0 .LBB7_157
; %bb.156:
	v_cmp_neq_f64_e32 vcc_lo, 0, v[0:1]
	s_mov_b32 s0, -1
	s_mov_b32 s23, 0
	s_wait_xcnt 0x0
	v_cndmask_b32_e64 v2, 0, 1, vcc_lo
	global_store_b8 v[6:7], v2, off
.LBB7_157:
.LBB7_158:
	s_and_not1_b32 vcc_lo, exec_lo, s0
	s_cbranch_vccnz .LBB7_269
.LBB7_159:
	v_add_nc_u32_e32 v4, 0x80, v4
	s_mov_b32 s0, -1
	s_branch .LBB7_270
.LBB7_160:
	s_mov_b32 s22, -1
                                        ; implicit-def: $vgpr6_vgpr7
.LBB7_161:
	s_mov_b32 s24, 0
.LBB7_162:
	s_delay_alu instid0(SALU_CYCLE_1)
	s_and_b32 vcc_lo, exec_lo, s24
	s_cbranch_vccz .LBB7_166
; %bb.163:
	s_cmp_eq_u32 s0, 29
	s_cbranch_scc0 .LBB7_165
; %bb.164:
	global_load_b64 v[6:7], v[2:3], off
	s_mov_b32 s23, -1
	s_mov_b32 s22, 0
	s_mov_b32 s24, 0
	s_wait_loadcnt 0x0
	v_cvt_f64_u32_e32 v[8:9], v7
	v_cvt_f64_u32_e32 v[6:7], v6
	s_delay_alu instid0(VALU_DEP_2) | instskip(NEXT) | instid1(VALU_DEP_1)
	v_ldexp_f64 v[8:9], v[8:9], 32
	v_add_f64_e32 v[6:7], v[8:9], v[6:7]
	s_branch .LBB7_167
.LBB7_165:
	s_mov_b32 s22, -1
                                        ; implicit-def: $vgpr6_vgpr7
.LBB7_166:
	s_mov_b32 s24, 0
.LBB7_167:
	s_delay_alu instid0(SALU_CYCLE_1)
	s_and_b32 vcc_lo, exec_lo, s24
	s_cbranch_vccz .LBB7_185
; %bb.168:
	s_cmp_lt_i32 s0, 27
	s_cbranch_scc1 .LBB7_171
; %bb.169:
	s_cmp_gt_i32 s0, 27
	s_cbranch_scc0 .LBB7_172
; %bb.170:
	global_load_b32 v1, v[2:3], off
	s_mov_b32 s23, 0
	s_wait_loadcnt 0x0
	v_cvt_f64_u32_e32 v[6:7], v1
	s_branch .LBB7_173
.LBB7_171:
	s_mov_b32 s23, -1
                                        ; implicit-def: $vgpr6_vgpr7
	s_branch .LBB7_176
.LBB7_172:
	s_mov_b32 s23, -1
                                        ; implicit-def: $vgpr6_vgpr7
.LBB7_173:
	s_delay_alu instid0(SALU_CYCLE_1)
	s_and_not1_b32 vcc_lo, exec_lo, s23
	s_cbranch_vccnz .LBB7_175
; %bb.174:
	global_load_u16 v1, v[2:3], off
	s_wait_loadcnt 0x0
	v_cvt_f64_u32_e32 v[6:7], v1
.LBB7_175:
	s_mov_b32 s23, 0
.LBB7_176:
	s_delay_alu instid0(SALU_CYCLE_1)
	s_and_not1_b32 vcc_lo, exec_lo, s23
	s_cbranch_vccnz .LBB7_184
; %bb.177:
	global_load_u8 v1, v[2:3], off
	s_mov_b32 s23, 0
	s_mov_b32 s24, exec_lo
	s_wait_loadcnt 0x0
	v_cmpx_lt_i16_e32 0x7f, v1
	s_xor_b32 s24, exec_lo, s24
	s_cbranch_execz .LBB7_197
; %bb.178:
	s_mov_b32 s23, -1
	s_mov_b32 s25, exec_lo
	v_cmpx_eq_u16_e32 0x80, v1
; %bb.179:
	s_xor_b32 s23, exec_lo, -1
; %bb.180:
	s_or_b32 exec_lo, exec_lo, s25
	s_delay_alu instid0(SALU_CYCLE_1)
	s_and_b32 s23, s23, exec_lo
	s_or_saveexec_b32 s24, s24
	v_mov_b64_e32 v[6:7], 0x7ff8000020000000
	s_xor_b32 exec_lo, exec_lo, s24
	s_cbranch_execnz .LBB7_198
.LBB7_181:
	s_or_b32 exec_lo, exec_lo, s24
	s_and_saveexec_b32 s24, s23
	s_cbranch_execz .LBB7_183
.LBB7_182:
	v_and_b32_e32 v5, 0xffff, v1
	s_delay_alu instid0(VALU_DEP_1) | instskip(SKIP_1) | instid1(VALU_DEP_2)
	v_and_b32_e32 v6, 7, v5
	v_bfe_u32 v9, v5, 3, 4
	v_clz_i32_u32_e32 v7, v6
	s_delay_alu instid0(VALU_DEP_2) | instskip(NEXT) | instid1(VALU_DEP_2)
	v_cmp_eq_u32_e32 vcc_lo, 0, v9
	v_min_u32_e32 v7, 32, v7
	s_delay_alu instid0(VALU_DEP_1) | instskip(NEXT) | instid1(VALU_DEP_1)
	v_subrev_nc_u32_e32 v8, 28, v7
	v_dual_lshlrev_b32 v5, v8, v5 :: v_dual_sub_nc_u32 v7, 29, v7
	s_delay_alu instid0(VALU_DEP_1) | instskip(NEXT) | instid1(VALU_DEP_2)
	v_and_b32_e32 v5, 7, v5
	v_dual_lshlrev_b32 v1, 24, v1 :: v_dual_cndmask_b32 v7, v9, v7, vcc_lo
	s_delay_alu instid0(VALU_DEP_2) | instskip(NEXT) | instid1(VALU_DEP_2)
	v_cndmask_b32_e32 v5, v6, v5, vcc_lo
	v_and_b32_e32 v1, 0x80000000, v1
	s_delay_alu instid0(VALU_DEP_3) | instskip(NEXT) | instid1(VALU_DEP_3)
	v_lshl_add_u32 v6, v7, 23, 0x3b800000
	v_lshlrev_b32_e32 v5, 20, v5
	s_delay_alu instid0(VALU_DEP_1) | instskip(NEXT) | instid1(VALU_DEP_1)
	v_or3_b32 v1, v1, v6, v5
	v_cvt_f64_f32_e32 v[6:7], v1
.LBB7_183:
	s_or_b32 exec_lo, exec_lo, s24
.LBB7_184:
	s_mov_b32 s23, -1
.LBB7_185:
	s_branch .LBB7_220
.LBB7_186:
	s_cmp_gt_i32 s0, 22
	s_cbranch_scc0 .LBB7_196
; %bb.187:
	s_cmp_lt_i32 s0, 24
	s_cbranch_scc1 .LBB7_199
; %bb.188:
	s_cmp_gt_i32 s0, 24
	s_cbranch_scc0 .LBB7_200
; %bb.189:
	global_load_u8 v1, v[2:3], off
	s_mov_b32 s23, 0
	s_mov_b32 s24, exec_lo
	s_wait_loadcnt 0x0
	v_cmpx_lt_i16_e32 0x7f, v1
	s_xor_b32 s24, exec_lo, s24
	s_cbranch_execz .LBB7_212
; %bb.190:
	s_mov_b32 s23, -1
	s_mov_b32 s25, exec_lo
	v_cmpx_eq_u16_e32 0x80, v1
; %bb.191:
	s_xor_b32 s23, exec_lo, -1
; %bb.192:
	s_or_b32 exec_lo, exec_lo, s25
	s_delay_alu instid0(SALU_CYCLE_1)
	s_and_b32 s23, s23, exec_lo
	s_or_saveexec_b32 s24, s24
	v_mov_b64_e32 v[6:7], 0x7ff8000020000000
	s_xor_b32 exec_lo, exec_lo, s24
	s_cbranch_execnz .LBB7_213
.LBB7_193:
	s_or_b32 exec_lo, exec_lo, s24
	s_and_saveexec_b32 s24, s23
	s_cbranch_execz .LBB7_195
.LBB7_194:
	v_and_b32_e32 v5, 0xffff, v1
	s_delay_alu instid0(VALU_DEP_1) | instskip(SKIP_1) | instid1(VALU_DEP_2)
	v_and_b32_e32 v6, 3, v5
	v_bfe_u32 v9, v5, 2, 5
	v_clz_i32_u32_e32 v7, v6
	s_delay_alu instid0(VALU_DEP_2) | instskip(NEXT) | instid1(VALU_DEP_2)
	v_cmp_eq_u32_e32 vcc_lo, 0, v9
	v_min_u32_e32 v7, 32, v7
	s_delay_alu instid0(VALU_DEP_1) | instskip(NEXT) | instid1(VALU_DEP_1)
	v_subrev_nc_u32_e32 v8, 29, v7
	v_dual_lshlrev_b32 v5, v8, v5 :: v_dual_sub_nc_u32 v7, 30, v7
	s_delay_alu instid0(VALU_DEP_1) | instskip(NEXT) | instid1(VALU_DEP_2)
	v_and_b32_e32 v5, 3, v5
	v_dual_lshlrev_b32 v1, 24, v1 :: v_dual_cndmask_b32 v7, v9, v7, vcc_lo
	s_delay_alu instid0(VALU_DEP_2) | instskip(NEXT) | instid1(VALU_DEP_2)
	v_cndmask_b32_e32 v5, v6, v5, vcc_lo
	v_and_b32_e32 v1, 0x80000000, v1
	s_delay_alu instid0(VALU_DEP_3) | instskip(NEXT) | instid1(VALU_DEP_3)
	v_lshl_add_u32 v6, v7, 23, 0x37800000
	v_lshlrev_b32_e32 v5, 21, v5
	s_delay_alu instid0(VALU_DEP_1) | instskip(NEXT) | instid1(VALU_DEP_1)
	v_or3_b32 v1, v1, v6, v5
	v_cvt_f64_f32_e32 v[6:7], v1
.LBB7_195:
	s_or_b32 exec_lo, exec_lo, s24
	s_mov_b32 s23, 0
	s_branch .LBB7_201
.LBB7_196:
	s_mov_b32 s24, -1
                                        ; implicit-def: $vgpr6_vgpr7
	s_branch .LBB7_207
.LBB7_197:
	s_or_saveexec_b32 s24, s24
	v_mov_b64_e32 v[6:7], 0x7ff8000020000000
	s_xor_b32 exec_lo, exec_lo, s24
	s_cbranch_execz .LBB7_181
.LBB7_198:
	v_cmp_ne_u16_e32 vcc_lo, 0, v1
	v_mov_b64_e32 v[6:7], 0
	s_and_not1_b32 s23, s23, exec_lo
	s_and_b32 s25, vcc_lo, exec_lo
	s_delay_alu instid0(SALU_CYCLE_1)
	s_or_b32 s23, s23, s25
	s_or_b32 exec_lo, exec_lo, s24
	s_and_saveexec_b32 s24, s23
	s_cbranch_execnz .LBB7_182
	s_branch .LBB7_183
.LBB7_199:
	s_mov_b32 s23, -1
                                        ; implicit-def: $vgpr6_vgpr7
	s_branch .LBB7_204
.LBB7_200:
	s_mov_b32 s23, -1
                                        ; implicit-def: $vgpr6_vgpr7
.LBB7_201:
	s_delay_alu instid0(SALU_CYCLE_1)
	s_and_b32 vcc_lo, exec_lo, s23
	s_cbranch_vccz .LBB7_203
; %bb.202:
	global_load_u8 v1, v[2:3], off
	s_wait_loadcnt 0x0
	v_lshlrev_b32_e32 v1, 24, v1
	s_delay_alu instid0(VALU_DEP_1) | instskip(NEXT) | instid1(VALU_DEP_1)
	v_and_b32_e32 v5, 0x7f000000, v1
	v_clz_i32_u32_e32 v6, v5
	v_cmp_ne_u32_e32 vcc_lo, 0, v5
	v_add_nc_u32_e32 v8, 0x1000000, v5
	s_delay_alu instid0(VALU_DEP_3) | instskip(NEXT) | instid1(VALU_DEP_1)
	v_min_u32_e32 v6, 32, v6
	v_sub_nc_u32_e64 v6, v6, 4 clamp
	s_delay_alu instid0(VALU_DEP_1) | instskip(NEXT) | instid1(VALU_DEP_1)
	v_dual_lshlrev_b32 v7, v6, v5 :: v_dual_lshlrev_b32 v6, 23, v6
	v_lshrrev_b32_e32 v7, 4, v7
	s_delay_alu instid0(VALU_DEP_1) | instskip(NEXT) | instid1(VALU_DEP_1)
	v_dual_sub_nc_u32 v6, v7, v6 :: v_dual_ashrrev_i32 v7, 8, v8
	v_add_nc_u32_e32 v6, 0x3c000000, v6
	s_delay_alu instid0(VALU_DEP_1) | instskip(NEXT) | instid1(VALU_DEP_1)
	v_and_or_b32 v6, 0x7f800000, v7, v6
	v_cndmask_b32_e32 v5, 0, v6, vcc_lo
	s_delay_alu instid0(VALU_DEP_1) | instskip(NEXT) | instid1(VALU_DEP_1)
	v_and_or_b32 v1, 0x80000000, v1, v5
	v_cvt_f64_f32_e32 v[6:7], v1
.LBB7_203:
	s_mov_b32 s23, 0
.LBB7_204:
	s_delay_alu instid0(SALU_CYCLE_1)
	s_and_not1_b32 vcc_lo, exec_lo, s23
	s_cbranch_vccnz .LBB7_206
; %bb.205:
	global_load_u8 v1, v[2:3], off
	s_wait_loadcnt 0x0
	v_lshlrev_b32_e32 v5, 25, v1
	v_lshlrev_b16 v1, 8, v1
	s_delay_alu instid0(VALU_DEP_1) | instskip(SKIP_1) | instid1(VALU_DEP_2)
	v_and_or_b32 v7, 0x7f00, v1, 0.5
	v_bfe_i32 v1, v1, 0, 16
	v_dual_add_f32 v7, -0.5, v7 :: v_dual_lshrrev_b32 v6, 4, v5
	v_cmp_gt_u32_e32 vcc_lo, 0x8000000, v5
	s_delay_alu instid0(VALU_DEP_2) | instskip(NEXT) | instid1(VALU_DEP_1)
	v_or_b32_e32 v6, 0x70000000, v6
	v_mul_f32_e32 v6, 0x7800000, v6
	s_delay_alu instid0(VALU_DEP_1) | instskip(NEXT) | instid1(VALU_DEP_1)
	v_cndmask_b32_e32 v5, v6, v7, vcc_lo
	v_and_or_b32 v1, 0x80000000, v1, v5
	s_delay_alu instid0(VALU_DEP_1)
	v_cvt_f64_f32_e32 v[6:7], v1
.LBB7_206:
	s_mov_b32 s24, 0
	s_mov_b32 s23, -1
.LBB7_207:
	s_and_not1_b32 vcc_lo, exec_lo, s24
	s_cbranch_vccnz .LBB7_220
; %bb.208:
	s_cmp_gt_i32 s0, 14
	s_cbranch_scc0 .LBB7_211
; %bb.209:
	s_cmp_eq_u32 s0, 15
	s_cbranch_scc0 .LBB7_214
; %bb.210:
	global_load_u16 v1, v[2:3], off
	s_mov_b32 s23, -1
	s_mov_b32 s22, 0
	s_wait_loadcnt 0x0
	v_lshlrev_b32_e32 v1, 16, v1
	s_delay_alu instid0(VALU_DEP_1)
	v_cvt_f64_f32_e32 v[6:7], v1
	s_branch .LBB7_215
.LBB7_211:
	s_mov_b32 s24, -1
                                        ; implicit-def: $vgpr6_vgpr7
	s_branch .LBB7_216
.LBB7_212:
	s_or_saveexec_b32 s24, s24
	v_mov_b64_e32 v[6:7], 0x7ff8000020000000
	s_xor_b32 exec_lo, exec_lo, s24
	s_cbranch_execz .LBB7_193
.LBB7_213:
	v_cmp_ne_u16_e32 vcc_lo, 0, v1
	v_mov_b64_e32 v[6:7], 0
	s_and_not1_b32 s23, s23, exec_lo
	s_and_b32 s25, vcc_lo, exec_lo
	s_delay_alu instid0(SALU_CYCLE_1)
	s_or_b32 s23, s23, s25
	s_or_b32 exec_lo, exec_lo, s24
	s_and_saveexec_b32 s24, s23
	s_cbranch_execnz .LBB7_194
	s_branch .LBB7_195
.LBB7_214:
	s_mov_b32 s22, -1
                                        ; implicit-def: $vgpr6_vgpr7
.LBB7_215:
	s_mov_b32 s24, 0
.LBB7_216:
	s_delay_alu instid0(SALU_CYCLE_1)
	s_and_b32 vcc_lo, exec_lo, s24
	s_cbranch_vccz .LBB7_220
; %bb.217:
	s_cmp_eq_u32 s0, 11
	s_cbranch_scc0 .LBB7_219
; %bb.218:
	global_load_u8 v1, v[2:3], off
	v_mov_b32_e32 v6, 0
	s_mov_b32 s22, 0
	s_mov_b32 s23, -1
	s_wait_loadcnt 0x0
	v_cmp_ne_u16_e32 vcc_lo, 0, v1
	v_cndmask_b32_e64 v7, 0, 0x3ff00000, vcc_lo
	s_branch .LBB7_220
.LBB7_219:
	s_mov_b32 s22, -1
                                        ; implicit-def: $vgpr6_vgpr7
.LBB7_220:
	s_branch .LBB7_25
.LBB7_221:
	s_cmp_lt_i32 s0, 5
	s_cbranch_scc1 .LBB7_226
; %bb.222:
	s_cmp_lt_i32 s0, 8
	s_cbranch_scc1 .LBB7_227
; %bb.223:
	;; [unrolled: 3-line block ×3, first 2 shown]
	s_cmp_gt_i32 s0, 9
	s_cbranch_scc0 .LBB7_229
; %bb.225:
	global_load_b64 v[6:7], v[2:3], off
	s_mov_b32 s23, 0
	s_branch .LBB7_230
.LBB7_226:
                                        ; implicit-def: $vgpr6_vgpr7
	s_branch .LBB7_248
.LBB7_227:
	s_mov_b32 s23, -1
                                        ; implicit-def: $vgpr6_vgpr7
	s_branch .LBB7_236
.LBB7_228:
	s_mov_b32 s23, -1
                                        ; implicit-def: $vgpr6_vgpr7
	s_branch .LBB7_233
.LBB7_229:
	s_mov_b32 s23, -1
                                        ; implicit-def: $vgpr6_vgpr7
.LBB7_230:
	s_delay_alu instid0(SALU_CYCLE_1)
	s_and_not1_b32 vcc_lo, exec_lo, s23
	s_cbranch_vccnz .LBB7_232
; %bb.231:
	global_load_b32 v1, v[2:3], off
	s_wait_loadcnt 0x0
	v_cvt_f64_f32_e32 v[6:7], v1
.LBB7_232:
	s_mov_b32 s23, 0
.LBB7_233:
	s_delay_alu instid0(SALU_CYCLE_1)
	s_and_not1_b32 vcc_lo, exec_lo, s23
	s_cbranch_vccnz .LBB7_235
; %bb.234:
	global_load_b32 v1, v[2:3], off
	s_wait_loadcnt 0x0
	v_cvt_f32_f16_e32 v1, v1
	s_delay_alu instid0(VALU_DEP_1)
	v_cvt_f64_f32_e32 v[6:7], v1
.LBB7_235:
	s_mov_b32 s23, 0
.LBB7_236:
	s_delay_alu instid0(SALU_CYCLE_1)
	s_and_not1_b32 vcc_lo, exec_lo, s23
	s_cbranch_vccnz .LBB7_247
; %bb.237:
	s_cmp_lt_i32 s0, 6
	s_cbranch_scc1 .LBB7_240
; %bb.238:
	s_cmp_gt_i32 s0, 6
	s_cbranch_scc0 .LBB7_241
; %bb.239:
	s_wait_loadcnt 0x0
	global_load_b64 v[6:7], v[2:3], off
	s_mov_b32 s23, 0
	s_branch .LBB7_242
.LBB7_240:
	s_mov_b32 s23, -1
                                        ; implicit-def: $vgpr6_vgpr7
	s_branch .LBB7_245
.LBB7_241:
	s_mov_b32 s23, -1
                                        ; implicit-def: $vgpr6_vgpr7
.LBB7_242:
	s_delay_alu instid0(SALU_CYCLE_1)
	s_and_not1_b32 vcc_lo, exec_lo, s23
	s_cbranch_vccnz .LBB7_244
; %bb.243:
	global_load_b32 v1, v[2:3], off
	s_wait_loadcnt 0x0
	v_cvt_f64_f32_e32 v[6:7], v1
.LBB7_244:
	s_mov_b32 s23, 0
.LBB7_245:
	s_delay_alu instid0(SALU_CYCLE_1)
	s_and_not1_b32 vcc_lo, exec_lo, s23
	s_cbranch_vccnz .LBB7_247
; %bb.246:
	global_load_u16 v1, v[2:3], off
	s_wait_loadcnt 0x0
	v_cvt_f32_f16_e32 v1, v1
	s_delay_alu instid0(VALU_DEP_1)
	v_cvt_f64_f32_e32 v[6:7], v1
.LBB7_247:
	s_cbranch_execnz .LBB7_267
.LBB7_248:
	s_cmp_lt_i32 s0, 2
	s_cbranch_scc1 .LBB7_252
; %bb.249:
	s_cmp_lt_i32 s0, 3
	s_cbranch_scc1 .LBB7_253
; %bb.250:
	s_cmp_gt_i32 s0, 3
	s_cbranch_scc0 .LBB7_254
; %bb.251:
	s_wait_loadcnt 0x0
	global_load_b64 v[6:7], v[2:3], off
	s_mov_b32 s23, 0
	s_wait_loadcnt 0x0
	v_cvt_f64_i32_e32 v[8:9], v7
	v_cvt_f64_u32_e32 v[6:7], v6
	s_delay_alu instid0(VALU_DEP_2) | instskip(NEXT) | instid1(VALU_DEP_1)
	v_ldexp_f64 v[8:9], v[8:9], 32
	v_add_f64_e32 v[6:7], v[8:9], v[6:7]
	s_branch .LBB7_255
.LBB7_252:
	s_mov_b32 s23, -1
                                        ; implicit-def: $vgpr6_vgpr7
	s_branch .LBB7_261
.LBB7_253:
	s_mov_b32 s23, -1
                                        ; implicit-def: $vgpr6_vgpr7
	s_branch .LBB7_258
.LBB7_254:
	s_mov_b32 s23, -1
                                        ; implicit-def: $vgpr6_vgpr7
.LBB7_255:
	s_delay_alu instid0(SALU_CYCLE_1)
	s_and_not1_b32 vcc_lo, exec_lo, s23
	s_cbranch_vccnz .LBB7_257
; %bb.256:
	global_load_b32 v1, v[2:3], off
	s_wait_loadcnt 0x0
	v_cvt_f64_i32_e32 v[6:7], v1
.LBB7_257:
	s_mov_b32 s23, 0
.LBB7_258:
	s_delay_alu instid0(SALU_CYCLE_1)
	s_and_not1_b32 vcc_lo, exec_lo, s23
	s_cbranch_vccnz .LBB7_260
; %bb.259:
	global_load_i16 v1, v[2:3], off
	s_wait_loadcnt 0x0
	v_cvt_f64_i32_e32 v[6:7], v1
.LBB7_260:
	s_mov_b32 s23, 0
.LBB7_261:
	s_delay_alu instid0(SALU_CYCLE_1)
	s_and_not1_b32 vcc_lo, exec_lo, s23
	s_cbranch_vccnz .LBB7_267
; %bb.262:
	s_cmp_gt_i32 s0, 0
	s_mov_b32 s0, 0
	s_cbranch_scc0 .LBB7_264
; %bb.263:
	global_load_i8 v1, v[2:3], off
	s_wait_loadcnt 0x0
	v_cvt_f64_i32_e32 v[6:7], v1
	s_branch .LBB7_265
.LBB7_264:
	s_mov_b32 s0, -1
                                        ; implicit-def: $vgpr6_vgpr7
.LBB7_265:
	s_delay_alu instid0(SALU_CYCLE_1)
	s_and_not1_b32 vcc_lo, exec_lo, s0
	s_cbranch_vccnz .LBB7_267
; %bb.266:
	global_load_u8 v1, v[2:3], off
	s_wait_loadcnt 0x0
	v_cvt_f64_u32_e32 v[6:7], v1
.LBB7_267:
	s_branch .LBB7_26
.LBB7_268:
	s_mov_b32 s23, 0
.LBB7_269:
	s_mov_b32 s0, 0
                                        ; implicit-def: $vgpr4
.LBB7_270:
	s_and_b32 s39, s23, exec_lo
	s_and_b32 s40, s22, exec_lo
	s_or_not1_b32 s23, s0, exec_lo
.LBB7_271:
	s_wait_xcnt 0x0
	s_or_b32 exec_lo, exec_lo, s41
	s_mov_b32 s22, 0
	s_mov_b32 s0, 0
                                        ; implicit-def: $vgpr0_vgpr1
                                        ; implicit-def: $vgpr2
                                        ; implicit-def: $vgpr6_vgpr7
	s_and_saveexec_b32 s41, s23
	s_cbranch_execz .LBB7_279
; %bb.272:
	s_mov_b32 s0, -1
	s_mov_b32 s42, s40
	s_mov_b32 s43, s39
	s_mov_b32 s44, exec_lo
	v_cmpx_gt_i32_e64 s36, v4
	s_cbranch_execz .LBB7_553
; %bb.273:
	s_and_not1_b32 vcc_lo, exec_lo, s31
	s_cbranch_vccnz .LBB7_282
; %bb.274:
	s_and_not1_b32 vcc_lo, exec_lo, s38
	s_cbranch_vccnz .LBB7_283
; %bb.275:
	s_add_co_i32 s0, s37, 1
	s_cmp_eq_u32 s29, 2
	s_cbranch_scc1 .LBB7_284
; %bb.276:
	v_dual_mov_b32 v0, 0 :: v_dual_mov_b32 v2, 0
	v_mov_b32_e32 v3, v4
	s_and_b32 s22, s0, 28
	s_mov_b32 s23, 0
	s_mov_b64 s[24:25], s[2:3]
	s_mov_b64 s[26:27], s[20:21]
.LBB7_277:                              ; =>This Inner Loop Header: Depth=1
	s_clause 0x1
	s_load_b256 s[48:55], s[24:25], 0x4
	s_load_b128 s[64:67], s[24:25], 0x24
	s_load_b256 s[56:63], s[26:27], 0x0
	s_add_co_i32 s23, s23, 4
	s_wait_xcnt 0x0
	s_add_nc_u64 s[24:25], s[24:25], 48
	s_cmp_eq_u32 s22, s23
	s_add_nc_u64 s[26:27], s[26:27], 32
	s_wait_kmcnt 0x0
	v_mul_hi_u32 v1, s49, v3
	s_delay_alu instid0(VALU_DEP_1) | instskip(NEXT) | instid1(VALU_DEP_1)
	v_add_nc_u32_e32 v1, v3, v1
	v_lshrrev_b32_e32 v1, s50, v1
	s_wait_loadcnt 0x0
	s_delay_alu instid0(VALU_DEP_1) | instskip(NEXT) | instid1(VALU_DEP_1)
	v_mul_lo_u32 v7, v1, s48
	v_sub_nc_u32_e32 v3, v3, v7
	v_mul_hi_u32 v5, s52, v1
	s_delay_alu instid0(VALU_DEP_2) | instskip(SKIP_1) | instid1(VALU_DEP_3)
	v_mad_u32 v2, v3, s57, v2
	v_mad_u32 v0, v3, s56, v0
	v_add_nc_u32_e32 v5, v1, v5
	s_delay_alu instid0(VALU_DEP_1) | instskip(NEXT) | instid1(VALU_DEP_1)
	v_lshrrev_b32_e32 v5, s53, v5
	v_mul_lo_u32 v7, v5, s51
	s_delay_alu instid0(VALU_DEP_1) | instskip(SKIP_1) | instid1(VALU_DEP_2)
	v_sub_nc_u32_e32 v1, v1, v7
	v_mul_hi_u32 v6, s55, v5
	v_mad_u32 v2, v1, s59, v2
	v_mad_u32 v0, v1, s58, v0
	s_delay_alu instid0(VALU_DEP_3) | instskip(NEXT) | instid1(VALU_DEP_1)
	v_add_nc_u32_e32 v6, v5, v6
	v_lshrrev_b32_e32 v6, s64, v6
	s_delay_alu instid0(VALU_DEP_1) | instskip(SKIP_1) | instid1(VALU_DEP_1)
	v_mul_hi_u32 v8, s66, v6
	v_mul_lo_u32 v7, v6, s54
	v_dual_add_nc_u32 v3, v6, v8 :: v_dual_sub_nc_u32 v1, v5, v7
	s_delay_alu instid0(VALU_DEP_1) | instskip(NEXT) | instid1(VALU_DEP_2)
	v_lshrrev_b32_e32 v3, s67, v3
	v_mad_u32 v2, v1, s61, v2
	v_mad_u32 v0, v1, s60, v0
	s_delay_alu instid0(VALU_DEP_3) | instskip(NEXT) | instid1(VALU_DEP_1)
	v_mul_lo_u32 v5, v3, s65
	v_sub_nc_u32_e32 v1, v6, v5
	s_delay_alu instid0(VALU_DEP_1) | instskip(NEXT) | instid1(VALU_DEP_4)
	v_mad_u32 v2, v1, s63, v2
	v_mad_u32 v0, v1, s62, v0
	s_cbranch_scc0 .LBB7_277
; %bb.278:
	s_delay_alu instid0(VALU_DEP_2)
	v_mov_b32_e32 v1, v2
	s_branch .LBB7_285
.LBB7_279:
	s_or_b32 exec_lo, exec_lo, s41
	s_mov_b32 s1, 0
	s_and_saveexec_b32 s6, s40
	s_cbranch_execnz .LBB7_938
.LBB7_280:
	s_or_b32 exec_lo, exec_lo, s6
	s_and_saveexec_b32 s6, s17
	s_delay_alu instid0(SALU_CYCLE_1)
	s_xor_b32 s6, exec_lo, s6
	s_cbranch_execz .LBB7_939
.LBB7_281:
	global_load_u8 v3, v[0:1], off
	s_wait_loadcnt 0x1
	v_mov_b32_e32 v6, 0
	s_or_b32 s0, s0, exec_lo
	s_wait_loadcnt 0x0
	v_cmp_ne_u16_e32 vcc_lo, 0, v3
	v_cndmask_b32_e64 v7, 0, 0x3ff00000, vcc_lo
	s_wait_xcnt 0x0
	s_or_b32 exec_lo, exec_lo, s6
	s_and_saveexec_b32 s6, s22
	s_cbranch_execz .LBB7_985
	s_branch .LBB7_940
.LBB7_282:
                                        ; implicit-def: $vgpr2
                                        ; implicit-def: $vgpr0
	s_and_not1_b32 vcc_lo, exec_lo, s0
	s_cbranch_vccnz .LBB7_292
	s_branch .LBB7_290
.LBB7_283:
	v_dual_mov_b32 v2, 0 :: v_dual_mov_b32 v0, 0
	s_branch .LBB7_289
.LBB7_284:
	v_mov_b64_e32 v[0:1], 0
	v_mov_b32_e32 v3, v4
                                        ; implicit-def: $vgpr2
.LBB7_285:
	s_and_b32 s0, s0, 3
	s_mov_b32 s23, 0
	s_cmp_eq_u32 s0, 0
	s_cbranch_scc1 .LBB7_289
; %bb.286:
	s_lshl_b32 s24, s22, 3
	s_mov_b32 s25, s23
	s_mul_u64 s[26:27], s[22:23], 12
	s_add_nc_u64 s[24:25], s[2:3], s[24:25]
	s_delay_alu instid0(SALU_CYCLE_1)
	s_add_nc_u64 s[22:23], s[24:25], 0xc4
	s_add_nc_u64 s[24:25], s[2:3], s[26:27]
.LBB7_287:                              ; =>This Inner Loop Header: Depth=1
	s_load_b96 s[48:50], s[24:25], 0x4
	s_load_b64 s[26:27], s[22:23], 0x0
	s_add_co_i32 s0, s0, -1
	s_wait_xcnt 0x0
	s_add_nc_u64 s[24:25], s[24:25], 12
	s_cmp_lg_u32 s0, 0
	s_add_nc_u64 s[22:23], s[22:23], 8
	s_wait_kmcnt 0x0
	v_mul_hi_u32 v2, s49, v3
	s_delay_alu instid0(VALU_DEP_1) | instskip(NEXT) | instid1(VALU_DEP_1)
	v_add_nc_u32_e32 v2, v3, v2
	v_lshrrev_b32_e32 v2, s50, v2
	s_delay_alu instid0(VALU_DEP_1) | instskip(NEXT) | instid1(VALU_DEP_1)
	v_mul_lo_u32 v5, v2, s48
	v_sub_nc_u32_e32 v3, v3, v5
	s_delay_alu instid0(VALU_DEP_1)
	v_mad_u32 v1, v3, s27, v1
	v_mad_u32 v0, v3, s26, v0
	v_mov_b32_e32 v3, v2
	s_cbranch_scc1 .LBB7_287
; %bb.288:
	s_delay_alu instid0(VALU_DEP_3)
	v_mov_b32_e32 v2, v1
.LBB7_289:
	s_cbranch_execnz .LBB7_292
.LBB7_290:
	v_mov_b32_e32 v5, 0
	s_and_not1_b32 vcc_lo, exec_lo, s35
	s_delay_alu instid0(VALU_DEP_1) | instskip(NEXT) | instid1(VALU_DEP_1)
	v_mul_u64_e32 v[0:1], s[16:17], v[4:5]
	v_add_nc_u32_e32 v0, v4, v1
	s_wait_loadcnt 0x0
	s_delay_alu instid0(VALU_DEP_1) | instskip(NEXT) | instid1(VALU_DEP_1)
	v_lshrrev_b32_e32 v6, s14, v0
	v_mul_lo_u32 v0, v6, s12
	s_delay_alu instid0(VALU_DEP_1) | instskip(NEXT) | instid1(VALU_DEP_1)
	v_sub_nc_u32_e32 v0, v4, v0
	v_mul_lo_u32 v2, v0, s9
	v_mul_lo_u32 v0, v0, s8
	s_cbranch_vccnz .LBB7_292
; %bb.291:
	v_mov_b32_e32 v7, v5
	s_delay_alu instid0(VALU_DEP_1) | instskip(NEXT) | instid1(VALU_DEP_1)
	v_mul_u64_e32 v[8:9], s[18:19], v[6:7]
	v_add_nc_u32_e32 v1, v6, v9
	s_delay_alu instid0(VALU_DEP_1) | instskip(NEXT) | instid1(VALU_DEP_1)
	v_lshrrev_b32_e32 v1, s1, v1
	v_mul_lo_u32 v1, v1, s15
	s_delay_alu instid0(VALU_DEP_1) | instskip(NEXT) | instid1(VALU_DEP_1)
	v_sub_nc_u32_e32 v1, v6, v1
	v_mad_u32 v0, v1, s10, v0
	v_mad_u32 v2, v1, s11, v2
.LBB7_292:
	v_mov_b32_e32 v3, 0
	s_and_b32 s0, 0xffff, s13
	s_delay_alu instid0(SALU_CYCLE_1) | instskip(NEXT) | instid1(VALU_DEP_1)
	s_cmp_lt_i32 s0, 11
	v_add_nc_u64_e32 v[2:3], s[6:7], v[2:3]
	s_cbranch_scc1 .LBB7_299
; %bb.293:
	s_cmp_gt_i32 s0, 25
	s_cbranch_scc0 .LBB7_352
; %bb.294:
	s_cmp_gt_i32 s0, 28
	s_cbranch_scc0 .LBB7_353
; %bb.295:
	s_cmp_gt_i32 s0, 43
	s_cbranch_scc0 .LBB7_355
; %bb.296:
	s_cmp_gt_i32 s0, 45
	s_cbranch_scc0 .LBB7_359
; %bb.297:
	s_cmp_eq_u32 s0, 46
	s_mov_b32 s24, 0
	s_cbranch_scc0 .LBB7_363
; %bb.298:
	global_load_b32 v1, v[2:3], off
	s_mov_b32 s23, -1
	s_mov_b32 s22, 0
	s_wait_loadcnt 0x0
	v_lshlrev_b32_e32 v1, 16, v1
	s_delay_alu instid0(VALU_DEP_1)
	v_cvt_f64_f32_e32 v[6:7], v1
	s_branch .LBB7_365
.LBB7_299:
	s_mov_b32 s23, 0
	s_mov_b32 s22, s40
                                        ; implicit-def: $vgpr6_vgpr7
	s_cbranch_execnz .LBB7_502
.LBB7_300:
	s_and_not1_b32 vcc_lo, exec_lo, s23
	s_cbranch_vccnz .LBB7_550
.LBB7_301:
	s_wait_loadcnt 0x0
	s_delay_alu instid0(VALU_DEP_1) | instskip(SKIP_2) | instid1(SALU_CYCLE_1)
	v_cmp_ngt_f64_e64 s0, 0x41d00000, |v[6:7]|
                                        ; implicit-def: $vgpr1
                                        ; implicit-def: $vgpr2_vgpr3
                                        ; implicit-def: $vgpr8_vgpr9
	s_wait_xcnt 0x0
	s_and_saveexec_b32 s23, s0
	s_xor_b32 s0, exec_lo, s23
	s_cbranch_execz .LBB7_303
; %bb.302:
	v_ldexp_f64 v[2:3], |v[6:7]|, 0xffffff80
	v_cmp_le_f64_e64 vcc_lo, 0x7b000000, |v[6:7]|
	v_trig_preop_f64 v[8:9], |v[6:7]|, 0
	v_and_b32_e32 v1, 0x7fffffff, v7
	v_trig_preop_f64 v[10:11], |v[6:7]|, 1
	v_trig_preop_f64 v[20:21], |v[6:7]|, 2
	s_mov_b64 s[24:25], 0x3ff921fb54442d18
	s_delay_alu instid0(VALU_DEP_3) | instskip(SKIP_1) | instid1(VALU_DEP_1)
	v_dual_mov_b32 v28, 0 :: v_dual_cndmask_b32 v3, v1, v3
	v_cndmask_b32_e32 v2, v6, v2, vcc_lo
	v_mul_f64_e32 v[12:13], v[8:9], v[2:3]
	v_mul_f64_e32 v[14:15], v[10:11], v[2:3]
	;; [unrolled: 1-line block ×3, first 2 shown]
	s_delay_alu instid0(VALU_DEP_3) | instskip(NEXT) | instid1(VALU_DEP_3)
	v_fma_f64 v[8:9], v[8:9], v[2:3], -v[12:13]
	v_fma_f64 v[10:11], v[10:11], v[2:3], -v[14:15]
	s_delay_alu instid0(VALU_DEP_3) | instskip(NEXT) | instid1(VALU_DEP_3)
	v_fma_f64 v[2:3], v[20:21], v[2:3], -v[26:27]
	v_add_f64_e32 v[16:17], v[14:15], v[8:9]
	s_delay_alu instid0(VALU_DEP_1) | instskip(SKIP_1) | instid1(VALU_DEP_2)
	v_add_f64_e64 v[18:19], v[16:17], -v[14:15]
	v_add_f64_e32 v[24:25], v[12:13], v[16:17]
	v_add_f64_e64 v[22:23], v[16:17], -v[18:19]
	v_add_f64_e64 v[8:9], v[8:9], -v[18:19]
	s_delay_alu instid0(VALU_DEP_3) | instskip(NEXT) | instid1(VALU_DEP_3)
	v_ldexp_f64 v[18:19], v[24:25], -2
	v_add_f64_e64 v[14:15], v[14:15], -v[22:23]
	v_add_f64_e32 v[22:23], v[26:27], v[10:11]
	s_delay_alu instid0(VALU_DEP_3) | instskip(NEXT) | instid1(VALU_DEP_3)
	v_cmp_neq_f64_e64 vcc_lo, 0x7ff00000, |v[18:19]|
	v_add_f64_e32 v[8:9], v[8:9], v[14:15]
	v_fract_f64_e32 v[14:15], v[18:19]
	s_delay_alu instid0(VALU_DEP_1) | instskip(NEXT) | instid1(VALU_DEP_1)
	v_ldexp_f64 v[14:15], v[14:15], 2
	v_dual_add_f64 v[12:13], v[24:25], -v[12:13] :: v_dual_cndmask_b32 v14, 0, v14, vcc_lo
	s_delay_alu instid0(VALU_DEP_1) | instskip(SKIP_1) | instid1(VALU_DEP_1)
	v_dual_add_f64 v[12:13], v[16:17], -v[12:13] :: v_dual_cndmask_b32 v15, 0, v15, vcc_lo
	v_add_f64_e32 v[16:17], v[22:23], v[8:9]
	v_add_f64_e32 v[18:19], v[12:13], v[16:17]
	v_add_f64_e64 v[30:31], v[16:17], -v[22:23]
	s_delay_alu instid0(VALU_DEP_2) | instskip(NEXT) | instid1(VALU_DEP_2)
	v_add_f64_e32 v[24:25], v[18:19], v[14:15]
	v_add_f64_e64 v[36:37], v[16:17], -v[30:31]
	v_add_f64_e64 v[8:9], v[8:9], -v[30:31]
	;; [unrolled: 1-line block ×3, first 2 shown]
	s_delay_alu instid0(VALU_DEP_4) | instskip(SKIP_1) | instid1(VALU_DEP_3)
	v_cmp_gt_f64_e32 vcc_lo, 0, v[24:25]
	v_add_f64_e64 v[24:25], v[22:23], -v[26:27]
	v_add_f64_e64 v[12:13], v[16:17], -v[12:13]
	v_cndmask_b32_e64 v29, 0, 0x40100000, vcc_lo
	s_delay_alu instid0(VALU_DEP_3) | instskip(SKIP_2) | instid1(VALU_DEP_4)
	v_add_f64_e64 v[34:35], v[22:23], -v[24:25]
	v_add_f64_e64 v[10:11], v[10:11], -v[24:25]
	;; [unrolled: 1-line block ×3, first 2 shown]
	v_add_f64_e32 v[14:15], v[14:15], v[28:29]
	s_delay_alu instid0(VALU_DEP_4) | instskip(NEXT) | instid1(VALU_DEP_3)
	v_add_f64_e64 v[24:25], v[26:27], -v[34:35]
	v_add_f64_e32 v[8:9], v[8:9], v[22:23]
	s_delay_alu instid0(VALU_DEP_3) | instskip(NEXT) | instid1(VALU_DEP_3)
	v_add_f64_e32 v[32:33], v[18:19], v[14:15]
	v_add_f64_e32 v[10:11], v[10:11], v[24:25]
	s_delay_alu instid0(VALU_DEP_2) | instskip(NEXT) | instid1(VALU_DEP_2)
	v_cvt_i32_f64_e32 v1, v[32:33]
	v_add_f64_e32 v[8:9], v[10:11], v[8:9]
	s_delay_alu instid0(VALU_DEP_2) | instskip(NEXT) | instid1(VALU_DEP_2)
	v_cvt_f64_i32_e32 v[30:31], v1
	v_add_f64_e32 v[2:3], v[2:3], v[8:9]
	s_delay_alu instid0(VALU_DEP_2) | instskip(NEXT) | instid1(VALU_DEP_2)
	v_add_f64_e64 v[14:15], v[14:15], -v[30:31]
	v_add_f64_e32 v[2:3], v[12:13], v[2:3]
	s_delay_alu instid0(VALU_DEP_2) | instskip(NEXT) | instid1(VALU_DEP_1)
	v_add_f64_e32 v[10:11], v[18:19], v[14:15]
	v_add_f64_e64 v[8:9], v[10:11], -v[14:15]
	v_cmp_le_f64_e32 vcc_lo, 0.5, v[10:11]
	s_delay_alu instid0(VALU_DEP_2) | instskip(SKIP_2) | instid1(VALU_DEP_3)
	v_add_f64_e64 v[8:9], v[18:19], -v[8:9]
	v_cndmask_b32_e64 v29, 0, 0x3ff00000, vcc_lo
	v_add_co_ci_u32_e64 v1, null, 0, v1, vcc_lo
	v_add_f64_e32 v[2:3], v[2:3], v[8:9]
	s_delay_alu instid0(VALU_DEP_3) | instskip(NEXT) | instid1(VALU_DEP_1)
	v_add_f64_e64 v[8:9], v[10:11], -v[28:29]
	v_add_f64_e32 v[10:11], v[8:9], v[2:3]
	s_delay_alu instid0(VALU_DEP_1) | instskip(SKIP_1) | instid1(VALU_DEP_2)
	v_mul_f64_e32 v[12:13], 0x3ff921fb54442d18, v[10:11]
	v_add_f64_e64 v[8:9], v[10:11], -v[8:9]
	v_fma_f64 v[14:15], v[10:11], s[24:25], -v[12:13]
	s_delay_alu instid0(VALU_DEP_2) | instskip(NEXT) | instid1(VALU_DEP_2)
	v_add_f64_e64 v[2:3], v[2:3], -v[8:9]
	v_fmamk_f64 v[8:9], v[10:11], 0x3c91a62633145c07, v[14:15]
	s_delay_alu instid0(VALU_DEP_1) | instskip(NEXT) | instid1(VALU_DEP_1)
	v_fmac_f64_e32 v[8:9], 0x3ff921fb54442d18, v[2:3]
	v_add_f64_e32 v[2:3], v[12:13], v[8:9]
	s_delay_alu instid0(VALU_DEP_1) | instskip(NEXT) | instid1(VALU_DEP_1)
	v_add_f64_e64 v[10:11], v[2:3], -v[12:13]
	v_add_f64_e64 v[8:9], v[8:9], -v[10:11]
.LBB7_303:
	s_and_not1_saveexec_b32 s0, s0
	s_cbranch_execz .LBB7_305
; %bb.304:
	s_mov_b64 s[24:25], 0x3fe45f306dc9c883
	s_delay_alu instid0(SALU_CYCLE_1) | instskip(SKIP_1) | instid1(VALU_DEP_1)
	v_mul_f64_e64 v[2:3], |v[6:7]|, s[24:25]
	s_mov_b64 s[24:25], 0xbff921fb54442d18
	v_rndne_f64_e32 v[10:11], v[2:3]
	s_delay_alu instid0(VALU_DEP_1) | instskip(SKIP_2) | instid1(VALU_DEP_3)
	v_fma_f64 v[2:3], v[10:11], s[24:25], |v[6:7]|
	v_mul_f64_e32 v[8:9], 0xbc91a62633145c00, v[10:11]
	v_cvt_i32_f64_e32 v1, v[10:11]
	v_fmamk_f64 v[16:17], v[10:11], 0xbc91a62633145c00, v[2:3]
	s_delay_alu instid0(VALU_DEP_3) | instskip(NEXT) | instid1(VALU_DEP_1)
	v_add_f64_e32 v[12:13], v[2:3], v[8:9]
	v_add_f64_e64 v[14:15], v[2:3], -v[12:13]
	s_delay_alu instid0(VALU_DEP_3) | instskip(NEXT) | instid1(VALU_DEP_2)
	v_add_f64_e64 v[2:3], v[12:13], -v[16:17]
	v_add_f64_e32 v[12:13], v[14:15], v[8:9]
	v_fmamk_f64 v[8:9], v[10:11], 0x3c91a62633145c00, v[8:9]
	s_delay_alu instid0(VALU_DEP_2) | instskip(NEXT) | instid1(VALU_DEP_1)
	v_add_f64_e32 v[2:3], v[2:3], v[12:13]
	v_add_f64_e64 v[2:3], v[2:3], -v[8:9]
	s_delay_alu instid0(VALU_DEP_1) | instskip(NEXT) | instid1(VALU_DEP_1)
	v_fmamk_f64 v[8:9], v[10:11], 0xb97b839a252049c0, v[2:3]
	v_add_f64_e32 v[2:3], v[16:17], v[8:9]
	s_delay_alu instid0(VALU_DEP_1) | instskip(NEXT) | instid1(VALU_DEP_1)
	v_add_f64_e64 v[12:13], v[2:3], -v[16:17]
	v_add_f64_e64 v[8:9], v[8:9], -v[12:13]
.LBB7_305:
	s_or_b32 exec_lo, exec_lo, s0
	v_dual_mul_f64 v[10:11], v[2:3], v[2:3] :: v_dual_bitop2_b32 v5, 1, v1 bitop3:0x40
	v_cmp_class_f64_e64 s0, v[6:7], 0x1f8
	s_mov_b64 s[24:25], 0x3de5e0b2f9a43bb8
	s_and_b32 s23, s34, 0xff
	v_lshlrev_b32_e32 v1, 30, v1
	v_cmp_eq_u32_e32 vcc_lo, 0, v5
	v_mul_f64_e32 v[18:19], 0.5, v[8:9]
	s_cmp_lt_i32 s23, 11
	s_delay_alu instid0(VALU_DEP_3) | instskip(NEXT) | instid1(VALU_DEP_1)
	v_dual_mov_b32 v1, 0 :: v_dual_bitop2_b32 v5, v1, v7 bitop3:0x14
	v_add_nc_u64_e32 v[6:7], s[4:5], v[0:1]
	v_mul_f64_e32 v[12:13], 0.5, v[10:11]
	v_mul_f64_e64 v[20:21], v[2:3], -v[10:11]
	v_fmaak_f64 v[22:23], s[24:25], v[10:11], 0xbe5ae600b42fdfa7
	s_mov_b64 s[24:25], 0xbda907db46cc5e42
	s_delay_alu instid0(VALU_DEP_3) | instskip(NEXT) | instid1(VALU_DEP_1)
	v_add_f64_e64 v[14:15], -v[12:13], 1.0
	v_add_f64_e64 v[16:17], -v[14:15], 1.0
	s_delay_alu instid0(VALU_DEP_1) | instskip(NEXT) | instid1(VALU_DEP_4)
	v_add_f64_e64 v[12:13], v[16:17], -v[12:13]
	v_fmaak_f64 v[16:17], v[10:11], v[22:23], 0x3ec71de3796cde01
	v_mul_f64_e32 v[22:23], v[10:11], v[10:11]
	s_delay_alu instid0(VALU_DEP_2) | instskip(NEXT) | instid1(VALU_DEP_1)
	v_fmaak_f64 v[16:17], v[10:11], v[16:17], 0xbf2a01a019e83e5c
	v_fmaak_f64 v[16:17], v[10:11], v[16:17], 0x3f81111111110bb3
	s_delay_alu instid0(VALU_DEP_1) | instskip(SKIP_3) | instid1(VALU_DEP_1)
	v_fmac_f64_e32 v[18:19], v[20:21], v[16:17]
	v_fmaak_f64 v[16:17], s[24:25], v[10:11], 0x3e21eeb69037ab78
	s_mov_b32 s25, 0
	s_mov_b32 s24, -1
	v_fmaak_f64 v[16:17], v[10:11], v[16:17], 0xbe927e4fa17f65f6
	v_fma_f64 v[12:13], v[2:3], -v[8:9], v[12:13]
	s_delay_alu instid0(VALU_DEP_2) | instskip(NEXT) | instid1(VALU_DEP_1)
	v_fmaak_f64 v[16:17], v[10:11], v[16:17], 0x3efa01a019f4ec90
	v_fmaak_f64 v[16:17], v[10:11], v[16:17], 0xbf56c16c16c16967
	v_fma_f64 v[8:9], v[10:11], v[18:19], -v[8:9]
	s_delay_alu instid0(VALU_DEP_2) | instskip(NEXT) | instid1(VALU_DEP_1)
	v_fmaak_f64 v[10:11], v[10:11], v[16:17], 0x3fa5555555555555
	v_fmac_f64_e32 v[12:13], v[22:23], v[10:11]
	s_delay_alu instid0(VALU_DEP_3) | instskip(NEXT) | instid1(VALU_DEP_1)
	v_fmamk_f64 v[8:9], v[20:21], 0xbfc5555555555555, v[8:9]
	v_add_f64_e64 v[2:3], v[2:3], -v[8:9]
	s_delay_alu instid0(VALU_DEP_3) | instskip(NEXT) | instid1(VALU_DEP_1)
	v_add_f64_e32 v[8:9], v[14:15], v[12:13]
	v_dual_cndmask_b32 v3, v9, v3 :: v_dual_cndmask_b32 v2, v8, v2
	s_delay_alu instid0(VALU_DEP_1) | instskip(NEXT) | instid1(VALU_DEP_2)
	v_bitop3_b32 v3, v3, v5, 0x80000000 bitop3:0x78
	v_cndmask_b32_e64 v0, 0, v2, s0
	s_delay_alu instid0(VALU_DEP_2)
	v_cndmask_b32_e64 v1, 0x7ff80000, v3, s0
	s_mov_b32 s0, s39
	s_cbranch_scc1 .LBB7_312
; %bb.306:
	s_and_b32 s24, 0xffff, s23
	s_delay_alu instid0(SALU_CYCLE_1)
	s_cmp_gt_i32 s24, 25
	s_cbranch_scc0 .LBB7_354
; %bb.307:
	s_cmp_gt_i32 s24, 28
	s_cbranch_scc0 .LBB7_356
; %bb.308:
	;; [unrolled: 3-line block ×4, first 2 shown]
	s_mov_b32 s26, 0
	s_mov_b32 s0, -1
	s_cmp_eq_u32 s24, 46
	s_cbranch_scc0 .LBB7_369
; %bb.311:
	v_cvt_f32_f64_e32 v2, v[0:1]
	s_mov_b32 s25, -1
	s_mov_b32 s0, 0
	s_delay_alu instid0(VALU_DEP_1) | instskip(SKIP_1) | instid1(VALU_DEP_2)
	v_bfe_u32 v3, v2, 16, 1
	v_cmp_o_f32_e32 vcc_lo, v2, v2
	v_add3_u32 v3, v2, v3, 0x7fff
	s_delay_alu instid0(VALU_DEP_1) | instskip(NEXT) | instid1(VALU_DEP_1)
	v_lshrrev_b32_e32 v3, 16, v3
	v_cndmask_b32_e32 v2, 0x7fc0, v3, vcc_lo
	global_store_b32 v[6:7], v2, off
	s_branch .LBB7_369
.LBB7_312:
	s_and_b32 vcc_lo, exec_lo, s24
	s_cbranch_vccz .LBB7_438
; %bb.313:
	s_and_b32 s23, 0xffff, s23
	s_mov_b32 s24, -1
	s_cmp_lt_i32 s23, 5
	s_cbranch_scc1 .LBB7_334
; %bb.314:
	s_cmp_lt_i32 s23, 8
	s_cbranch_scc1 .LBB7_324
; %bb.315:
	;; [unrolled: 3-line block ×3, first 2 shown]
	s_cmp_gt_i32 s23, 9
	s_cbranch_scc0 .LBB7_318
; %bb.317:
	s_wait_xcnt 0x0
	v_mov_b64_e32 v[2:3], 0
	s_mov_b32 s24, 0
	global_store_b128 v[6:7], v[0:3], off
.LBB7_318:
	s_and_not1_b32 vcc_lo, exec_lo, s24
	s_cbranch_vccnz .LBB7_320
; %bb.319:
	s_wait_xcnt 0x0
	v_cvt_f32_f64_e32 v2, v[0:1]
	v_mov_b32_e32 v3, 0
	global_store_b64 v[6:7], v[2:3], off
.LBB7_320:
	s_mov_b32 s24, 0
.LBB7_321:
	s_delay_alu instid0(SALU_CYCLE_1)
	s_and_not1_b32 vcc_lo, exec_lo, s24
	s_cbranch_vccnz .LBB7_323
; %bb.322:
	s_wait_xcnt 0x0
	v_and_or_b32 v2, 0x1ff, v1, v0
	v_lshrrev_b32_e32 v3, 8, v1
	v_bfe_u32 v5, v1, 20, 11
	s_delay_alu instid0(VALU_DEP_3) | instskip(NEXT) | instid1(VALU_DEP_2)
	v_cmp_ne_u32_e32 vcc_lo, 0, v2
	v_sub_nc_u32_e32 v8, 0x3f1, v5
	v_add_nc_u32_e32 v5, 0xfffffc10, v5
	v_cndmask_b32_e64 v2, 0, 1, vcc_lo
	s_delay_alu instid0(VALU_DEP_1) | instskip(NEXT) | instid1(VALU_DEP_4)
	v_and_or_b32 v2, 0xffe, v3, v2
	v_med3_i32 v3, v8, 0, 13
	s_delay_alu instid0(VALU_DEP_2) | instskip(NEXT) | instid1(VALU_DEP_1)
	v_or_b32_e32 v8, 0x1000, v2
	v_lshrrev_b32_e32 v9, v3, v8
	s_delay_alu instid0(VALU_DEP_1) | instskip(NEXT) | instid1(VALU_DEP_1)
	v_lshlrev_b32_e32 v3, v3, v9
	v_cmp_ne_u32_e32 vcc_lo, v3, v8
	v_lshl_or_b32 v8, v5, 12, v2
	v_cndmask_b32_e64 v3, 0, 1, vcc_lo
	v_cmp_gt_i32_e32 vcc_lo, 1, v5
	s_delay_alu instid0(VALU_DEP_2) | instskip(NEXT) | instid1(VALU_DEP_1)
	v_or_b32_e32 v3, v9, v3
	v_cndmask_b32_e32 v3, v8, v3, vcc_lo
	s_delay_alu instid0(VALU_DEP_1) | instskip(NEXT) | instid1(VALU_DEP_1)
	v_dual_lshrrev_b32 v3, 2, v3 :: v_dual_bitop2_b32 v8, 7, v3 bitop3:0x40
	v_cmp_lt_i32_e32 vcc_lo, 5, v8
	v_cndmask_b32_e64 v9, 0, 1, vcc_lo
	v_cmp_eq_u32_e32 vcc_lo, 3, v8
	v_cndmask_b32_e64 v8, 0, 1, vcc_lo
	v_cmp_ne_u32_e32 vcc_lo, 0, v2
	s_delay_alu instid0(VALU_DEP_2) | instskip(SKIP_1) | instid1(VALU_DEP_1)
	v_or_b32_e32 v8, v8, v9
	v_mov_b32_e32 v9, 0x7e00
	v_dual_cndmask_b32 v2, 0x7c00, v9 :: v_dual_add_nc_u32 v3, v3, v8
	v_cmp_gt_i32_e32 vcc_lo, 31, v5
	s_delay_alu instid0(VALU_DEP_2) | instskip(SKIP_1) | instid1(VALU_DEP_2)
	v_dual_cndmask_b32 v3, 0x7c00, v3 :: v_dual_lshrrev_b32 v8, 16, v1
	v_cmp_eq_u32_e32 vcc_lo, 0x40f, v5
	v_cndmask_b32_e32 v2, v3, v2, vcc_lo
	s_delay_alu instid0(VALU_DEP_3) | instskip(NEXT) | instid1(VALU_DEP_1)
	v_and_b32_e32 v3, 0x8000, v8
	v_bitop3_b32 v2, v3, 0xffff, v2 bitop3:0xc8
	global_store_b32 v[6:7], v2, off
.LBB7_323:
	s_mov_b32 s24, 0
.LBB7_324:
	s_delay_alu instid0(SALU_CYCLE_1)
	s_and_not1_b32 vcc_lo, exec_lo, s24
	s_cbranch_vccnz .LBB7_333
; %bb.325:
	s_cmp_lt_i32 s23, 6
	s_mov_b32 s24, -1
	s_cbranch_scc1 .LBB7_331
; %bb.326:
	s_cmp_gt_i32 s23, 6
	s_cbranch_scc0 .LBB7_328
; %bb.327:
	s_mov_b32 s24, 0
	global_store_b64 v[6:7], v[0:1], off
.LBB7_328:
	s_and_not1_b32 vcc_lo, exec_lo, s24
	s_cbranch_vccnz .LBB7_330
; %bb.329:
	s_wait_xcnt 0x0
	v_cvt_f32_f64_e32 v2, v[0:1]
	global_store_b32 v[6:7], v2, off
.LBB7_330:
	s_mov_b32 s24, 0
.LBB7_331:
	s_delay_alu instid0(SALU_CYCLE_1)
	s_and_not1_b32 vcc_lo, exec_lo, s24
	s_cbranch_vccnz .LBB7_333
; %bb.332:
	s_wait_xcnt 0x0
	v_and_or_b32 v2, 0x1ff, v1, v0
	v_lshrrev_b32_e32 v3, 8, v1
	v_bfe_u32 v5, v1, 20, 11
	s_delay_alu instid0(VALU_DEP_3) | instskip(NEXT) | instid1(VALU_DEP_2)
	v_cmp_ne_u32_e32 vcc_lo, 0, v2
	v_sub_nc_u32_e32 v8, 0x3f1, v5
	v_add_nc_u32_e32 v5, 0xfffffc10, v5
	v_cndmask_b32_e64 v2, 0, 1, vcc_lo
	s_delay_alu instid0(VALU_DEP_1) | instskip(NEXT) | instid1(VALU_DEP_4)
	v_and_or_b32 v2, 0xffe, v3, v2
	v_med3_i32 v3, v8, 0, 13
	s_delay_alu instid0(VALU_DEP_2) | instskip(NEXT) | instid1(VALU_DEP_1)
	v_or_b32_e32 v8, 0x1000, v2
	v_lshrrev_b32_e32 v9, v3, v8
	s_delay_alu instid0(VALU_DEP_1) | instskip(NEXT) | instid1(VALU_DEP_1)
	v_lshlrev_b32_e32 v3, v3, v9
	v_cmp_ne_u32_e32 vcc_lo, v3, v8
	v_lshl_or_b32 v8, v5, 12, v2
	v_cndmask_b32_e64 v3, 0, 1, vcc_lo
	v_cmp_gt_i32_e32 vcc_lo, 1, v5
	s_delay_alu instid0(VALU_DEP_2) | instskip(NEXT) | instid1(VALU_DEP_1)
	v_or_b32_e32 v3, v9, v3
	v_cndmask_b32_e32 v3, v8, v3, vcc_lo
	s_delay_alu instid0(VALU_DEP_1) | instskip(NEXT) | instid1(VALU_DEP_1)
	v_dual_lshrrev_b32 v3, 2, v3 :: v_dual_bitop2_b32 v8, 7, v3 bitop3:0x40
	v_cmp_lt_i32_e32 vcc_lo, 5, v8
	v_cndmask_b32_e64 v9, 0, 1, vcc_lo
	v_cmp_eq_u32_e32 vcc_lo, 3, v8
	v_cndmask_b32_e64 v8, 0, 1, vcc_lo
	v_cmp_ne_u32_e32 vcc_lo, 0, v2
	s_delay_alu instid0(VALU_DEP_2) | instskip(SKIP_1) | instid1(VALU_DEP_1)
	v_or_b32_e32 v8, v8, v9
	v_mov_b32_e32 v9, 0x7e00
	v_dual_cndmask_b32 v2, 0x7c00, v9 :: v_dual_add_nc_u32 v3, v3, v8
	v_cmp_gt_i32_e32 vcc_lo, 31, v5
	s_delay_alu instid0(VALU_DEP_2) | instskip(SKIP_1) | instid1(VALU_DEP_2)
	v_cndmask_b32_e32 v3, 0x7c00, v3, vcc_lo
	v_cmp_eq_u32_e32 vcc_lo, 0x40f, v5
	v_dual_cndmask_b32 v2, v3, v2 :: v_dual_lshrrev_b32 v3, 16, v1
	s_delay_alu instid0(VALU_DEP_1)
	v_and_or_b32 v2, 0x8000, v3, v2
	global_store_b16 v[6:7], v2, off
.LBB7_333:
	s_mov_b32 s24, 0
.LBB7_334:
	s_delay_alu instid0(SALU_CYCLE_1)
	s_and_not1_b32 vcc_lo, exec_lo, s24
	s_cbranch_vccnz .LBB7_350
; %bb.335:
	s_cmp_lt_i32 s23, 2
	s_mov_b32 s24, -1
	s_cbranch_scc1 .LBB7_345
; %bb.336:
	s_cmp_lt_i32 s23, 3
	s_cbranch_scc1 .LBB7_342
; %bb.337:
	s_cmp_gt_i32 s23, 3
	s_cbranch_scc0 .LBB7_339
; %bb.338:
	s_wait_xcnt 0x0
	v_trunc_f64_e32 v[2:3], v[0:1]
	s_mov_b32 s24, 0
	s_delay_alu instid0(VALU_DEP_1) | instskip(NEXT) | instid1(VALU_DEP_1)
	v_ldexp_f64 v[8:9], v[2:3], 0xffffffe0
	v_floor_f64_e32 v[8:9], v[8:9]
	s_delay_alu instid0(VALU_DEP_1) | instskip(SKIP_1) | instid1(VALU_DEP_2)
	v_fmamk_f64 v[2:3], v[8:9], 0xc1f00000, v[2:3]
	v_cvt_i32_f64_e32 v9, v[8:9]
	v_cvt_u32_f64_e32 v8, v[2:3]
	global_store_b64 v[6:7], v[8:9], off
.LBB7_339:
	s_and_not1_b32 vcc_lo, exec_lo, s24
	s_cbranch_vccnz .LBB7_341
; %bb.340:
	s_wait_xcnt 0x0
	v_cvt_i32_f64_e32 v2, v[0:1]
	global_store_b32 v[6:7], v2, off
.LBB7_341:
	s_mov_b32 s24, 0
.LBB7_342:
	s_delay_alu instid0(SALU_CYCLE_1)
	s_and_not1_b32 vcc_lo, exec_lo, s24
	s_cbranch_vccnz .LBB7_344
; %bb.343:
	s_wait_xcnt 0x0
	v_cvt_i32_f64_e32 v2, v[0:1]
	global_store_b16 v[6:7], v2, off
.LBB7_344:
	s_mov_b32 s24, 0
.LBB7_345:
	s_delay_alu instid0(SALU_CYCLE_1)
	s_and_not1_b32 vcc_lo, exec_lo, s24
	s_cbranch_vccnz .LBB7_350
; %bb.346:
	s_cmp_gt_i32 s23, 0
	s_mov_b32 s23, -1
	s_cbranch_scc0 .LBB7_348
; %bb.347:
	s_wait_xcnt 0x0
	v_cvt_i32_f64_e32 v2, v[0:1]
	s_mov_b32 s23, 0
	global_store_b8 v[6:7], v2, off
.LBB7_348:
	s_and_not1_b32 vcc_lo, exec_lo, s23
	s_cbranch_vccnz .LBB7_350
; %bb.349:
	s_wait_xcnt 0x0
	v_trunc_f64_e32 v[0:1], v[0:1]
	s_delay_alu instid0(VALU_DEP_1) | instskip(NEXT) | instid1(VALU_DEP_1)
	v_ldexp_f64 v[2:3], v[0:1], 0xffffffe0
	v_floor_f64_e32 v[2:3], v[2:3]
	s_delay_alu instid0(VALU_DEP_1) | instskip(NEXT) | instid1(VALU_DEP_1)
	v_fmamk_f64 v[0:1], v[2:3], 0xc1f00000, v[0:1]
	v_cvt_u32_f64_e32 v0, v[0:1]
	global_store_b8 v[6:7], v0, off
.LBB7_350:
	s_branch .LBB7_439
.LBB7_351:
	s_mov_b32 s23, 0
	s_branch .LBB7_551
.LBB7_352:
	s_mov_b32 s24, -1
	s_mov_b32 s23, 0
	s_mov_b32 s22, s40
                                        ; implicit-def: $vgpr6_vgpr7
	s_branch .LBB7_466
.LBB7_353:
	s_mov_b32 s24, -1
	s_mov_b32 s23, 0
	s_mov_b32 s22, s40
                                        ; implicit-def: $vgpr6_vgpr7
	s_branch .LBB7_447
.LBB7_354:
	s_mov_b32 s26, -1
	s_mov_b32 s0, s39
	s_branch .LBB7_396
.LBB7_355:
	s_mov_b32 s24, -1
	s_mov_b32 s23, 0
	s_mov_b32 s22, s40
                                        ; implicit-def: $vgpr6_vgpr7
	s_branch .LBB7_442
.LBB7_356:
	s_mov_b32 s26, -1
	s_mov_b32 s0, s39
	s_branch .LBB7_379
.LBB7_357:
	s_and_not1_saveexec_b32 s27, s27
	s_cbranch_execz .LBB7_110
.LBB7_358:
	v_add_f32_e64 v3, 0x46000000, |v2|
	s_and_not1_b32 s26, s26, exec_lo
	s_delay_alu instid0(VALU_DEP_1) | instskip(NEXT) | instid1(VALU_DEP_1)
	v_and_b32_e32 v3, 0xff, v3
	v_cmp_ne_u32_e32 vcc_lo, 0, v3
	s_and_b32 s39, vcc_lo, exec_lo
	s_delay_alu instid0(SALU_CYCLE_1)
	s_or_b32 s26, s26, s39
	s_or_b32 exec_lo, exec_lo, s27
	v_mov_b32_e32 v5, 0
	s_and_saveexec_b32 s27, s26
	s_cbranch_execnz .LBB7_111
	s_branch .LBB7_112
.LBB7_359:
	s_mov_b32 s24, -1
	s_mov_b32 s23, 0
	s_mov_b32 s22, s40
	s_branch .LBB7_364
.LBB7_360:
	s_mov_b32 s26, -1
	s_mov_b32 s0, s39
	s_branch .LBB7_375
.LBB7_361:
	s_and_not1_saveexec_b32 s27, s27
	s_cbranch_execz .LBB7_123
.LBB7_362:
	v_add_f32_e64 v3, 0x42800000, |v2|
	s_and_not1_b32 s26, s26, exec_lo
	s_delay_alu instid0(VALU_DEP_1) | instskip(NEXT) | instid1(VALU_DEP_1)
	v_and_b32_e32 v3, 0xff, v3
	v_cmp_ne_u32_e32 vcc_lo, 0, v3
	s_and_b32 s39, vcc_lo, exec_lo
	s_delay_alu instid0(SALU_CYCLE_1)
	s_or_b32 s26, s26, s39
	s_or_b32 exec_lo, exec_lo, s27
	v_mov_b32_e32 v5, 0
	s_and_saveexec_b32 s27, s26
	s_cbranch_execnz .LBB7_124
	s_branch .LBB7_125
.LBB7_363:
	s_mov_b32 s22, -1
	s_mov_b32 s23, 0
.LBB7_364:
                                        ; implicit-def: $vgpr6_vgpr7
.LBB7_365:
	s_and_b32 vcc_lo, exec_lo, s24
	s_cbranch_vccz .LBB7_441
; %bb.366:
	s_cmp_eq_u32 s0, 44
	s_cbranch_scc0 .LBB7_440
; %bb.367:
	global_load_u8 v1, v[2:3], off
	s_mov_b32 s22, 0
	s_mov_b32 s23, -1
	s_wait_loadcnt 0x0
	v_cmp_ne_u32_e32 vcc_lo, 0xff, v1
	v_lshlrev_b32_e32 v5, 23, v1
	s_delay_alu instid0(VALU_DEP_1) | instskip(NEXT) | instid1(VALU_DEP_1)
	v_cvt_f64_f32_e32 v[6:7], v5
	v_cndmask_b32_e32 v5, 0x20000000, v6, vcc_lo
	s_delay_alu instid0(VALU_DEP_2) | instskip(SKIP_1) | instid1(VALU_DEP_2)
	v_cndmask_b32_e32 v6, 0x7ff80000, v7, vcc_lo
	v_cmp_ne_u32_e32 vcc_lo, 0, v1
	v_cndmask_b32_e32 v7, 0x38000000, v6, vcc_lo
	s_delay_alu instid0(VALU_DEP_4)
	v_cndmask_b32_e32 v6, 0, v5, vcc_lo
	s_branch .LBB7_441
.LBB7_368:
	s_mov_b32 s26, -1
	s_mov_b32 s0, s39
.LBB7_369:
	s_and_b32 vcc_lo, exec_lo, s26
	s_cbranch_vccz .LBB7_374
; %bb.370:
	s_cmp_eq_u32 s24, 44
	s_mov_b32 s0, -1
	s_cbranch_scc0 .LBB7_374
; %bb.371:
	s_wait_xcnt 0x0
	v_cvt_f32_f64_e32 v2, v[0:1]
	v_mov_b32_e32 v3, 0xff
	s_mov_b32 s25, exec_lo
	s_delay_alu instid0(VALU_DEP_2) | instskip(NEXT) | instid1(VALU_DEP_1)
	v_bfe_u32 v5, v2, 23, 8
	v_cmpx_ne_u32_e32 0xff, v5
	s_cbranch_execz .LBB7_373
; %bb.372:
	v_and_b32_e32 v3, 0x400000, v2
	v_and_or_b32 v5, 0x3fffff, v2, v5
	v_lshrrev_b32_e32 v2, 23, v2
	s_delay_alu instid0(VALU_DEP_3) | instskip(NEXT) | instid1(VALU_DEP_3)
	v_cmp_ne_u32_e32 vcc_lo, 0, v3
	v_cmp_ne_u32_e64 s0, 0, v5
	s_and_b32 s0, vcc_lo, s0
	s_delay_alu instid0(SALU_CYCLE_1) | instskip(NEXT) | instid1(VALU_DEP_1)
	v_cndmask_b32_e64 v3, 0, 1, s0
	v_add_nc_u32_e32 v3, v2, v3
.LBB7_373:
	s_or_b32 exec_lo, exec_lo, s25
	s_mov_b32 s25, -1
	s_mov_b32 s0, 0
	global_store_b8 v[6:7], v3, off
.LBB7_374:
	s_mov_b32 s26, 0
.LBB7_375:
	s_delay_alu instid0(SALU_CYCLE_1)
	s_and_b32 vcc_lo, exec_lo, s26
	s_cbranch_vccz .LBB7_378
; %bb.376:
	s_cmp_eq_u32 s24, 29
	s_mov_b32 s0, -1
	s_cbranch_scc0 .LBB7_378
; %bb.377:
	s_wait_xcnt 0x0
	v_trunc_f64_e32 v[2:3], v[0:1]
	s_mov_b32 s25, -1
	s_mov_b32 s0, 0
	s_mov_b32 s26, 0
	s_delay_alu instid0(VALU_DEP_1) | instskip(NEXT) | instid1(VALU_DEP_1)
	v_ldexp_f64 v[8:9], v[2:3], 0xffffffe0
	v_floor_f64_e32 v[8:9], v[8:9]
	s_delay_alu instid0(VALU_DEP_1) | instskip(SKIP_1) | instid1(VALU_DEP_2)
	v_fmamk_f64 v[2:3], v[8:9], 0xc1f00000, v[2:3]
	v_cvt_u32_f64_e32 v9, v[8:9]
	v_cvt_u32_f64_e32 v8, v[2:3]
	global_store_b64 v[6:7], v[8:9], off
	s_branch .LBB7_379
.LBB7_378:
	s_mov_b32 s26, 0
.LBB7_379:
	s_delay_alu instid0(SALU_CYCLE_1)
	s_and_b32 vcc_lo, exec_lo, s26
	s_cbranch_vccz .LBB7_395
; %bb.380:
	s_cmp_lt_i32 s24, 27
	s_mov_b32 s25, -1
	s_cbranch_scc1 .LBB7_386
; %bb.381:
	s_wait_xcnt 0x0
	v_cvt_u32_f64_e32 v2, v[0:1]
	s_cmp_gt_i32 s24, 27
	s_cbranch_scc0 .LBB7_383
; %bb.382:
	s_mov_b32 s25, 0
	global_store_b32 v[6:7], v2, off
.LBB7_383:
	s_and_not1_b32 vcc_lo, exec_lo, s25
	s_cbranch_vccnz .LBB7_385
; %bb.384:
	global_store_b16 v[6:7], v2, off
.LBB7_385:
	s_mov_b32 s25, 0
.LBB7_386:
	s_delay_alu instid0(SALU_CYCLE_1)
	s_and_not1_b32 vcc_lo, exec_lo, s25
	s_cbranch_vccnz .LBB7_394
; %bb.387:
	s_wait_xcnt 0x0
	v_cvt_f32_f64_e32 v2, v[0:1]
	v_mov_b32_e32 v5, 0x80
	s_mov_b32 s25, exec_lo
	s_delay_alu instid0(VALU_DEP_2) | instskip(NEXT) | instid1(VALU_DEP_1)
	v_and_b32_e32 v3, 0x7fffffff, v2
	v_cmpx_gt_u32_e32 0x43800000, v3
	s_cbranch_execz .LBB7_393
; %bb.388:
	v_cmp_lt_u32_e32 vcc_lo, 0x3bffffff, v3
	s_mov_b32 s26, 0
                                        ; implicit-def: $vgpr3
	s_and_saveexec_b32 s27, vcc_lo
	s_delay_alu instid0(SALU_CYCLE_1)
	s_xor_b32 s27, exec_lo, s27
	s_cbranch_execz .LBB7_583
; %bb.389:
	v_bfe_u32 v3, v2, 20, 1
	s_mov_b32 s26, exec_lo
	s_delay_alu instid0(VALU_DEP_1) | instskip(NEXT) | instid1(VALU_DEP_1)
	v_add3_u32 v3, v2, v3, 0x487ffff
	v_lshrrev_b32_e32 v3, 20, v3
	s_and_not1_saveexec_b32 s27, s27
	s_cbranch_execnz .LBB7_584
.LBB7_390:
	s_or_b32 exec_lo, exec_lo, s27
	v_mov_b32_e32 v5, 0
	s_and_saveexec_b32 s27, s26
.LBB7_391:
	v_lshrrev_b32_e32 v2, 24, v2
	s_delay_alu instid0(VALU_DEP_1)
	v_and_or_b32 v5, 0x80, v2, v3
.LBB7_392:
	s_or_b32 exec_lo, exec_lo, s27
.LBB7_393:
	s_delay_alu instid0(SALU_CYCLE_1)
	s_or_b32 exec_lo, exec_lo, s25
	global_store_b8 v[6:7], v5, off
.LBB7_394:
	s_mov_b32 s25, -1
.LBB7_395:
	s_mov_b32 s26, 0
.LBB7_396:
	s_delay_alu instid0(SALU_CYCLE_1)
	s_and_b32 vcc_lo, exec_lo, s26
	s_cbranch_vccz .LBB7_437
; %bb.397:
	s_cmp_gt_i32 s24, 22
	s_mov_b32 s26, -1
	s_cbranch_scc0 .LBB7_429
; %bb.398:
	s_cmp_lt_i32 s24, 24
	s_mov_b32 s25, -1
	s_cbranch_scc1 .LBB7_418
; %bb.399:
	s_cmp_gt_i32 s24, 24
	s_cbranch_scc0 .LBB7_407
; %bb.400:
	s_wait_xcnt 0x0
	v_cvt_f32_f64_e32 v2, v[0:1]
	v_mov_b32_e32 v5, 0x80
	s_mov_b32 s25, exec_lo
	s_delay_alu instid0(VALU_DEP_2) | instskip(NEXT) | instid1(VALU_DEP_1)
	v_and_b32_e32 v3, 0x7fffffff, v2
	v_cmpx_gt_u32_e32 0x47800000, v3
	s_cbranch_execz .LBB7_406
; %bb.401:
	v_cmp_lt_u32_e32 vcc_lo, 0x37ffffff, v3
	s_mov_b32 s26, 0
                                        ; implicit-def: $vgpr3
	s_and_saveexec_b32 s27, vcc_lo
	s_delay_alu instid0(SALU_CYCLE_1)
	s_xor_b32 s27, exec_lo, s27
	s_cbranch_execz .LBB7_586
; %bb.402:
	v_bfe_u32 v3, v2, 21, 1
	s_mov_b32 s26, exec_lo
	s_delay_alu instid0(VALU_DEP_1) | instskip(NEXT) | instid1(VALU_DEP_1)
	v_add3_u32 v3, v2, v3, 0x88fffff
	v_lshrrev_b32_e32 v3, 21, v3
	s_and_not1_saveexec_b32 s27, s27
	s_cbranch_execnz .LBB7_587
.LBB7_403:
	s_or_b32 exec_lo, exec_lo, s27
	v_mov_b32_e32 v5, 0
	s_and_saveexec_b32 s27, s26
.LBB7_404:
	v_lshrrev_b32_e32 v2, 24, v2
	s_delay_alu instid0(VALU_DEP_1)
	v_and_or_b32 v5, 0x80, v2, v3
.LBB7_405:
	s_or_b32 exec_lo, exec_lo, s27
.LBB7_406:
	s_delay_alu instid0(SALU_CYCLE_1)
	s_or_b32 exec_lo, exec_lo, s25
	s_mov_b32 s25, 0
	global_store_b8 v[6:7], v5, off
.LBB7_407:
	s_and_b32 vcc_lo, exec_lo, s25
	s_cbranch_vccz .LBB7_417
; %bb.408:
	s_wait_xcnt 0x0
	v_cvt_f32_f64_e32 v2, v[0:1]
	s_mov_b32 s25, exec_lo
                                        ; implicit-def: $vgpr3
	s_delay_alu instid0(VALU_DEP_1) | instskip(NEXT) | instid1(VALU_DEP_1)
	v_and_b32_e32 v5, 0x7fffffff, v2
	v_cmpx_gt_u32_e32 0x43f00000, v5
	s_xor_b32 s25, exec_lo, s25
	s_cbranch_execz .LBB7_414
; %bb.409:
	s_mov_b32 s26, exec_lo
                                        ; implicit-def: $vgpr3
	v_cmpx_lt_u32_e32 0x3c7fffff, v5
	s_xor_b32 s26, exec_lo, s26
; %bb.410:
	v_bfe_u32 v3, v2, 20, 1
	s_delay_alu instid0(VALU_DEP_1) | instskip(NEXT) | instid1(VALU_DEP_1)
	v_add3_u32 v3, v2, v3, 0x407ffff
	v_and_b32_e32 v5, 0xff00000, v3
	v_lshrrev_b32_e32 v3, 20, v3
	s_delay_alu instid0(VALU_DEP_2) | instskip(NEXT) | instid1(VALU_DEP_2)
	v_cmp_ne_u32_e32 vcc_lo, 0x7f00000, v5
	v_cndmask_b32_e32 v3, 0x7e, v3, vcc_lo
; %bb.411:
	s_and_not1_saveexec_b32 s26, s26
; %bb.412:
	v_add_f32_e64 v3, 0x46800000, |v2|
; %bb.413:
	s_or_b32 exec_lo, exec_lo, s26
                                        ; implicit-def: $vgpr5
.LBB7_414:
	s_and_not1_saveexec_b32 s25, s25
; %bb.415:
	v_mov_b32_e32 v3, 0x7f
	v_cmp_lt_u32_e32 vcc_lo, 0x7f800000, v5
	s_delay_alu instid0(VALU_DEP_2)
	v_cndmask_b32_e32 v3, 0x7e, v3, vcc_lo
; %bb.416:
	s_or_b32 exec_lo, exec_lo, s25
	v_lshrrev_b32_e32 v2, 24, v2
	s_delay_alu instid0(VALU_DEP_1)
	v_and_or_b32 v2, 0x80, v2, v3
	global_store_b8 v[6:7], v2, off
.LBB7_417:
	s_mov_b32 s25, 0
.LBB7_418:
	s_delay_alu instid0(SALU_CYCLE_1)
	s_and_not1_b32 vcc_lo, exec_lo, s25
	s_cbranch_vccnz .LBB7_428
; %bb.419:
	s_wait_xcnt 0x0
	v_cvt_f32_f64_e32 v2, v[0:1]
	s_mov_b32 s25, exec_lo
                                        ; implicit-def: $vgpr3
	s_delay_alu instid0(VALU_DEP_1) | instskip(NEXT) | instid1(VALU_DEP_1)
	v_and_b32_e32 v5, 0x7fffffff, v2
	v_cmpx_gt_u32_e32 0x47800000, v5
	s_xor_b32 s25, exec_lo, s25
	s_cbranch_execz .LBB7_425
; %bb.420:
	s_mov_b32 s26, exec_lo
                                        ; implicit-def: $vgpr3
	v_cmpx_lt_u32_e32 0x387fffff, v5
	s_xor_b32 s26, exec_lo, s26
; %bb.421:
	v_bfe_u32 v3, v2, 21, 1
	s_delay_alu instid0(VALU_DEP_1) | instskip(NEXT) | instid1(VALU_DEP_1)
	v_add3_u32 v3, v2, v3, 0x80fffff
	v_lshrrev_b32_e32 v3, 21, v3
; %bb.422:
	s_and_not1_saveexec_b32 s26, s26
; %bb.423:
	v_add_f32_e64 v3, 0x43000000, |v2|
; %bb.424:
	s_or_b32 exec_lo, exec_lo, s26
                                        ; implicit-def: $vgpr5
.LBB7_425:
	s_and_not1_saveexec_b32 s25, s25
; %bb.426:
	v_mov_b32_e32 v3, 0x7f
	v_cmp_lt_u32_e32 vcc_lo, 0x7f800000, v5
	s_delay_alu instid0(VALU_DEP_2)
	v_cndmask_b32_e32 v3, 0x7c, v3, vcc_lo
; %bb.427:
	s_or_b32 exec_lo, exec_lo, s25
	v_lshrrev_b32_e32 v2, 24, v2
	s_delay_alu instid0(VALU_DEP_1)
	v_and_or_b32 v2, 0x80, v2, v3
	global_store_b8 v[6:7], v2, off
.LBB7_428:
	s_mov_b32 s26, 0
	s_mov_b32 s25, -1
.LBB7_429:
	s_and_not1_b32 vcc_lo, exec_lo, s26
	s_cbranch_vccnz .LBB7_437
; %bb.430:
	s_cmp_gt_i32 s24, 14
	s_mov_b32 s26, -1
	s_cbranch_scc0 .LBB7_434
; %bb.431:
	s_cmp_eq_u32 s24, 15
	s_mov_b32 s0, -1
	s_cbranch_scc0 .LBB7_433
; %bb.432:
	s_wait_xcnt 0x0
	v_cvt_f32_f64_e32 v2, v[0:1]
	s_mov_b32 s25, -1
	s_mov_b32 s0, 0
	s_delay_alu instid0(VALU_DEP_1) | instskip(SKIP_1) | instid1(VALU_DEP_2)
	v_bfe_u32 v3, v2, 16, 1
	v_cmp_o_f32_e32 vcc_lo, v2, v2
	v_add3_u32 v3, v2, v3, 0x7fff
	s_delay_alu instid0(VALU_DEP_1) | instskip(NEXT) | instid1(VALU_DEP_1)
	v_lshrrev_b32_e32 v3, 16, v3
	v_cndmask_b32_e32 v2, 0x7fc0, v3, vcc_lo
	global_store_b16 v[6:7], v2, off
.LBB7_433:
	s_mov_b32 s26, 0
.LBB7_434:
	s_delay_alu instid0(SALU_CYCLE_1)
	s_and_b32 vcc_lo, exec_lo, s26
	s_cbranch_vccz .LBB7_437
; %bb.435:
	s_cmp_eq_u32 s24, 11
	s_mov_b32 s0, -1
	s_cbranch_scc0 .LBB7_437
; %bb.436:
	v_cmp_neq_f64_e32 vcc_lo, 0, v[0:1]
	s_mov_b32 s25, -1
	s_mov_b32 s0, 0
	s_wait_xcnt 0x0
	v_cndmask_b32_e64 v2, 0, 1, vcc_lo
	global_store_b8 v[6:7], v2, off
.LBB7_437:
.LBB7_438:
	s_and_not1_b32 vcc_lo, exec_lo, s25
	s_cbranch_vccnz .LBB7_351
.LBB7_439:
	v_add_nc_u32_e32 v4, 0x80, v4
	s_mov_b32 s23, -1
	s_branch .LBB7_552
.LBB7_440:
	s_mov_b32 s22, -1
                                        ; implicit-def: $vgpr6_vgpr7
.LBB7_441:
	s_mov_b32 s24, 0
.LBB7_442:
	s_delay_alu instid0(SALU_CYCLE_1)
	s_and_b32 vcc_lo, exec_lo, s24
	s_cbranch_vccz .LBB7_446
; %bb.443:
	s_cmp_eq_u32 s0, 29
	s_cbranch_scc0 .LBB7_445
; %bb.444:
	s_wait_loadcnt 0x0
	global_load_b64 v[6:7], v[2:3], off
	s_mov_b32 s23, -1
	s_mov_b32 s22, 0
	s_mov_b32 s24, 0
	s_wait_loadcnt 0x0
	v_cvt_f64_u32_e32 v[8:9], v7
	v_cvt_f64_u32_e32 v[6:7], v6
	s_delay_alu instid0(VALU_DEP_2) | instskip(NEXT) | instid1(VALU_DEP_1)
	v_ldexp_f64 v[8:9], v[8:9], 32
	v_add_f64_e32 v[6:7], v[8:9], v[6:7]
	s_branch .LBB7_447
.LBB7_445:
	s_mov_b32 s22, -1
                                        ; implicit-def: $vgpr6_vgpr7
.LBB7_446:
	s_mov_b32 s24, 0
.LBB7_447:
	s_delay_alu instid0(SALU_CYCLE_1)
	s_and_b32 vcc_lo, exec_lo, s24
	s_cbranch_vccz .LBB7_465
; %bb.448:
	s_cmp_lt_i32 s0, 27
	s_cbranch_scc1 .LBB7_451
; %bb.449:
	s_cmp_gt_i32 s0, 27
	s_cbranch_scc0 .LBB7_452
; %bb.450:
	global_load_b32 v1, v[2:3], off
	s_mov_b32 s23, 0
	s_wait_loadcnt 0x0
	v_cvt_f64_u32_e32 v[6:7], v1
	s_branch .LBB7_453
.LBB7_451:
	s_mov_b32 s23, -1
                                        ; implicit-def: $vgpr6_vgpr7
	s_branch .LBB7_456
.LBB7_452:
	s_mov_b32 s23, -1
                                        ; implicit-def: $vgpr6_vgpr7
.LBB7_453:
	s_delay_alu instid0(SALU_CYCLE_1)
	s_and_not1_b32 vcc_lo, exec_lo, s23
	s_cbranch_vccnz .LBB7_455
; %bb.454:
	global_load_u16 v1, v[2:3], off
	s_wait_loadcnt 0x0
	v_cvt_f64_u32_e32 v[6:7], v1
.LBB7_455:
	s_mov_b32 s23, 0
.LBB7_456:
	s_delay_alu instid0(SALU_CYCLE_1)
	s_and_not1_b32 vcc_lo, exec_lo, s23
	s_cbranch_vccnz .LBB7_464
; %bb.457:
	global_load_u8 v1, v[2:3], off
	s_mov_b32 s23, 0
	s_mov_b32 s24, exec_lo
	s_wait_loadcnt 0x0
	v_cmpx_lt_i16_e32 0x7f, v1
	s_xor_b32 s24, exec_lo, s24
	s_cbranch_execz .LBB7_478
; %bb.458:
	s_mov_b32 s23, -1
	s_mov_b32 s25, exec_lo
	v_cmpx_eq_u16_e32 0x80, v1
; %bb.459:
	s_xor_b32 s23, exec_lo, -1
; %bb.460:
	s_or_b32 exec_lo, exec_lo, s25
	s_delay_alu instid0(SALU_CYCLE_1)
	s_and_b32 s23, s23, exec_lo
	s_or_saveexec_b32 s24, s24
	v_mov_b64_e32 v[6:7], 0x7ff8000020000000
	s_xor_b32 exec_lo, exec_lo, s24
	s_cbranch_execnz .LBB7_479
.LBB7_461:
	s_or_b32 exec_lo, exec_lo, s24
	s_and_saveexec_b32 s24, s23
	s_cbranch_execz .LBB7_463
.LBB7_462:
	v_and_b32_e32 v5, 0xffff, v1
	s_delay_alu instid0(VALU_DEP_1) | instskip(SKIP_1) | instid1(VALU_DEP_2)
	v_and_b32_e32 v6, 7, v5
	v_bfe_u32 v9, v5, 3, 4
	v_clz_i32_u32_e32 v7, v6
	s_delay_alu instid0(VALU_DEP_2) | instskip(NEXT) | instid1(VALU_DEP_2)
	v_cmp_eq_u32_e32 vcc_lo, 0, v9
	v_min_u32_e32 v7, 32, v7
	s_delay_alu instid0(VALU_DEP_1) | instskip(NEXT) | instid1(VALU_DEP_1)
	v_subrev_nc_u32_e32 v8, 28, v7
	v_dual_lshlrev_b32 v5, v8, v5 :: v_dual_sub_nc_u32 v7, 29, v7
	s_delay_alu instid0(VALU_DEP_1) | instskip(NEXT) | instid1(VALU_DEP_2)
	v_and_b32_e32 v5, 7, v5
	v_dual_lshlrev_b32 v1, 24, v1 :: v_dual_cndmask_b32 v7, v9, v7, vcc_lo
	s_delay_alu instid0(VALU_DEP_2) | instskip(NEXT) | instid1(VALU_DEP_2)
	v_cndmask_b32_e32 v5, v6, v5, vcc_lo
	v_and_b32_e32 v1, 0x80000000, v1
	s_delay_alu instid0(VALU_DEP_3) | instskip(NEXT) | instid1(VALU_DEP_3)
	v_lshl_add_u32 v6, v7, 23, 0x3b800000
	v_lshlrev_b32_e32 v5, 20, v5
	s_delay_alu instid0(VALU_DEP_1) | instskip(NEXT) | instid1(VALU_DEP_1)
	v_or3_b32 v1, v1, v6, v5
	v_cvt_f64_f32_e32 v[6:7], v1
.LBB7_463:
	s_or_b32 exec_lo, exec_lo, s24
.LBB7_464:
	s_mov_b32 s23, -1
.LBB7_465:
	s_mov_b32 s24, 0
.LBB7_466:
	s_delay_alu instid0(SALU_CYCLE_1)
	s_and_b32 vcc_lo, exec_lo, s24
	s_cbranch_vccz .LBB7_501
; %bb.467:
	s_cmp_gt_i32 s0, 22
	s_cbranch_scc0 .LBB7_477
; %bb.468:
	s_cmp_lt_i32 s0, 24
	s_cbranch_scc1 .LBB7_480
; %bb.469:
	s_cmp_gt_i32 s0, 24
	s_cbranch_scc0 .LBB7_481
; %bb.470:
	global_load_u8 v1, v[2:3], off
	s_mov_b32 s23, 0
	s_mov_b32 s24, exec_lo
	s_wait_loadcnt 0x0
	v_cmpx_lt_i16_e32 0x7f, v1
	s_xor_b32 s24, exec_lo, s24
	s_cbranch_execz .LBB7_493
; %bb.471:
	s_mov_b32 s23, -1
	s_mov_b32 s25, exec_lo
	v_cmpx_eq_u16_e32 0x80, v1
; %bb.472:
	s_xor_b32 s23, exec_lo, -1
; %bb.473:
	s_or_b32 exec_lo, exec_lo, s25
	s_delay_alu instid0(SALU_CYCLE_1)
	s_and_b32 s23, s23, exec_lo
	s_or_saveexec_b32 s24, s24
	v_mov_b64_e32 v[6:7], 0x7ff8000020000000
	s_xor_b32 exec_lo, exec_lo, s24
	s_cbranch_execnz .LBB7_494
.LBB7_474:
	s_or_b32 exec_lo, exec_lo, s24
	s_and_saveexec_b32 s24, s23
	s_cbranch_execz .LBB7_476
.LBB7_475:
	v_and_b32_e32 v5, 0xffff, v1
	s_delay_alu instid0(VALU_DEP_1) | instskip(SKIP_1) | instid1(VALU_DEP_2)
	v_and_b32_e32 v6, 3, v5
	v_bfe_u32 v9, v5, 2, 5
	v_clz_i32_u32_e32 v7, v6
	s_delay_alu instid0(VALU_DEP_2) | instskip(NEXT) | instid1(VALU_DEP_2)
	v_cmp_eq_u32_e32 vcc_lo, 0, v9
	v_min_u32_e32 v7, 32, v7
	s_delay_alu instid0(VALU_DEP_1) | instskip(NEXT) | instid1(VALU_DEP_1)
	v_subrev_nc_u32_e32 v8, 29, v7
	v_dual_lshlrev_b32 v5, v8, v5 :: v_dual_sub_nc_u32 v7, 30, v7
	s_delay_alu instid0(VALU_DEP_1) | instskip(NEXT) | instid1(VALU_DEP_2)
	v_and_b32_e32 v5, 3, v5
	v_dual_lshlrev_b32 v1, 24, v1 :: v_dual_cndmask_b32 v7, v9, v7, vcc_lo
	s_delay_alu instid0(VALU_DEP_2) | instskip(NEXT) | instid1(VALU_DEP_2)
	v_cndmask_b32_e32 v5, v6, v5, vcc_lo
	v_and_b32_e32 v1, 0x80000000, v1
	s_delay_alu instid0(VALU_DEP_3) | instskip(NEXT) | instid1(VALU_DEP_3)
	v_lshl_add_u32 v6, v7, 23, 0x37800000
	v_lshlrev_b32_e32 v5, 21, v5
	s_delay_alu instid0(VALU_DEP_1) | instskip(NEXT) | instid1(VALU_DEP_1)
	v_or3_b32 v1, v1, v6, v5
	v_cvt_f64_f32_e32 v[6:7], v1
.LBB7_476:
	s_or_b32 exec_lo, exec_lo, s24
	s_mov_b32 s23, 0
	s_branch .LBB7_482
.LBB7_477:
	s_mov_b32 s24, -1
                                        ; implicit-def: $vgpr6_vgpr7
	s_branch .LBB7_488
.LBB7_478:
	s_or_saveexec_b32 s24, s24
	v_mov_b64_e32 v[6:7], 0x7ff8000020000000
	s_xor_b32 exec_lo, exec_lo, s24
	s_cbranch_execz .LBB7_461
.LBB7_479:
	v_cmp_ne_u16_e32 vcc_lo, 0, v1
	v_mov_b64_e32 v[6:7], 0
	s_and_not1_b32 s23, s23, exec_lo
	s_and_b32 s25, vcc_lo, exec_lo
	s_delay_alu instid0(SALU_CYCLE_1)
	s_or_b32 s23, s23, s25
	s_or_b32 exec_lo, exec_lo, s24
	s_and_saveexec_b32 s24, s23
	s_cbranch_execnz .LBB7_462
	s_branch .LBB7_463
.LBB7_480:
	s_mov_b32 s23, -1
                                        ; implicit-def: $vgpr6_vgpr7
	s_branch .LBB7_485
.LBB7_481:
	s_mov_b32 s23, -1
                                        ; implicit-def: $vgpr6_vgpr7
.LBB7_482:
	s_delay_alu instid0(SALU_CYCLE_1)
	s_and_b32 vcc_lo, exec_lo, s23
	s_cbranch_vccz .LBB7_484
; %bb.483:
	global_load_u8 v1, v[2:3], off
	s_wait_loadcnt 0x0
	v_lshlrev_b32_e32 v1, 24, v1
	s_delay_alu instid0(VALU_DEP_1) | instskip(NEXT) | instid1(VALU_DEP_1)
	v_and_b32_e32 v5, 0x7f000000, v1
	v_clz_i32_u32_e32 v6, v5
	v_cmp_ne_u32_e32 vcc_lo, 0, v5
	v_add_nc_u32_e32 v8, 0x1000000, v5
	s_delay_alu instid0(VALU_DEP_3) | instskip(NEXT) | instid1(VALU_DEP_1)
	v_min_u32_e32 v6, 32, v6
	v_sub_nc_u32_e64 v6, v6, 4 clamp
	s_delay_alu instid0(VALU_DEP_1) | instskip(NEXT) | instid1(VALU_DEP_1)
	v_dual_lshlrev_b32 v7, v6, v5 :: v_dual_lshlrev_b32 v6, 23, v6
	v_lshrrev_b32_e32 v7, 4, v7
	s_delay_alu instid0(VALU_DEP_1) | instskip(NEXT) | instid1(VALU_DEP_1)
	v_dual_sub_nc_u32 v6, v7, v6 :: v_dual_ashrrev_i32 v7, 8, v8
	v_add_nc_u32_e32 v6, 0x3c000000, v6
	s_delay_alu instid0(VALU_DEP_1) | instskip(NEXT) | instid1(VALU_DEP_1)
	v_and_or_b32 v6, 0x7f800000, v7, v6
	v_cndmask_b32_e32 v5, 0, v6, vcc_lo
	s_delay_alu instid0(VALU_DEP_1) | instskip(NEXT) | instid1(VALU_DEP_1)
	v_and_or_b32 v1, 0x80000000, v1, v5
	v_cvt_f64_f32_e32 v[6:7], v1
.LBB7_484:
	s_mov_b32 s23, 0
.LBB7_485:
	s_delay_alu instid0(SALU_CYCLE_1)
	s_and_not1_b32 vcc_lo, exec_lo, s23
	s_cbranch_vccnz .LBB7_487
; %bb.486:
	global_load_u8 v1, v[2:3], off
	s_wait_loadcnt 0x0
	v_lshlrev_b32_e32 v5, 25, v1
	v_lshlrev_b16 v1, 8, v1
	s_delay_alu instid0(VALU_DEP_1) | instskip(SKIP_1) | instid1(VALU_DEP_2)
	v_and_or_b32 v7, 0x7f00, v1, 0.5
	v_bfe_i32 v1, v1, 0, 16
	v_dual_add_f32 v7, -0.5, v7 :: v_dual_lshrrev_b32 v6, 4, v5
	v_cmp_gt_u32_e32 vcc_lo, 0x8000000, v5
	s_delay_alu instid0(VALU_DEP_2) | instskip(NEXT) | instid1(VALU_DEP_1)
	v_or_b32_e32 v6, 0x70000000, v6
	v_mul_f32_e32 v6, 0x7800000, v6
	s_delay_alu instid0(VALU_DEP_1) | instskip(NEXT) | instid1(VALU_DEP_1)
	v_cndmask_b32_e32 v5, v6, v7, vcc_lo
	v_and_or_b32 v1, 0x80000000, v1, v5
	s_delay_alu instid0(VALU_DEP_1)
	v_cvt_f64_f32_e32 v[6:7], v1
.LBB7_487:
	s_mov_b32 s24, 0
	s_mov_b32 s23, -1
.LBB7_488:
	s_and_not1_b32 vcc_lo, exec_lo, s24
	s_cbranch_vccnz .LBB7_501
; %bb.489:
	s_cmp_gt_i32 s0, 14
	s_cbranch_scc0 .LBB7_492
; %bb.490:
	s_cmp_eq_u32 s0, 15
	s_cbranch_scc0 .LBB7_495
; %bb.491:
	global_load_u16 v1, v[2:3], off
	s_mov_b32 s23, -1
	s_mov_b32 s22, 0
	s_wait_loadcnt 0x0
	v_lshlrev_b32_e32 v1, 16, v1
	s_delay_alu instid0(VALU_DEP_1)
	v_cvt_f64_f32_e32 v[6:7], v1
	s_branch .LBB7_496
.LBB7_492:
	s_mov_b32 s24, -1
                                        ; implicit-def: $vgpr6_vgpr7
	s_branch .LBB7_497
.LBB7_493:
	s_or_saveexec_b32 s24, s24
	v_mov_b64_e32 v[6:7], 0x7ff8000020000000
	s_xor_b32 exec_lo, exec_lo, s24
	s_cbranch_execz .LBB7_474
.LBB7_494:
	v_cmp_ne_u16_e32 vcc_lo, 0, v1
	v_mov_b64_e32 v[6:7], 0
	s_and_not1_b32 s23, s23, exec_lo
	s_and_b32 s25, vcc_lo, exec_lo
	s_delay_alu instid0(SALU_CYCLE_1)
	s_or_b32 s23, s23, s25
	s_or_b32 exec_lo, exec_lo, s24
	s_and_saveexec_b32 s24, s23
	s_cbranch_execnz .LBB7_475
	s_branch .LBB7_476
.LBB7_495:
	s_mov_b32 s22, -1
                                        ; implicit-def: $vgpr6_vgpr7
.LBB7_496:
	s_mov_b32 s24, 0
.LBB7_497:
	s_delay_alu instid0(SALU_CYCLE_1)
	s_and_b32 vcc_lo, exec_lo, s24
	s_cbranch_vccz .LBB7_501
; %bb.498:
	s_cmp_eq_u32 s0, 11
	s_cbranch_scc0 .LBB7_500
; %bb.499:
	global_load_u8 v1, v[2:3], off
	s_wait_loadcnt 0x1
	v_mov_b32_e32 v6, 0
	s_mov_b32 s22, 0
	s_mov_b32 s23, -1
	s_wait_loadcnt 0x0
	v_cmp_ne_u16_e32 vcc_lo, 0, v1
	v_cndmask_b32_e64 v7, 0, 0x3ff00000, vcc_lo
	s_branch .LBB7_501
.LBB7_500:
	s_mov_b32 s22, -1
                                        ; implicit-def: $vgpr6_vgpr7
.LBB7_501:
	s_branch .LBB7_300
.LBB7_502:
	s_cmp_lt_i32 s0, 5
	s_cbranch_scc1 .LBB7_507
; %bb.503:
	s_cmp_lt_i32 s0, 8
	s_cbranch_scc1 .LBB7_508
; %bb.504:
	;; [unrolled: 3-line block ×3, first 2 shown]
	s_cmp_gt_i32 s0, 9
	s_cbranch_scc0 .LBB7_510
; %bb.506:
	s_wait_loadcnt 0x0
	global_load_b64 v[6:7], v[2:3], off
	s_mov_b32 s23, 0
	s_branch .LBB7_511
.LBB7_507:
	s_mov_b32 s23, -1
                                        ; implicit-def: $vgpr6_vgpr7
	s_branch .LBB7_529
.LBB7_508:
	s_mov_b32 s23, -1
                                        ; implicit-def: $vgpr6_vgpr7
	s_branch .LBB7_517
.LBB7_509:
	s_mov_b32 s23, -1
                                        ; implicit-def: $vgpr6_vgpr7
	s_branch .LBB7_514
.LBB7_510:
	s_mov_b32 s23, -1
                                        ; implicit-def: $vgpr6_vgpr7
.LBB7_511:
	s_delay_alu instid0(SALU_CYCLE_1)
	s_and_not1_b32 vcc_lo, exec_lo, s23
	s_cbranch_vccnz .LBB7_513
; %bb.512:
	global_load_b32 v1, v[2:3], off
	s_wait_loadcnt 0x0
	v_cvt_f64_f32_e32 v[6:7], v1
.LBB7_513:
	s_mov_b32 s23, 0
.LBB7_514:
	s_delay_alu instid0(SALU_CYCLE_1)
	s_and_not1_b32 vcc_lo, exec_lo, s23
	s_cbranch_vccnz .LBB7_516
; %bb.515:
	global_load_b32 v1, v[2:3], off
	s_wait_loadcnt 0x0
	v_cvt_f32_f16_e32 v1, v1
	s_delay_alu instid0(VALU_DEP_1)
	v_cvt_f64_f32_e32 v[6:7], v1
.LBB7_516:
	s_mov_b32 s23, 0
.LBB7_517:
	s_delay_alu instid0(SALU_CYCLE_1)
	s_and_not1_b32 vcc_lo, exec_lo, s23
	s_cbranch_vccnz .LBB7_528
; %bb.518:
	s_cmp_lt_i32 s0, 6
	s_cbranch_scc1 .LBB7_521
; %bb.519:
	s_cmp_gt_i32 s0, 6
	s_cbranch_scc0 .LBB7_522
; %bb.520:
	s_wait_loadcnt 0x0
	global_load_b64 v[6:7], v[2:3], off
	s_mov_b32 s23, 0
	s_branch .LBB7_523
.LBB7_521:
	s_mov_b32 s23, -1
                                        ; implicit-def: $vgpr6_vgpr7
	s_branch .LBB7_526
.LBB7_522:
	s_mov_b32 s23, -1
                                        ; implicit-def: $vgpr6_vgpr7
.LBB7_523:
	s_delay_alu instid0(SALU_CYCLE_1)
	s_and_not1_b32 vcc_lo, exec_lo, s23
	s_cbranch_vccnz .LBB7_525
; %bb.524:
	global_load_b32 v1, v[2:3], off
	s_wait_loadcnt 0x0
	v_cvt_f64_f32_e32 v[6:7], v1
.LBB7_525:
	s_mov_b32 s23, 0
.LBB7_526:
	s_delay_alu instid0(SALU_CYCLE_1)
	s_and_not1_b32 vcc_lo, exec_lo, s23
	s_cbranch_vccnz .LBB7_528
; %bb.527:
	global_load_u16 v1, v[2:3], off
	s_wait_loadcnt 0x0
	v_cvt_f32_f16_e32 v1, v1
	s_delay_alu instid0(VALU_DEP_1)
	v_cvt_f64_f32_e32 v[6:7], v1
.LBB7_528:
	s_mov_b32 s23, 0
.LBB7_529:
	s_delay_alu instid0(SALU_CYCLE_1)
	s_and_not1_b32 vcc_lo, exec_lo, s23
	s_cbranch_vccnz .LBB7_549
; %bb.530:
	s_cmp_lt_i32 s0, 2
	s_cbranch_scc1 .LBB7_534
; %bb.531:
	s_cmp_lt_i32 s0, 3
	s_cbranch_scc1 .LBB7_535
; %bb.532:
	s_cmp_gt_i32 s0, 3
	s_cbranch_scc0 .LBB7_536
; %bb.533:
	s_wait_loadcnt 0x0
	global_load_b64 v[6:7], v[2:3], off
	s_mov_b32 s23, 0
	s_wait_loadcnt 0x0
	v_cvt_f64_i32_e32 v[8:9], v7
	v_cvt_f64_u32_e32 v[6:7], v6
	s_delay_alu instid0(VALU_DEP_2) | instskip(NEXT) | instid1(VALU_DEP_1)
	v_ldexp_f64 v[8:9], v[8:9], 32
	v_add_f64_e32 v[6:7], v[8:9], v[6:7]
	s_branch .LBB7_537
.LBB7_534:
	s_mov_b32 s23, -1
                                        ; implicit-def: $vgpr6_vgpr7
	s_branch .LBB7_543
.LBB7_535:
	s_mov_b32 s23, -1
                                        ; implicit-def: $vgpr6_vgpr7
	s_branch .LBB7_540
.LBB7_536:
	s_mov_b32 s23, -1
                                        ; implicit-def: $vgpr6_vgpr7
.LBB7_537:
	s_delay_alu instid0(SALU_CYCLE_1)
	s_and_not1_b32 vcc_lo, exec_lo, s23
	s_cbranch_vccnz .LBB7_539
; %bb.538:
	global_load_b32 v1, v[2:3], off
	s_wait_loadcnt 0x0
	v_cvt_f64_i32_e32 v[6:7], v1
.LBB7_539:
	s_mov_b32 s23, 0
.LBB7_540:
	s_delay_alu instid0(SALU_CYCLE_1)
	s_and_not1_b32 vcc_lo, exec_lo, s23
	s_cbranch_vccnz .LBB7_542
; %bb.541:
	global_load_i16 v1, v[2:3], off
	s_wait_loadcnt 0x0
	v_cvt_f64_i32_e32 v[6:7], v1
.LBB7_542:
	s_mov_b32 s23, 0
.LBB7_543:
	s_delay_alu instid0(SALU_CYCLE_1)
	s_and_not1_b32 vcc_lo, exec_lo, s23
	s_cbranch_vccnz .LBB7_549
; %bb.544:
	s_cmp_gt_i32 s0, 0
	s_mov_b32 s0, 0
	s_cbranch_scc0 .LBB7_546
; %bb.545:
	global_load_i8 v1, v[2:3], off
	s_wait_loadcnt 0x0
	v_cvt_f64_i32_e32 v[6:7], v1
	s_branch .LBB7_547
.LBB7_546:
	s_mov_b32 s0, -1
                                        ; implicit-def: $vgpr6_vgpr7
.LBB7_547:
	s_delay_alu instid0(SALU_CYCLE_1)
	s_and_not1_b32 vcc_lo, exec_lo, s0
	s_cbranch_vccnz .LBB7_549
; %bb.548:
	global_load_u8 v1, v[2:3], off
	s_wait_loadcnt 0x0
	v_cvt_f64_u32_e32 v[6:7], v1
.LBB7_549:
	s_branch .LBB7_301
.LBB7_550:
	s_mov_b32 s23, 0
	s_mov_b32 s0, s39
.LBB7_551:
                                        ; implicit-def: $vgpr4
.LBB7_552:
	s_and_not1_b32 s24, s39, exec_lo
	s_and_b32 s0, s0, exec_lo
	s_and_not1_b32 s25, s40, exec_lo
	s_and_b32 s22, s22, exec_lo
	s_or_b32 s43, s24, s0
	s_or_b32 s42, s25, s22
	s_or_not1_b32 s0, s23, exec_lo
.LBB7_553:
	s_wait_xcnt 0x0
	s_or_b32 exec_lo, exec_lo, s44
	s_mov_b32 s23, 0
	s_mov_b32 s22, 0
	;; [unrolled: 1-line block ×3, first 2 shown]
                                        ; implicit-def: $vgpr0_vgpr1
                                        ; implicit-def: $vgpr2
                                        ; implicit-def: $vgpr6_vgpr7
	s_and_saveexec_b32 s44, s0
	s_cbranch_execz .LBB7_937
; %bb.554:
	s_mov_b32 s25, -1
	s_mov_b32 s0, s42
	s_mov_b32 s26, s43
	s_mov_b32 s45, exec_lo
	v_cmpx_gt_i32_e64 s36, v4
	s_cbranch_execz .LBB7_834
; %bb.555:
	s_and_not1_b32 vcc_lo, exec_lo, s31
	s_cbranch_vccnz .LBB7_561
; %bb.556:
	s_and_not1_b32 vcc_lo, exec_lo, s38
	s_cbranch_vccnz .LBB7_562
; %bb.557:
	s_add_co_i32 s0, s37, 1
	s_cmp_eq_u32 s29, 2
	s_cbranch_scc1 .LBB7_563
; %bb.558:
	v_dual_mov_b32 v0, 0 :: v_dual_mov_b32 v2, 0
	v_mov_b32_e32 v3, v4
	s_and_b32 s22, s0, 28
	s_mov_b64 s[24:25], s[2:3]
	s_mov_b64 s[26:27], s[20:21]
.LBB7_559:                              ; =>This Inner Loop Header: Depth=1
	s_clause 0x1
	s_load_b256 s[48:55], s[24:25], 0x4
	s_load_b128 s[64:67], s[24:25], 0x24
	s_load_b256 s[56:63], s[26:27], 0x0
	s_add_co_i32 s23, s23, 4
	s_wait_xcnt 0x0
	s_add_nc_u64 s[24:25], s[24:25], 48
	s_cmp_eq_u32 s22, s23
	s_add_nc_u64 s[26:27], s[26:27], 32
	s_wait_kmcnt 0x0
	v_mul_hi_u32 v1, s49, v3
	s_delay_alu instid0(VALU_DEP_1) | instskip(NEXT) | instid1(VALU_DEP_1)
	v_add_nc_u32_e32 v1, v3, v1
	v_lshrrev_b32_e32 v1, s50, v1
	s_wait_loadcnt 0x0
	s_delay_alu instid0(VALU_DEP_1) | instskip(NEXT) | instid1(VALU_DEP_1)
	v_mul_lo_u32 v7, v1, s48
	v_sub_nc_u32_e32 v3, v3, v7
	v_mul_hi_u32 v5, s52, v1
	s_delay_alu instid0(VALU_DEP_2) | instskip(SKIP_1) | instid1(VALU_DEP_3)
	v_mad_u32 v2, v3, s57, v2
	v_mad_u32 v0, v3, s56, v0
	v_add_nc_u32_e32 v5, v1, v5
	s_delay_alu instid0(VALU_DEP_1) | instskip(NEXT) | instid1(VALU_DEP_1)
	v_lshrrev_b32_e32 v5, s53, v5
	v_mul_lo_u32 v7, v5, s51
	s_delay_alu instid0(VALU_DEP_1) | instskip(SKIP_1) | instid1(VALU_DEP_2)
	v_sub_nc_u32_e32 v1, v1, v7
	v_mul_hi_u32 v6, s55, v5
	v_mad_u32 v2, v1, s59, v2
	v_mad_u32 v0, v1, s58, v0
	s_delay_alu instid0(VALU_DEP_3) | instskip(NEXT) | instid1(VALU_DEP_1)
	v_add_nc_u32_e32 v6, v5, v6
	v_lshrrev_b32_e32 v6, s64, v6
	s_delay_alu instid0(VALU_DEP_1) | instskip(SKIP_1) | instid1(VALU_DEP_1)
	v_mul_hi_u32 v8, s66, v6
	v_mul_lo_u32 v7, v6, s54
	v_dual_add_nc_u32 v3, v6, v8 :: v_dual_sub_nc_u32 v1, v5, v7
	s_delay_alu instid0(VALU_DEP_1) | instskip(NEXT) | instid1(VALU_DEP_2)
	v_lshrrev_b32_e32 v3, s67, v3
	v_mad_u32 v2, v1, s61, v2
	v_mad_u32 v0, v1, s60, v0
	s_delay_alu instid0(VALU_DEP_3) | instskip(NEXT) | instid1(VALU_DEP_1)
	v_mul_lo_u32 v5, v3, s65
	v_sub_nc_u32_e32 v1, v6, v5
	s_delay_alu instid0(VALU_DEP_1) | instskip(NEXT) | instid1(VALU_DEP_4)
	v_mad_u32 v2, v1, s63, v2
	v_mad_u32 v0, v1, s62, v0
	s_cbranch_scc0 .LBB7_559
; %bb.560:
	s_delay_alu instid0(VALU_DEP_2)
	v_mov_b32_e32 v1, v2
	s_branch .LBB7_564
.LBB7_561:
	s_mov_b32 s0, -1
                                        ; implicit-def: $vgpr2
                                        ; implicit-def: $vgpr0
	s_branch .LBB7_569
.LBB7_562:
	v_dual_mov_b32 v2, 0 :: v_dual_mov_b32 v0, 0
	s_branch .LBB7_568
.LBB7_563:
	v_mov_b64_e32 v[0:1], 0
	v_mov_b32_e32 v3, v4
                                        ; implicit-def: $vgpr2
.LBB7_564:
	s_and_b32 s0, s0, 3
	s_mov_b32 s23, 0
	s_cmp_eq_u32 s0, 0
	s_cbranch_scc1 .LBB7_568
; %bb.565:
	s_lshl_b32 s24, s22, 3
	s_mov_b32 s25, s23
	s_mul_u64 s[26:27], s[22:23], 12
	s_add_nc_u64 s[24:25], s[2:3], s[24:25]
	s_delay_alu instid0(SALU_CYCLE_1)
	s_add_nc_u64 s[22:23], s[24:25], 0xc4
	s_add_nc_u64 s[24:25], s[2:3], s[26:27]
.LBB7_566:                              ; =>This Inner Loop Header: Depth=1
	s_load_b96 s[48:50], s[24:25], 0x4
	s_load_b64 s[26:27], s[22:23], 0x0
	s_add_co_i32 s0, s0, -1
	s_wait_xcnt 0x0
	s_add_nc_u64 s[24:25], s[24:25], 12
	s_cmp_lg_u32 s0, 0
	s_add_nc_u64 s[22:23], s[22:23], 8
	s_wait_kmcnt 0x0
	v_mul_hi_u32 v2, s49, v3
	s_delay_alu instid0(VALU_DEP_1) | instskip(NEXT) | instid1(VALU_DEP_1)
	v_add_nc_u32_e32 v2, v3, v2
	v_lshrrev_b32_e32 v2, s50, v2
	s_delay_alu instid0(VALU_DEP_1) | instskip(NEXT) | instid1(VALU_DEP_1)
	v_mul_lo_u32 v5, v2, s48
	v_sub_nc_u32_e32 v3, v3, v5
	s_delay_alu instid0(VALU_DEP_1)
	v_mad_u32 v1, v3, s27, v1
	v_mad_u32 v0, v3, s26, v0
	v_mov_b32_e32 v3, v2
	s_cbranch_scc1 .LBB7_566
; %bb.567:
	s_delay_alu instid0(VALU_DEP_3)
	v_mov_b32_e32 v2, v1
.LBB7_568:
	s_mov_b32 s0, 0
.LBB7_569:
	s_delay_alu instid0(SALU_CYCLE_1)
	s_and_not1_b32 vcc_lo, exec_lo, s0
	s_cbranch_vccnz .LBB7_572
; %bb.570:
	v_mov_b32_e32 v5, 0
	s_and_not1_b32 vcc_lo, exec_lo, s35
	s_delay_alu instid0(VALU_DEP_1) | instskip(NEXT) | instid1(VALU_DEP_1)
	v_mul_u64_e32 v[0:1], s[16:17], v[4:5]
	v_add_nc_u32_e32 v0, v4, v1
	s_wait_loadcnt 0x0
	s_delay_alu instid0(VALU_DEP_1) | instskip(NEXT) | instid1(VALU_DEP_1)
	v_lshrrev_b32_e32 v6, s14, v0
	v_mul_lo_u32 v0, v6, s12
	s_delay_alu instid0(VALU_DEP_1) | instskip(NEXT) | instid1(VALU_DEP_1)
	v_sub_nc_u32_e32 v0, v4, v0
	v_mul_lo_u32 v2, v0, s9
	v_mul_lo_u32 v0, v0, s8
	s_cbranch_vccnz .LBB7_572
; %bb.571:
	v_mov_b32_e32 v7, v5
	s_delay_alu instid0(VALU_DEP_1) | instskip(NEXT) | instid1(VALU_DEP_1)
	v_mul_u64_e32 v[8:9], s[18:19], v[6:7]
	v_add_nc_u32_e32 v1, v6, v9
	s_delay_alu instid0(VALU_DEP_1) | instskip(NEXT) | instid1(VALU_DEP_1)
	v_lshrrev_b32_e32 v1, s1, v1
	v_mul_lo_u32 v1, v1, s15
	s_delay_alu instid0(VALU_DEP_1) | instskip(NEXT) | instid1(VALU_DEP_1)
	v_sub_nc_u32_e32 v1, v6, v1
	v_mad_u32 v0, v1, s10, v0
	v_mad_u32 v2, v1, s11, v2
.LBB7_572:
	v_mov_b32_e32 v3, 0
	s_and_b32 s0, 0xffff, s13
	s_delay_alu instid0(SALU_CYCLE_1) | instskip(NEXT) | instid1(VALU_DEP_1)
	s_cmp_lt_i32 s0, 11
	v_add_nc_u64_e32 v[2:3], s[6:7], v[2:3]
	s_cbranch_scc1 .LBB7_579
; %bb.573:
	s_cmp_gt_i32 s0, 25
	s_cbranch_scc0 .LBB7_580
; %bb.574:
	s_cmp_gt_i32 s0, 28
	s_cbranch_scc0 .LBB7_581
	;; [unrolled: 3-line block ×4, first 2 shown]
; %bb.577:
	s_cmp_eq_u32 s0, 46
	s_mov_b32 s24, 0
	s_cbranch_scc0 .LBB7_588
; %bb.578:
	global_load_b32 v1, v[2:3], off
	s_mov_b32 s23, -1
	s_mov_b32 s22, 0
	s_wait_loadcnt 0x0
	v_lshlrev_b32_e32 v1, 16, v1
	s_delay_alu instid0(VALU_DEP_1)
	v_cvt_f64_f32_e32 v[6:7], v1
	s_branch .LBB7_590
.LBB7_579:
	s_mov_b32 s24, -1
	s_mov_b32 s23, 0
	s_mov_b32 s22, s42
                                        ; implicit-def: $vgpr6_vgpr7
	s_branch .LBB7_655
.LBB7_580:
	s_mov_b32 s24, -1
	s_mov_b32 s23, 0
	s_mov_b32 s22, s42
                                        ; implicit-def: $vgpr6_vgpr7
	s_branch .LBB7_619
.LBB7_581:
	s_mov_b32 s24, -1
	s_mov_b32 s23, 0
	s_mov_b32 s22, s42
                                        ; implicit-def: $vgpr6_vgpr7
	s_branch .LBB7_600
.LBB7_582:
	s_mov_b32 s24, -1
	s_mov_b32 s23, 0
	s_mov_b32 s22, s42
                                        ; implicit-def: $vgpr6_vgpr7
	s_branch .LBB7_595
.LBB7_583:
	s_and_not1_saveexec_b32 s27, s27
	s_cbranch_execz .LBB7_390
.LBB7_584:
	v_add_f32_e64 v3, 0x46000000, |v2|
	s_and_not1_b32 s26, s26, exec_lo
	s_delay_alu instid0(VALU_DEP_1) | instskip(NEXT) | instid1(VALU_DEP_1)
	v_and_b32_e32 v3, 0xff, v3
	v_cmp_ne_u32_e32 vcc_lo, 0, v3
	s_and_b32 s42, vcc_lo, exec_lo
	s_delay_alu instid0(SALU_CYCLE_1)
	s_or_b32 s26, s26, s42
	s_or_b32 exec_lo, exec_lo, s27
	v_mov_b32_e32 v5, 0
	s_and_saveexec_b32 s27, s26
	s_cbranch_execnz .LBB7_391
	s_branch .LBB7_392
.LBB7_585:
	s_mov_b32 s24, -1
	s_mov_b32 s23, 0
	s_mov_b32 s22, s42
	s_branch .LBB7_589
.LBB7_586:
	s_and_not1_saveexec_b32 s27, s27
	s_cbranch_execz .LBB7_403
.LBB7_587:
	v_add_f32_e64 v3, 0x42800000, |v2|
	s_and_not1_b32 s26, s26, exec_lo
	s_delay_alu instid0(VALU_DEP_1) | instskip(NEXT) | instid1(VALU_DEP_1)
	v_and_b32_e32 v3, 0xff, v3
	v_cmp_ne_u32_e32 vcc_lo, 0, v3
	s_and_b32 s42, vcc_lo, exec_lo
	s_delay_alu instid0(SALU_CYCLE_1)
	s_or_b32 s26, s26, s42
	s_or_b32 exec_lo, exec_lo, s27
	v_mov_b32_e32 v5, 0
	s_and_saveexec_b32 s27, s26
	s_cbranch_execnz .LBB7_404
	s_branch .LBB7_405
.LBB7_588:
	s_mov_b32 s22, -1
	s_mov_b32 s23, 0
.LBB7_589:
                                        ; implicit-def: $vgpr6_vgpr7
.LBB7_590:
	s_and_b32 vcc_lo, exec_lo, s24
	s_cbranch_vccz .LBB7_594
; %bb.591:
	s_cmp_eq_u32 s0, 44
	s_cbranch_scc0 .LBB7_593
; %bb.592:
	global_load_u8 v1, v[2:3], off
	s_mov_b32 s22, 0
	s_mov_b32 s23, -1
	s_wait_loadcnt 0x0
	v_cmp_ne_u32_e32 vcc_lo, 0xff, v1
	v_lshlrev_b32_e32 v5, 23, v1
	s_delay_alu instid0(VALU_DEP_1) | instskip(NEXT) | instid1(VALU_DEP_1)
	v_cvt_f64_f32_e32 v[6:7], v5
	v_cndmask_b32_e32 v5, 0x20000000, v6, vcc_lo
	s_delay_alu instid0(VALU_DEP_2) | instskip(SKIP_1) | instid1(VALU_DEP_2)
	v_cndmask_b32_e32 v6, 0x7ff80000, v7, vcc_lo
	v_cmp_ne_u32_e32 vcc_lo, 0, v1
	v_cndmask_b32_e32 v7, 0x38000000, v6, vcc_lo
	s_delay_alu instid0(VALU_DEP_4)
	v_cndmask_b32_e32 v6, 0, v5, vcc_lo
	s_branch .LBB7_594
.LBB7_593:
	s_mov_b32 s22, -1
                                        ; implicit-def: $vgpr6_vgpr7
.LBB7_594:
	s_mov_b32 s24, 0
.LBB7_595:
	s_delay_alu instid0(SALU_CYCLE_1)
	s_and_b32 vcc_lo, exec_lo, s24
	s_cbranch_vccz .LBB7_599
; %bb.596:
	s_cmp_eq_u32 s0, 29
	s_cbranch_scc0 .LBB7_598
; %bb.597:
	s_wait_loadcnt 0x0
	global_load_b64 v[6:7], v[2:3], off
	s_mov_b32 s23, -1
	s_mov_b32 s22, 0
	s_mov_b32 s24, 0
	s_wait_loadcnt 0x0
	v_cvt_f64_u32_e32 v[8:9], v7
	v_cvt_f64_u32_e32 v[6:7], v6
	s_delay_alu instid0(VALU_DEP_2) | instskip(NEXT) | instid1(VALU_DEP_1)
	v_ldexp_f64 v[8:9], v[8:9], 32
	v_add_f64_e32 v[6:7], v[8:9], v[6:7]
	s_branch .LBB7_600
.LBB7_598:
	s_mov_b32 s22, -1
                                        ; implicit-def: $vgpr6_vgpr7
.LBB7_599:
	s_mov_b32 s24, 0
.LBB7_600:
	s_delay_alu instid0(SALU_CYCLE_1)
	s_and_b32 vcc_lo, exec_lo, s24
	s_cbranch_vccz .LBB7_618
; %bb.601:
	s_cmp_lt_i32 s0, 27
	s_cbranch_scc1 .LBB7_604
; %bb.602:
	s_cmp_gt_i32 s0, 27
	s_cbranch_scc0 .LBB7_605
; %bb.603:
	global_load_b32 v1, v[2:3], off
	s_mov_b32 s23, 0
	s_wait_loadcnt 0x0
	v_cvt_f64_u32_e32 v[6:7], v1
	s_branch .LBB7_606
.LBB7_604:
	s_mov_b32 s23, -1
                                        ; implicit-def: $vgpr6_vgpr7
	s_branch .LBB7_609
.LBB7_605:
	s_mov_b32 s23, -1
                                        ; implicit-def: $vgpr6_vgpr7
.LBB7_606:
	s_delay_alu instid0(SALU_CYCLE_1)
	s_and_not1_b32 vcc_lo, exec_lo, s23
	s_cbranch_vccnz .LBB7_608
; %bb.607:
	global_load_u16 v1, v[2:3], off
	s_wait_loadcnt 0x0
	v_cvt_f64_u32_e32 v[6:7], v1
.LBB7_608:
	s_mov_b32 s23, 0
.LBB7_609:
	s_delay_alu instid0(SALU_CYCLE_1)
	s_and_not1_b32 vcc_lo, exec_lo, s23
	s_cbranch_vccnz .LBB7_617
; %bb.610:
	global_load_u8 v1, v[2:3], off
	s_mov_b32 s23, 0
	s_mov_b32 s24, exec_lo
	s_wait_loadcnt 0x0
	v_cmpx_lt_i16_e32 0x7f, v1
	s_xor_b32 s24, exec_lo, s24
	s_cbranch_execz .LBB7_631
; %bb.611:
	s_mov_b32 s23, -1
	s_mov_b32 s25, exec_lo
	v_cmpx_eq_u16_e32 0x80, v1
; %bb.612:
	s_xor_b32 s23, exec_lo, -1
; %bb.613:
	s_or_b32 exec_lo, exec_lo, s25
	s_delay_alu instid0(SALU_CYCLE_1)
	s_and_b32 s23, s23, exec_lo
	s_or_saveexec_b32 s24, s24
	v_mov_b64_e32 v[6:7], 0x7ff8000020000000
	s_xor_b32 exec_lo, exec_lo, s24
	s_cbranch_execnz .LBB7_632
.LBB7_614:
	s_or_b32 exec_lo, exec_lo, s24
	s_and_saveexec_b32 s24, s23
	s_cbranch_execz .LBB7_616
.LBB7_615:
	v_and_b32_e32 v5, 0xffff, v1
	s_delay_alu instid0(VALU_DEP_1) | instskip(SKIP_1) | instid1(VALU_DEP_2)
	v_and_b32_e32 v6, 7, v5
	v_bfe_u32 v9, v5, 3, 4
	v_clz_i32_u32_e32 v7, v6
	s_delay_alu instid0(VALU_DEP_2) | instskip(NEXT) | instid1(VALU_DEP_2)
	v_cmp_eq_u32_e32 vcc_lo, 0, v9
	v_min_u32_e32 v7, 32, v7
	s_delay_alu instid0(VALU_DEP_1) | instskip(NEXT) | instid1(VALU_DEP_1)
	v_subrev_nc_u32_e32 v8, 28, v7
	v_dual_lshlrev_b32 v5, v8, v5 :: v_dual_sub_nc_u32 v7, 29, v7
	s_delay_alu instid0(VALU_DEP_1) | instskip(NEXT) | instid1(VALU_DEP_2)
	v_and_b32_e32 v5, 7, v5
	v_dual_lshlrev_b32 v1, 24, v1 :: v_dual_cndmask_b32 v7, v9, v7, vcc_lo
	s_delay_alu instid0(VALU_DEP_2) | instskip(NEXT) | instid1(VALU_DEP_2)
	v_cndmask_b32_e32 v5, v6, v5, vcc_lo
	v_and_b32_e32 v1, 0x80000000, v1
	s_delay_alu instid0(VALU_DEP_3) | instskip(NEXT) | instid1(VALU_DEP_3)
	v_lshl_add_u32 v6, v7, 23, 0x3b800000
	v_lshlrev_b32_e32 v5, 20, v5
	s_delay_alu instid0(VALU_DEP_1) | instskip(NEXT) | instid1(VALU_DEP_1)
	v_or3_b32 v1, v1, v6, v5
	v_cvt_f64_f32_e32 v[6:7], v1
.LBB7_616:
	s_or_b32 exec_lo, exec_lo, s24
.LBB7_617:
	s_mov_b32 s23, -1
.LBB7_618:
	s_mov_b32 s24, 0
.LBB7_619:
	s_delay_alu instid0(SALU_CYCLE_1)
	s_and_b32 vcc_lo, exec_lo, s24
	s_cbranch_vccz .LBB7_654
; %bb.620:
	s_cmp_gt_i32 s0, 22
	s_cbranch_scc0 .LBB7_630
; %bb.621:
	s_cmp_lt_i32 s0, 24
	s_cbranch_scc1 .LBB7_633
; %bb.622:
	s_cmp_gt_i32 s0, 24
	s_cbranch_scc0 .LBB7_634
; %bb.623:
	global_load_u8 v1, v[2:3], off
	s_mov_b32 s23, 0
	s_mov_b32 s24, exec_lo
	s_wait_loadcnt 0x0
	v_cmpx_lt_i16_e32 0x7f, v1
	s_xor_b32 s24, exec_lo, s24
	s_cbranch_execz .LBB7_646
; %bb.624:
	s_mov_b32 s23, -1
	s_mov_b32 s25, exec_lo
	v_cmpx_eq_u16_e32 0x80, v1
; %bb.625:
	s_xor_b32 s23, exec_lo, -1
; %bb.626:
	s_or_b32 exec_lo, exec_lo, s25
	s_delay_alu instid0(SALU_CYCLE_1)
	s_and_b32 s23, s23, exec_lo
	s_or_saveexec_b32 s24, s24
	v_mov_b64_e32 v[6:7], 0x7ff8000020000000
	s_xor_b32 exec_lo, exec_lo, s24
	s_cbranch_execnz .LBB7_647
.LBB7_627:
	s_or_b32 exec_lo, exec_lo, s24
	s_and_saveexec_b32 s24, s23
	s_cbranch_execz .LBB7_629
.LBB7_628:
	v_and_b32_e32 v5, 0xffff, v1
	s_delay_alu instid0(VALU_DEP_1) | instskip(SKIP_1) | instid1(VALU_DEP_2)
	v_and_b32_e32 v6, 3, v5
	v_bfe_u32 v9, v5, 2, 5
	v_clz_i32_u32_e32 v7, v6
	s_delay_alu instid0(VALU_DEP_2) | instskip(NEXT) | instid1(VALU_DEP_2)
	v_cmp_eq_u32_e32 vcc_lo, 0, v9
	v_min_u32_e32 v7, 32, v7
	s_delay_alu instid0(VALU_DEP_1) | instskip(NEXT) | instid1(VALU_DEP_1)
	v_subrev_nc_u32_e32 v8, 29, v7
	v_dual_lshlrev_b32 v5, v8, v5 :: v_dual_sub_nc_u32 v7, 30, v7
	s_delay_alu instid0(VALU_DEP_1) | instskip(NEXT) | instid1(VALU_DEP_2)
	v_and_b32_e32 v5, 3, v5
	v_dual_lshlrev_b32 v1, 24, v1 :: v_dual_cndmask_b32 v7, v9, v7, vcc_lo
	s_delay_alu instid0(VALU_DEP_2) | instskip(NEXT) | instid1(VALU_DEP_2)
	v_cndmask_b32_e32 v5, v6, v5, vcc_lo
	v_and_b32_e32 v1, 0x80000000, v1
	s_delay_alu instid0(VALU_DEP_3) | instskip(NEXT) | instid1(VALU_DEP_3)
	v_lshl_add_u32 v6, v7, 23, 0x37800000
	v_lshlrev_b32_e32 v5, 21, v5
	s_delay_alu instid0(VALU_DEP_1) | instskip(NEXT) | instid1(VALU_DEP_1)
	v_or3_b32 v1, v1, v6, v5
	v_cvt_f64_f32_e32 v[6:7], v1
.LBB7_629:
	s_or_b32 exec_lo, exec_lo, s24
	s_mov_b32 s23, 0
	s_branch .LBB7_635
.LBB7_630:
	s_mov_b32 s24, -1
                                        ; implicit-def: $vgpr6_vgpr7
	s_branch .LBB7_641
.LBB7_631:
	s_or_saveexec_b32 s24, s24
	v_mov_b64_e32 v[6:7], 0x7ff8000020000000
	s_xor_b32 exec_lo, exec_lo, s24
	s_cbranch_execz .LBB7_614
.LBB7_632:
	v_cmp_ne_u16_e32 vcc_lo, 0, v1
	v_mov_b64_e32 v[6:7], 0
	s_and_not1_b32 s23, s23, exec_lo
	s_and_b32 s25, vcc_lo, exec_lo
	s_delay_alu instid0(SALU_CYCLE_1)
	s_or_b32 s23, s23, s25
	s_or_b32 exec_lo, exec_lo, s24
	s_and_saveexec_b32 s24, s23
	s_cbranch_execnz .LBB7_615
	s_branch .LBB7_616
.LBB7_633:
	s_mov_b32 s23, -1
                                        ; implicit-def: $vgpr6_vgpr7
	s_branch .LBB7_638
.LBB7_634:
	s_mov_b32 s23, -1
                                        ; implicit-def: $vgpr6_vgpr7
.LBB7_635:
	s_delay_alu instid0(SALU_CYCLE_1)
	s_and_b32 vcc_lo, exec_lo, s23
	s_cbranch_vccz .LBB7_637
; %bb.636:
	global_load_u8 v1, v[2:3], off
	s_wait_loadcnt 0x0
	v_lshlrev_b32_e32 v1, 24, v1
	s_delay_alu instid0(VALU_DEP_1) | instskip(NEXT) | instid1(VALU_DEP_1)
	v_and_b32_e32 v5, 0x7f000000, v1
	v_clz_i32_u32_e32 v6, v5
	v_cmp_ne_u32_e32 vcc_lo, 0, v5
	v_add_nc_u32_e32 v8, 0x1000000, v5
	s_delay_alu instid0(VALU_DEP_3) | instskip(NEXT) | instid1(VALU_DEP_1)
	v_min_u32_e32 v6, 32, v6
	v_sub_nc_u32_e64 v6, v6, 4 clamp
	s_delay_alu instid0(VALU_DEP_1) | instskip(NEXT) | instid1(VALU_DEP_1)
	v_dual_lshlrev_b32 v7, v6, v5 :: v_dual_lshlrev_b32 v6, 23, v6
	v_lshrrev_b32_e32 v7, 4, v7
	s_delay_alu instid0(VALU_DEP_1) | instskip(NEXT) | instid1(VALU_DEP_1)
	v_dual_sub_nc_u32 v6, v7, v6 :: v_dual_ashrrev_i32 v7, 8, v8
	v_add_nc_u32_e32 v6, 0x3c000000, v6
	s_delay_alu instid0(VALU_DEP_1) | instskip(NEXT) | instid1(VALU_DEP_1)
	v_and_or_b32 v6, 0x7f800000, v7, v6
	v_cndmask_b32_e32 v5, 0, v6, vcc_lo
	s_delay_alu instid0(VALU_DEP_1) | instskip(NEXT) | instid1(VALU_DEP_1)
	v_and_or_b32 v1, 0x80000000, v1, v5
	v_cvt_f64_f32_e32 v[6:7], v1
.LBB7_637:
	s_mov_b32 s23, 0
.LBB7_638:
	s_delay_alu instid0(SALU_CYCLE_1)
	s_and_not1_b32 vcc_lo, exec_lo, s23
	s_cbranch_vccnz .LBB7_640
; %bb.639:
	global_load_u8 v1, v[2:3], off
	s_wait_loadcnt 0x0
	v_lshlrev_b32_e32 v5, 25, v1
	v_lshlrev_b16 v1, 8, v1
	s_delay_alu instid0(VALU_DEP_1) | instskip(SKIP_1) | instid1(VALU_DEP_2)
	v_and_or_b32 v7, 0x7f00, v1, 0.5
	v_bfe_i32 v1, v1, 0, 16
	v_dual_add_f32 v7, -0.5, v7 :: v_dual_lshrrev_b32 v6, 4, v5
	v_cmp_gt_u32_e32 vcc_lo, 0x8000000, v5
	s_delay_alu instid0(VALU_DEP_2) | instskip(NEXT) | instid1(VALU_DEP_1)
	v_or_b32_e32 v6, 0x70000000, v6
	v_mul_f32_e32 v6, 0x7800000, v6
	s_delay_alu instid0(VALU_DEP_1) | instskip(NEXT) | instid1(VALU_DEP_1)
	v_cndmask_b32_e32 v5, v6, v7, vcc_lo
	v_and_or_b32 v1, 0x80000000, v1, v5
	s_delay_alu instid0(VALU_DEP_1)
	v_cvt_f64_f32_e32 v[6:7], v1
.LBB7_640:
	s_mov_b32 s24, 0
	s_mov_b32 s23, -1
.LBB7_641:
	s_and_not1_b32 vcc_lo, exec_lo, s24
	s_cbranch_vccnz .LBB7_654
; %bb.642:
	s_cmp_gt_i32 s0, 14
	s_cbranch_scc0 .LBB7_645
; %bb.643:
	s_cmp_eq_u32 s0, 15
	s_cbranch_scc0 .LBB7_648
; %bb.644:
	global_load_u16 v1, v[2:3], off
	s_mov_b32 s23, -1
	s_mov_b32 s22, 0
	s_wait_loadcnt 0x0
	v_lshlrev_b32_e32 v1, 16, v1
	s_delay_alu instid0(VALU_DEP_1)
	v_cvt_f64_f32_e32 v[6:7], v1
	s_branch .LBB7_649
.LBB7_645:
	s_mov_b32 s24, -1
                                        ; implicit-def: $vgpr6_vgpr7
	s_branch .LBB7_650
.LBB7_646:
	s_or_saveexec_b32 s24, s24
	v_mov_b64_e32 v[6:7], 0x7ff8000020000000
	s_xor_b32 exec_lo, exec_lo, s24
	s_cbranch_execz .LBB7_627
.LBB7_647:
	v_cmp_ne_u16_e32 vcc_lo, 0, v1
	v_mov_b64_e32 v[6:7], 0
	s_and_not1_b32 s23, s23, exec_lo
	s_and_b32 s25, vcc_lo, exec_lo
	s_delay_alu instid0(SALU_CYCLE_1)
	s_or_b32 s23, s23, s25
	s_or_b32 exec_lo, exec_lo, s24
	s_and_saveexec_b32 s24, s23
	s_cbranch_execnz .LBB7_628
	s_branch .LBB7_629
.LBB7_648:
	s_mov_b32 s22, -1
                                        ; implicit-def: $vgpr6_vgpr7
.LBB7_649:
	s_mov_b32 s24, 0
.LBB7_650:
	s_delay_alu instid0(SALU_CYCLE_1)
	s_and_b32 vcc_lo, exec_lo, s24
	s_cbranch_vccz .LBB7_654
; %bb.651:
	s_cmp_eq_u32 s0, 11
	s_cbranch_scc0 .LBB7_653
; %bb.652:
	global_load_u8 v1, v[2:3], off
	s_wait_loadcnt 0x1
	v_mov_b32_e32 v6, 0
	s_mov_b32 s22, 0
	s_mov_b32 s23, -1
	s_wait_loadcnt 0x0
	v_cmp_ne_u16_e32 vcc_lo, 0, v1
	v_cndmask_b32_e64 v7, 0, 0x3ff00000, vcc_lo
	s_branch .LBB7_654
.LBB7_653:
	s_mov_b32 s22, -1
                                        ; implicit-def: $vgpr6_vgpr7
.LBB7_654:
	s_mov_b32 s24, 0
.LBB7_655:
	s_delay_alu instid0(SALU_CYCLE_1)
	s_and_b32 vcc_lo, exec_lo, s24
	s_cbranch_vccz .LBB7_704
; %bb.656:
	s_cmp_lt_i32 s0, 5
	s_cbranch_scc1 .LBB7_661
; %bb.657:
	s_cmp_lt_i32 s0, 8
	s_cbranch_scc1 .LBB7_662
	;; [unrolled: 3-line block ×3, first 2 shown]
; %bb.659:
	s_cmp_gt_i32 s0, 9
	s_cbranch_scc0 .LBB7_664
; %bb.660:
	s_wait_loadcnt 0x0
	global_load_b64 v[6:7], v[2:3], off
	s_mov_b32 s23, 0
	s_branch .LBB7_665
.LBB7_661:
	s_mov_b32 s23, -1
                                        ; implicit-def: $vgpr6_vgpr7
	s_branch .LBB7_683
.LBB7_662:
	s_mov_b32 s23, -1
                                        ; implicit-def: $vgpr6_vgpr7
	s_branch .LBB7_671
.LBB7_663:
	s_mov_b32 s23, -1
                                        ; implicit-def: $vgpr6_vgpr7
	s_branch .LBB7_668
.LBB7_664:
	s_mov_b32 s23, -1
                                        ; implicit-def: $vgpr6_vgpr7
.LBB7_665:
	s_delay_alu instid0(SALU_CYCLE_1)
	s_and_not1_b32 vcc_lo, exec_lo, s23
	s_cbranch_vccnz .LBB7_667
; %bb.666:
	global_load_b32 v1, v[2:3], off
	s_wait_loadcnt 0x0
	v_cvt_f64_f32_e32 v[6:7], v1
.LBB7_667:
	s_mov_b32 s23, 0
.LBB7_668:
	s_delay_alu instid0(SALU_CYCLE_1)
	s_and_not1_b32 vcc_lo, exec_lo, s23
	s_cbranch_vccnz .LBB7_670
; %bb.669:
	global_load_b32 v1, v[2:3], off
	s_wait_loadcnt 0x0
	v_cvt_f32_f16_e32 v1, v1
	s_delay_alu instid0(VALU_DEP_1)
	v_cvt_f64_f32_e32 v[6:7], v1
.LBB7_670:
	s_mov_b32 s23, 0
.LBB7_671:
	s_delay_alu instid0(SALU_CYCLE_1)
	s_and_not1_b32 vcc_lo, exec_lo, s23
	s_cbranch_vccnz .LBB7_682
; %bb.672:
	s_cmp_lt_i32 s0, 6
	s_cbranch_scc1 .LBB7_675
; %bb.673:
	s_cmp_gt_i32 s0, 6
	s_cbranch_scc0 .LBB7_676
; %bb.674:
	s_wait_loadcnt 0x0
	global_load_b64 v[6:7], v[2:3], off
	s_mov_b32 s23, 0
	s_branch .LBB7_677
.LBB7_675:
	s_mov_b32 s23, -1
                                        ; implicit-def: $vgpr6_vgpr7
	s_branch .LBB7_680
.LBB7_676:
	s_mov_b32 s23, -1
                                        ; implicit-def: $vgpr6_vgpr7
.LBB7_677:
	s_delay_alu instid0(SALU_CYCLE_1)
	s_and_not1_b32 vcc_lo, exec_lo, s23
	s_cbranch_vccnz .LBB7_679
; %bb.678:
	global_load_b32 v1, v[2:3], off
	s_wait_loadcnt 0x0
	v_cvt_f64_f32_e32 v[6:7], v1
.LBB7_679:
	s_mov_b32 s23, 0
.LBB7_680:
	s_delay_alu instid0(SALU_CYCLE_1)
	s_and_not1_b32 vcc_lo, exec_lo, s23
	s_cbranch_vccnz .LBB7_682
; %bb.681:
	global_load_u16 v1, v[2:3], off
	s_wait_loadcnt 0x0
	v_cvt_f32_f16_e32 v1, v1
	s_delay_alu instid0(VALU_DEP_1)
	v_cvt_f64_f32_e32 v[6:7], v1
.LBB7_682:
	s_mov_b32 s23, 0
.LBB7_683:
	s_delay_alu instid0(SALU_CYCLE_1)
	s_and_not1_b32 vcc_lo, exec_lo, s23
	s_cbranch_vccnz .LBB7_703
; %bb.684:
	s_cmp_lt_i32 s0, 2
	s_cbranch_scc1 .LBB7_688
; %bb.685:
	s_cmp_lt_i32 s0, 3
	s_cbranch_scc1 .LBB7_689
; %bb.686:
	s_cmp_gt_i32 s0, 3
	s_cbranch_scc0 .LBB7_690
; %bb.687:
	s_wait_loadcnt 0x0
	global_load_b64 v[6:7], v[2:3], off
	s_mov_b32 s23, 0
	s_wait_loadcnt 0x0
	v_cvt_f64_i32_e32 v[8:9], v7
	v_cvt_f64_u32_e32 v[6:7], v6
	s_delay_alu instid0(VALU_DEP_2) | instskip(NEXT) | instid1(VALU_DEP_1)
	v_ldexp_f64 v[8:9], v[8:9], 32
	v_add_f64_e32 v[6:7], v[8:9], v[6:7]
	s_branch .LBB7_691
.LBB7_688:
	s_mov_b32 s23, -1
                                        ; implicit-def: $vgpr6_vgpr7
	s_branch .LBB7_697
.LBB7_689:
	s_mov_b32 s23, -1
                                        ; implicit-def: $vgpr6_vgpr7
	s_branch .LBB7_694
.LBB7_690:
	s_mov_b32 s23, -1
                                        ; implicit-def: $vgpr6_vgpr7
.LBB7_691:
	s_delay_alu instid0(SALU_CYCLE_1)
	s_and_not1_b32 vcc_lo, exec_lo, s23
	s_cbranch_vccnz .LBB7_693
; %bb.692:
	global_load_b32 v1, v[2:3], off
	s_wait_loadcnt 0x0
	v_cvt_f64_i32_e32 v[6:7], v1
.LBB7_693:
	s_mov_b32 s23, 0
.LBB7_694:
	s_delay_alu instid0(SALU_CYCLE_1)
	s_and_not1_b32 vcc_lo, exec_lo, s23
	s_cbranch_vccnz .LBB7_696
; %bb.695:
	global_load_i16 v1, v[2:3], off
	s_wait_loadcnt 0x0
	v_cvt_f64_i32_e32 v[6:7], v1
.LBB7_696:
	s_mov_b32 s23, 0
.LBB7_697:
	s_delay_alu instid0(SALU_CYCLE_1)
	s_and_not1_b32 vcc_lo, exec_lo, s23
	s_cbranch_vccnz .LBB7_703
; %bb.698:
	s_cmp_gt_i32 s0, 0
	s_mov_b32 s0, 0
	s_cbranch_scc0 .LBB7_700
; %bb.699:
	global_load_i8 v1, v[2:3], off
	s_wait_loadcnt 0x0
	v_cvt_f64_i32_e32 v[6:7], v1
	s_branch .LBB7_701
.LBB7_700:
	s_mov_b32 s0, -1
                                        ; implicit-def: $vgpr6_vgpr7
.LBB7_701:
	s_delay_alu instid0(SALU_CYCLE_1)
	s_and_not1_b32 vcc_lo, exec_lo, s0
	s_cbranch_vccnz .LBB7_703
; %bb.702:
	global_load_u8 v1, v[2:3], off
	s_wait_loadcnt 0x0
	v_cvt_f64_u32_e32 v[6:7], v1
.LBB7_703:
	s_mov_b32 s23, -1
.LBB7_704:
	s_delay_alu instid0(SALU_CYCLE_1)
	s_and_not1_b32 vcc_lo, exec_lo, s23
	s_cbranch_vccnz .LBB7_716
; %bb.705:
	s_wait_loadcnt 0x0
	s_delay_alu instid0(VALU_DEP_1) | instskip(SKIP_2) | instid1(SALU_CYCLE_1)
	v_cmp_ngt_f64_e64 s0, 0x41d00000, |v[6:7]|
                                        ; implicit-def: $vgpr1
                                        ; implicit-def: $vgpr2_vgpr3
                                        ; implicit-def: $vgpr8_vgpr9
	s_wait_xcnt 0x0
	s_and_saveexec_b32 s23, s0
	s_xor_b32 s0, exec_lo, s23
	s_cbranch_execz .LBB7_707
; %bb.706:
	v_ldexp_f64 v[2:3], |v[6:7]|, 0xffffff80
	v_cmp_le_f64_e64 vcc_lo, 0x7b000000, |v[6:7]|
	v_trig_preop_f64 v[8:9], |v[6:7]|, 0
	v_and_b32_e32 v1, 0x7fffffff, v7
	v_trig_preop_f64 v[10:11], |v[6:7]|, 1
	v_trig_preop_f64 v[20:21], |v[6:7]|, 2
	s_mov_b64 s[24:25], 0x3ff921fb54442d18
	s_delay_alu instid0(VALU_DEP_3) | instskip(SKIP_1) | instid1(VALU_DEP_1)
	v_dual_mov_b32 v28, 0 :: v_dual_cndmask_b32 v3, v1, v3
	v_cndmask_b32_e32 v2, v6, v2, vcc_lo
	v_mul_f64_e32 v[12:13], v[8:9], v[2:3]
	v_mul_f64_e32 v[14:15], v[10:11], v[2:3]
	;; [unrolled: 1-line block ×3, first 2 shown]
	s_delay_alu instid0(VALU_DEP_3) | instskip(NEXT) | instid1(VALU_DEP_3)
	v_fma_f64 v[8:9], v[8:9], v[2:3], -v[12:13]
	v_fma_f64 v[10:11], v[10:11], v[2:3], -v[14:15]
	s_delay_alu instid0(VALU_DEP_3) | instskip(NEXT) | instid1(VALU_DEP_3)
	v_fma_f64 v[2:3], v[20:21], v[2:3], -v[26:27]
	v_add_f64_e32 v[16:17], v[14:15], v[8:9]
	s_delay_alu instid0(VALU_DEP_1) | instskip(SKIP_1) | instid1(VALU_DEP_2)
	v_add_f64_e64 v[18:19], v[16:17], -v[14:15]
	v_add_f64_e32 v[24:25], v[12:13], v[16:17]
	v_add_f64_e64 v[22:23], v[16:17], -v[18:19]
	v_add_f64_e64 v[8:9], v[8:9], -v[18:19]
	s_delay_alu instid0(VALU_DEP_3) | instskip(NEXT) | instid1(VALU_DEP_3)
	v_ldexp_f64 v[18:19], v[24:25], -2
	v_add_f64_e64 v[14:15], v[14:15], -v[22:23]
	v_add_f64_e32 v[22:23], v[26:27], v[10:11]
	s_delay_alu instid0(VALU_DEP_3) | instskip(NEXT) | instid1(VALU_DEP_3)
	v_cmp_neq_f64_e64 vcc_lo, 0x7ff00000, |v[18:19]|
	v_add_f64_e32 v[8:9], v[8:9], v[14:15]
	v_fract_f64_e32 v[14:15], v[18:19]
	s_delay_alu instid0(VALU_DEP_1) | instskip(NEXT) | instid1(VALU_DEP_1)
	v_ldexp_f64 v[14:15], v[14:15], 2
	v_dual_add_f64 v[12:13], v[24:25], -v[12:13] :: v_dual_cndmask_b32 v14, 0, v14, vcc_lo
	s_delay_alu instid0(VALU_DEP_1) | instskip(SKIP_1) | instid1(VALU_DEP_1)
	v_dual_add_f64 v[12:13], v[16:17], -v[12:13] :: v_dual_cndmask_b32 v15, 0, v15, vcc_lo
	v_add_f64_e32 v[16:17], v[22:23], v[8:9]
	v_add_f64_e32 v[18:19], v[12:13], v[16:17]
	v_add_f64_e64 v[30:31], v[16:17], -v[22:23]
	s_delay_alu instid0(VALU_DEP_2) | instskip(NEXT) | instid1(VALU_DEP_2)
	v_add_f64_e32 v[24:25], v[18:19], v[14:15]
	v_add_f64_e64 v[36:37], v[16:17], -v[30:31]
	v_add_f64_e64 v[8:9], v[8:9], -v[30:31]
	;; [unrolled: 1-line block ×3, first 2 shown]
	s_delay_alu instid0(VALU_DEP_4) | instskip(SKIP_1) | instid1(VALU_DEP_3)
	v_cmp_gt_f64_e32 vcc_lo, 0, v[24:25]
	v_add_f64_e64 v[24:25], v[22:23], -v[26:27]
	v_add_f64_e64 v[12:13], v[16:17], -v[12:13]
	v_cndmask_b32_e64 v29, 0, 0x40100000, vcc_lo
	s_delay_alu instid0(VALU_DEP_3) | instskip(SKIP_2) | instid1(VALU_DEP_4)
	v_add_f64_e64 v[34:35], v[22:23], -v[24:25]
	v_add_f64_e64 v[10:11], v[10:11], -v[24:25]
	;; [unrolled: 1-line block ×3, first 2 shown]
	v_add_f64_e32 v[14:15], v[14:15], v[28:29]
	s_delay_alu instid0(VALU_DEP_4) | instskip(NEXT) | instid1(VALU_DEP_3)
	v_add_f64_e64 v[24:25], v[26:27], -v[34:35]
	v_add_f64_e32 v[8:9], v[8:9], v[22:23]
	s_delay_alu instid0(VALU_DEP_3) | instskip(NEXT) | instid1(VALU_DEP_3)
	v_add_f64_e32 v[32:33], v[18:19], v[14:15]
	v_add_f64_e32 v[10:11], v[10:11], v[24:25]
	s_delay_alu instid0(VALU_DEP_2) | instskip(NEXT) | instid1(VALU_DEP_2)
	v_cvt_i32_f64_e32 v1, v[32:33]
	v_add_f64_e32 v[8:9], v[10:11], v[8:9]
	s_delay_alu instid0(VALU_DEP_2) | instskip(NEXT) | instid1(VALU_DEP_2)
	v_cvt_f64_i32_e32 v[30:31], v1
	v_add_f64_e32 v[2:3], v[2:3], v[8:9]
	s_delay_alu instid0(VALU_DEP_2) | instskip(NEXT) | instid1(VALU_DEP_2)
	v_add_f64_e64 v[14:15], v[14:15], -v[30:31]
	v_add_f64_e32 v[2:3], v[12:13], v[2:3]
	s_delay_alu instid0(VALU_DEP_2) | instskip(NEXT) | instid1(VALU_DEP_1)
	v_add_f64_e32 v[10:11], v[18:19], v[14:15]
	v_add_f64_e64 v[8:9], v[10:11], -v[14:15]
	v_cmp_le_f64_e32 vcc_lo, 0.5, v[10:11]
	s_delay_alu instid0(VALU_DEP_2) | instskip(SKIP_2) | instid1(VALU_DEP_3)
	v_add_f64_e64 v[8:9], v[18:19], -v[8:9]
	v_cndmask_b32_e64 v29, 0, 0x3ff00000, vcc_lo
	v_add_co_ci_u32_e64 v1, null, 0, v1, vcc_lo
	v_add_f64_e32 v[2:3], v[2:3], v[8:9]
	s_delay_alu instid0(VALU_DEP_3) | instskip(NEXT) | instid1(VALU_DEP_1)
	v_add_f64_e64 v[8:9], v[10:11], -v[28:29]
	v_add_f64_e32 v[10:11], v[8:9], v[2:3]
	s_delay_alu instid0(VALU_DEP_1) | instskip(SKIP_1) | instid1(VALU_DEP_2)
	v_mul_f64_e32 v[12:13], 0x3ff921fb54442d18, v[10:11]
	v_add_f64_e64 v[8:9], v[10:11], -v[8:9]
	v_fma_f64 v[14:15], v[10:11], s[24:25], -v[12:13]
	s_delay_alu instid0(VALU_DEP_2) | instskip(NEXT) | instid1(VALU_DEP_2)
	v_add_f64_e64 v[2:3], v[2:3], -v[8:9]
	v_fmamk_f64 v[8:9], v[10:11], 0x3c91a62633145c07, v[14:15]
	s_delay_alu instid0(VALU_DEP_1) | instskip(NEXT) | instid1(VALU_DEP_1)
	v_fmac_f64_e32 v[8:9], 0x3ff921fb54442d18, v[2:3]
	v_add_f64_e32 v[2:3], v[12:13], v[8:9]
	s_delay_alu instid0(VALU_DEP_1) | instskip(NEXT) | instid1(VALU_DEP_1)
	v_add_f64_e64 v[10:11], v[2:3], -v[12:13]
	v_add_f64_e64 v[8:9], v[8:9], -v[10:11]
.LBB7_707:
	s_and_not1_saveexec_b32 s0, s0
	s_cbranch_execz .LBB7_709
; %bb.708:
	s_mov_b64 s[24:25], 0x3fe45f306dc9c883
	s_delay_alu instid0(SALU_CYCLE_1) | instskip(SKIP_1) | instid1(VALU_DEP_1)
	v_mul_f64_e64 v[2:3], |v[6:7]|, s[24:25]
	s_mov_b64 s[24:25], 0xbff921fb54442d18
	v_rndne_f64_e32 v[10:11], v[2:3]
	s_delay_alu instid0(VALU_DEP_1) | instskip(SKIP_2) | instid1(VALU_DEP_3)
	v_fma_f64 v[2:3], v[10:11], s[24:25], |v[6:7]|
	v_mul_f64_e32 v[8:9], 0xbc91a62633145c00, v[10:11]
	v_cvt_i32_f64_e32 v1, v[10:11]
	v_fmamk_f64 v[16:17], v[10:11], 0xbc91a62633145c00, v[2:3]
	s_delay_alu instid0(VALU_DEP_3) | instskip(NEXT) | instid1(VALU_DEP_1)
	v_add_f64_e32 v[12:13], v[2:3], v[8:9]
	v_add_f64_e64 v[14:15], v[2:3], -v[12:13]
	s_delay_alu instid0(VALU_DEP_3) | instskip(NEXT) | instid1(VALU_DEP_2)
	v_add_f64_e64 v[2:3], v[12:13], -v[16:17]
	v_add_f64_e32 v[12:13], v[14:15], v[8:9]
	v_fmamk_f64 v[8:9], v[10:11], 0x3c91a62633145c00, v[8:9]
	s_delay_alu instid0(VALU_DEP_2) | instskip(NEXT) | instid1(VALU_DEP_1)
	v_add_f64_e32 v[2:3], v[2:3], v[12:13]
	v_add_f64_e64 v[2:3], v[2:3], -v[8:9]
	s_delay_alu instid0(VALU_DEP_1) | instskip(NEXT) | instid1(VALU_DEP_1)
	v_fmamk_f64 v[8:9], v[10:11], 0xb97b839a252049c0, v[2:3]
	v_add_f64_e32 v[2:3], v[16:17], v[8:9]
	s_delay_alu instid0(VALU_DEP_1) | instskip(NEXT) | instid1(VALU_DEP_1)
	v_add_f64_e64 v[12:13], v[2:3], -v[16:17]
	v_add_f64_e64 v[8:9], v[8:9], -v[12:13]
.LBB7_709:
	s_or_b32 exec_lo, exec_lo, s0
	v_dual_mul_f64 v[10:11], v[2:3], v[2:3] :: v_dual_bitop2_b32 v5, 1, v1 bitop3:0x40
	v_cmp_class_f64_e64 s0, v[6:7], 0x1f8
	s_mov_b64 s[24:25], 0x3de5e0b2f9a43bb8
	s_and_b32 s23, s34, 0xff
	v_lshlrev_b32_e32 v1, 30, v1
	v_cmp_eq_u32_e32 vcc_lo, 0, v5
	v_mul_f64_e32 v[18:19], 0.5, v[8:9]
	s_cmp_lt_i32 s23, 11
	s_delay_alu instid0(VALU_DEP_3) | instskip(NEXT) | instid1(VALU_DEP_1)
	v_dual_mov_b32 v1, 0 :: v_dual_bitop2_b32 v5, v1, v7 bitop3:0x14
	v_add_nc_u64_e32 v[6:7], s[4:5], v[0:1]
	v_mul_f64_e32 v[12:13], 0.5, v[10:11]
	v_mul_f64_e64 v[20:21], v[2:3], -v[10:11]
	v_fmaak_f64 v[22:23], s[24:25], v[10:11], 0xbe5ae600b42fdfa7
	s_mov_b64 s[24:25], 0xbda907db46cc5e42
	s_delay_alu instid0(VALU_DEP_3) | instskip(NEXT) | instid1(VALU_DEP_1)
	v_add_f64_e64 v[14:15], -v[12:13], 1.0
	v_add_f64_e64 v[16:17], -v[14:15], 1.0
	s_delay_alu instid0(VALU_DEP_1) | instskip(NEXT) | instid1(VALU_DEP_4)
	v_add_f64_e64 v[12:13], v[16:17], -v[12:13]
	v_fmaak_f64 v[16:17], v[10:11], v[22:23], 0x3ec71de3796cde01
	v_mul_f64_e32 v[22:23], v[10:11], v[10:11]
	s_delay_alu instid0(VALU_DEP_2) | instskip(NEXT) | instid1(VALU_DEP_1)
	v_fmaak_f64 v[16:17], v[10:11], v[16:17], 0xbf2a01a019e83e5c
	v_fmaak_f64 v[16:17], v[10:11], v[16:17], 0x3f81111111110bb3
	s_delay_alu instid0(VALU_DEP_1) | instskip(SKIP_3) | instid1(VALU_DEP_1)
	v_fmac_f64_e32 v[18:19], v[20:21], v[16:17]
	v_fmaak_f64 v[16:17], s[24:25], v[10:11], 0x3e21eeb69037ab78
	s_mov_b32 s25, 0
	s_mov_b32 s24, -1
	v_fmaak_f64 v[16:17], v[10:11], v[16:17], 0xbe927e4fa17f65f6
	v_fma_f64 v[12:13], v[2:3], -v[8:9], v[12:13]
	s_delay_alu instid0(VALU_DEP_2) | instskip(NEXT) | instid1(VALU_DEP_1)
	v_fmaak_f64 v[16:17], v[10:11], v[16:17], 0x3efa01a019f4ec90
	v_fmaak_f64 v[16:17], v[10:11], v[16:17], 0xbf56c16c16c16967
	v_fma_f64 v[8:9], v[10:11], v[18:19], -v[8:9]
	s_delay_alu instid0(VALU_DEP_2) | instskip(NEXT) | instid1(VALU_DEP_1)
	v_fmaak_f64 v[10:11], v[10:11], v[16:17], 0x3fa5555555555555
	v_fmac_f64_e32 v[12:13], v[22:23], v[10:11]
	s_delay_alu instid0(VALU_DEP_3) | instskip(NEXT) | instid1(VALU_DEP_1)
	v_fmamk_f64 v[8:9], v[20:21], 0xbfc5555555555555, v[8:9]
	v_add_f64_e64 v[2:3], v[2:3], -v[8:9]
	s_delay_alu instid0(VALU_DEP_3) | instskip(NEXT) | instid1(VALU_DEP_1)
	v_add_f64_e32 v[8:9], v[14:15], v[12:13]
	v_dual_cndmask_b32 v3, v9, v3 :: v_dual_cndmask_b32 v2, v8, v2
	s_delay_alu instid0(VALU_DEP_1) | instskip(NEXT) | instid1(VALU_DEP_2)
	v_bitop3_b32 v3, v3, v5, 0x80000000 bitop3:0x78
	v_cndmask_b32_e64 v0, 0, v2, s0
	s_delay_alu instid0(VALU_DEP_2)
	v_cndmask_b32_e64 v1, 0x7ff80000, v3, s0
	s_mov_b32 s0, s43
	s_cbranch_scc1 .LBB7_717
; %bb.710:
	s_and_b32 s24, 0xffff, s23
	s_delay_alu instid0(SALU_CYCLE_1)
	s_cmp_gt_i32 s24, 25
	s_cbranch_scc0 .LBB7_758
; %bb.711:
	s_cmp_gt_i32 s24, 28
	s_cbranch_scc0 .LBB7_759
; %bb.712:
	;; [unrolled: 3-line block ×4, first 2 shown]
	s_mov_b32 s26, 0
	s_mov_b32 s0, -1
	s_cmp_eq_u32 s24, 46
	s_cbranch_scc0 .LBB7_762
; %bb.715:
	v_cvt_f32_f64_e32 v2, v[0:1]
	s_mov_b32 s25, -1
	s_mov_b32 s0, 0
	s_delay_alu instid0(VALU_DEP_1) | instskip(SKIP_1) | instid1(VALU_DEP_2)
	v_bfe_u32 v3, v2, 16, 1
	v_cmp_o_f32_e32 vcc_lo, v2, v2
	v_add3_u32 v3, v2, v3, 0x7fff
	s_delay_alu instid0(VALU_DEP_1) | instskip(NEXT) | instid1(VALU_DEP_1)
	v_lshrrev_b32_e32 v3, 16, v3
	v_cndmask_b32_e32 v2, 0x7fc0, v3, vcc_lo
	global_store_b32 v[6:7], v2, off
	s_branch .LBB7_762
.LBB7_716:
	s_mov_b32 s23, 0
	s_mov_b32 s0, s43
	s_branch .LBB7_757
.LBB7_717:
	s_and_b32 vcc_lo, exec_lo, s24
	s_cbranch_vccz .LBB7_831
; %bb.718:
	s_and_b32 s23, 0xffff, s23
	s_mov_b32 s24, -1
	s_cmp_lt_i32 s23, 5
	s_cbranch_scc1 .LBB7_739
; %bb.719:
	s_cmp_lt_i32 s23, 8
	s_cbranch_scc1 .LBB7_729
; %bb.720:
	s_cmp_lt_i32 s23, 9
	s_cbranch_scc1 .LBB7_726
; %bb.721:
	s_cmp_gt_i32 s23, 9
	s_cbranch_scc0 .LBB7_723
; %bb.722:
	s_wait_xcnt 0x0
	v_mov_b64_e32 v[2:3], 0
	s_mov_b32 s24, 0
	global_store_b128 v[6:7], v[0:3], off
.LBB7_723:
	s_and_not1_b32 vcc_lo, exec_lo, s24
	s_cbranch_vccnz .LBB7_725
; %bb.724:
	s_wait_xcnt 0x0
	v_cvt_f32_f64_e32 v2, v[0:1]
	v_mov_b32_e32 v3, 0
	global_store_b64 v[6:7], v[2:3], off
.LBB7_725:
	s_mov_b32 s24, 0
.LBB7_726:
	s_delay_alu instid0(SALU_CYCLE_1)
	s_and_not1_b32 vcc_lo, exec_lo, s24
	s_cbranch_vccnz .LBB7_728
; %bb.727:
	s_wait_xcnt 0x0
	v_and_or_b32 v2, 0x1ff, v1, v0
	v_lshrrev_b32_e32 v3, 8, v1
	v_bfe_u32 v5, v1, 20, 11
	s_delay_alu instid0(VALU_DEP_3) | instskip(NEXT) | instid1(VALU_DEP_2)
	v_cmp_ne_u32_e32 vcc_lo, 0, v2
	v_sub_nc_u32_e32 v8, 0x3f1, v5
	v_add_nc_u32_e32 v5, 0xfffffc10, v5
	v_cndmask_b32_e64 v2, 0, 1, vcc_lo
	s_delay_alu instid0(VALU_DEP_1) | instskip(NEXT) | instid1(VALU_DEP_4)
	v_and_or_b32 v2, 0xffe, v3, v2
	v_med3_i32 v3, v8, 0, 13
	s_delay_alu instid0(VALU_DEP_2) | instskip(NEXT) | instid1(VALU_DEP_1)
	v_or_b32_e32 v8, 0x1000, v2
	v_lshrrev_b32_e32 v9, v3, v8
	s_delay_alu instid0(VALU_DEP_1) | instskip(NEXT) | instid1(VALU_DEP_1)
	v_lshlrev_b32_e32 v3, v3, v9
	v_cmp_ne_u32_e32 vcc_lo, v3, v8
	v_lshl_or_b32 v8, v5, 12, v2
	v_cndmask_b32_e64 v3, 0, 1, vcc_lo
	v_cmp_gt_i32_e32 vcc_lo, 1, v5
	s_delay_alu instid0(VALU_DEP_2) | instskip(NEXT) | instid1(VALU_DEP_1)
	v_or_b32_e32 v3, v9, v3
	v_cndmask_b32_e32 v3, v8, v3, vcc_lo
	s_delay_alu instid0(VALU_DEP_1) | instskip(NEXT) | instid1(VALU_DEP_1)
	v_dual_lshrrev_b32 v3, 2, v3 :: v_dual_bitop2_b32 v8, 7, v3 bitop3:0x40
	v_cmp_lt_i32_e32 vcc_lo, 5, v8
	v_cndmask_b32_e64 v9, 0, 1, vcc_lo
	v_cmp_eq_u32_e32 vcc_lo, 3, v8
	v_cndmask_b32_e64 v8, 0, 1, vcc_lo
	v_cmp_ne_u32_e32 vcc_lo, 0, v2
	s_delay_alu instid0(VALU_DEP_2) | instskip(SKIP_1) | instid1(VALU_DEP_1)
	v_or_b32_e32 v8, v8, v9
	v_mov_b32_e32 v9, 0x7e00
	v_dual_cndmask_b32 v2, 0x7c00, v9 :: v_dual_add_nc_u32 v3, v3, v8
	v_cmp_gt_i32_e32 vcc_lo, 31, v5
	s_delay_alu instid0(VALU_DEP_2) | instskip(SKIP_1) | instid1(VALU_DEP_2)
	v_dual_cndmask_b32 v3, 0x7c00, v3 :: v_dual_lshrrev_b32 v8, 16, v1
	v_cmp_eq_u32_e32 vcc_lo, 0x40f, v5
	v_cndmask_b32_e32 v2, v3, v2, vcc_lo
	s_delay_alu instid0(VALU_DEP_3) | instskip(NEXT) | instid1(VALU_DEP_1)
	v_and_b32_e32 v3, 0x8000, v8
	v_bitop3_b32 v2, v3, 0xffff, v2 bitop3:0xc8
	global_store_b32 v[6:7], v2, off
.LBB7_728:
	s_mov_b32 s24, 0
.LBB7_729:
	s_delay_alu instid0(SALU_CYCLE_1)
	s_and_not1_b32 vcc_lo, exec_lo, s24
	s_cbranch_vccnz .LBB7_738
; %bb.730:
	s_cmp_lt_i32 s23, 6
	s_mov_b32 s24, -1
	s_cbranch_scc1 .LBB7_736
; %bb.731:
	s_cmp_gt_i32 s23, 6
	s_cbranch_scc0 .LBB7_733
; %bb.732:
	s_mov_b32 s24, 0
	global_store_b64 v[6:7], v[0:1], off
.LBB7_733:
	s_and_not1_b32 vcc_lo, exec_lo, s24
	s_cbranch_vccnz .LBB7_735
; %bb.734:
	s_wait_xcnt 0x0
	v_cvt_f32_f64_e32 v2, v[0:1]
	global_store_b32 v[6:7], v2, off
.LBB7_735:
	s_mov_b32 s24, 0
.LBB7_736:
	s_delay_alu instid0(SALU_CYCLE_1)
	s_and_not1_b32 vcc_lo, exec_lo, s24
	s_cbranch_vccnz .LBB7_738
; %bb.737:
	s_wait_xcnt 0x0
	v_and_or_b32 v2, 0x1ff, v1, v0
	v_lshrrev_b32_e32 v3, 8, v1
	v_bfe_u32 v5, v1, 20, 11
	s_delay_alu instid0(VALU_DEP_3) | instskip(NEXT) | instid1(VALU_DEP_2)
	v_cmp_ne_u32_e32 vcc_lo, 0, v2
	v_sub_nc_u32_e32 v8, 0x3f1, v5
	v_add_nc_u32_e32 v5, 0xfffffc10, v5
	v_cndmask_b32_e64 v2, 0, 1, vcc_lo
	s_delay_alu instid0(VALU_DEP_1) | instskip(NEXT) | instid1(VALU_DEP_4)
	v_and_or_b32 v2, 0xffe, v3, v2
	v_med3_i32 v3, v8, 0, 13
	s_delay_alu instid0(VALU_DEP_2) | instskip(NEXT) | instid1(VALU_DEP_1)
	v_or_b32_e32 v8, 0x1000, v2
	v_lshrrev_b32_e32 v9, v3, v8
	s_delay_alu instid0(VALU_DEP_1) | instskip(NEXT) | instid1(VALU_DEP_1)
	v_lshlrev_b32_e32 v3, v3, v9
	v_cmp_ne_u32_e32 vcc_lo, v3, v8
	v_lshl_or_b32 v8, v5, 12, v2
	v_cndmask_b32_e64 v3, 0, 1, vcc_lo
	v_cmp_gt_i32_e32 vcc_lo, 1, v5
	s_delay_alu instid0(VALU_DEP_2) | instskip(NEXT) | instid1(VALU_DEP_1)
	v_or_b32_e32 v3, v9, v3
	v_cndmask_b32_e32 v3, v8, v3, vcc_lo
	s_delay_alu instid0(VALU_DEP_1) | instskip(NEXT) | instid1(VALU_DEP_1)
	v_dual_lshrrev_b32 v3, 2, v3 :: v_dual_bitop2_b32 v8, 7, v3 bitop3:0x40
	v_cmp_lt_i32_e32 vcc_lo, 5, v8
	v_cndmask_b32_e64 v9, 0, 1, vcc_lo
	v_cmp_eq_u32_e32 vcc_lo, 3, v8
	v_cndmask_b32_e64 v8, 0, 1, vcc_lo
	v_cmp_ne_u32_e32 vcc_lo, 0, v2
	s_delay_alu instid0(VALU_DEP_2) | instskip(SKIP_1) | instid1(VALU_DEP_1)
	v_or_b32_e32 v8, v8, v9
	v_mov_b32_e32 v9, 0x7e00
	v_dual_cndmask_b32 v2, 0x7c00, v9 :: v_dual_add_nc_u32 v3, v3, v8
	v_cmp_gt_i32_e32 vcc_lo, 31, v5
	s_delay_alu instid0(VALU_DEP_2) | instskip(SKIP_1) | instid1(VALU_DEP_2)
	v_cndmask_b32_e32 v3, 0x7c00, v3, vcc_lo
	v_cmp_eq_u32_e32 vcc_lo, 0x40f, v5
	v_dual_cndmask_b32 v2, v3, v2 :: v_dual_lshrrev_b32 v3, 16, v1
	s_delay_alu instid0(VALU_DEP_1)
	v_and_or_b32 v2, 0x8000, v3, v2
	global_store_b16 v[6:7], v2, off
.LBB7_738:
	s_mov_b32 s24, 0
.LBB7_739:
	s_delay_alu instid0(SALU_CYCLE_1)
	s_and_not1_b32 vcc_lo, exec_lo, s24
	s_cbranch_vccnz .LBB7_755
; %bb.740:
	s_cmp_lt_i32 s23, 2
	s_mov_b32 s24, -1
	s_cbranch_scc1 .LBB7_750
; %bb.741:
	s_cmp_lt_i32 s23, 3
	s_cbranch_scc1 .LBB7_747
; %bb.742:
	s_cmp_gt_i32 s23, 3
	s_cbranch_scc0 .LBB7_744
; %bb.743:
	s_wait_xcnt 0x0
	v_trunc_f64_e32 v[2:3], v[0:1]
	s_mov_b32 s24, 0
	s_delay_alu instid0(VALU_DEP_1) | instskip(NEXT) | instid1(VALU_DEP_1)
	v_ldexp_f64 v[8:9], v[2:3], 0xffffffe0
	v_floor_f64_e32 v[8:9], v[8:9]
	s_delay_alu instid0(VALU_DEP_1) | instskip(SKIP_1) | instid1(VALU_DEP_2)
	v_fmamk_f64 v[2:3], v[8:9], 0xc1f00000, v[2:3]
	v_cvt_i32_f64_e32 v9, v[8:9]
	v_cvt_u32_f64_e32 v8, v[2:3]
	global_store_b64 v[6:7], v[8:9], off
.LBB7_744:
	s_and_not1_b32 vcc_lo, exec_lo, s24
	s_cbranch_vccnz .LBB7_746
; %bb.745:
	s_wait_xcnt 0x0
	v_cvt_i32_f64_e32 v2, v[0:1]
	global_store_b32 v[6:7], v2, off
.LBB7_746:
	s_mov_b32 s24, 0
.LBB7_747:
	s_delay_alu instid0(SALU_CYCLE_1)
	s_and_not1_b32 vcc_lo, exec_lo, s24
	s_cbranch_vccnz .LBB7_749
; %bb.748:
	s_wait_xcnt 0x0
	v_cvt_i32_f64_e32 v2, v[0:1]
	global_store_b16 v[6:7], v2, off
.LBB7_749:
	s_mov_b32 s24, 0
.LBB7_750:
	s_delay_alu instid0(SALU_CYCLE_1)
	s_and_not1_b32 vcc_lo, exec_lo, s24
	s_cbranch_vccnz .LBB7_755
; %bb.751:
	s_cmp_gt_i32 s23, 0
	s_mov_b32 s23, -1
	s_cbranch_scc0 .LBB7_753
; %bb.752:
	s_wait_xcnt 0x0
	v_cvt_i32_f64_e32 v2, v[0:1]
	s_mov_b32 s23, 0
	global_store_b8 v[6:7], v2, off
.LBB7_753:
	s_and_not1_b32 vcc_lo, exec_lo, s23
	s_cbranch_vccnz .LBB7_755
; %bb.754:
	s_wait_xcnt 0x0
	v_trunc_f64_e32 v[0:1], v[0:1]
	s_delay_alu instid0(VALU_DEP_1) | instskip(NEXT) | instid1(VALU_DEP_1)
	v_ldexp_f64 v[2:3], v[0:1], 0xffffffe0
	v_floor_f64_e32 v[2:3], v[2:3]
	s_delay_alu instid0(VALU_DEP_1) | instskip(NEXT) | instid1(VALU_DEP_1)
	v_fmamk_f64 v[0:1], v[2:3], 0xc1f00000, v[0:1]
	v_cvt_u32_f64_e32 v0, v[0:1]
	global_store_b8 v[6:7], v0, off
.LBB7_755:
	s_branch .LBB7_832
.LBB7_756:
	s_mov_b32 s23, 0
.LBB7_757:
                                        ; implicit-def: $vgpr4
	s_branch .LBB7_833
.LBB7_758:
	s_mov_b32 s26, -1
	s_mov_b32 s0, s43
	s_branch .LBB7_789
.LBB7_759:
	s_mov_b32 s26, -1
	s_mov_b32 s0, s43
	s_branch .LBB7_772
.LBB7_760:
	s_mov_b32 s26, -1
	s_mov_b32 s0, s43
	s_branch .LBB7_768
.LBB7_761:
	s_mov_b32 s26, -1
	s_mov_b32 s0, s43
.LBB7_762:
	s_and_b32 vcc_lo, exec_lo, s26
	s_cbranch_vccz .LBB7_767
; %bb.763:
	s_cmp_eq_u32 s24, 44
	s_mov_b32 s0, -1
	s_cbranch_scc0 .LBB7_767
; %bb.764:
	s_wait_xcnt 0x0
	v_cvt_f32_f64_e32 v2, v[0:1]
	v_mov_b32_e32 v3, 0xff
	s_mov_b32 s25, exec_lo
	s_delay_alu instid0(VALU_DEP_2) | instskip(NEXT) | instid1(VALU_DEP_1)
	v_bfe_u32 v5, v2, 23, 8
	v_cmpx_ne_u32_e32 0xff, v5
	s_cbranch_execz .LBB7_766
; %bb.765:
	v_and_b32_e32 v3, 0x400000, v2
	v_and_or_b32 v5, 0x3fffff, v2, v5
	v_lshrrev_b32_e32 v2, 23, v2
	s_delay_alu instid0(VALU_DEP_3) | instskip(NEXT) | instid1(VALU_DEP_3)
	v_cmp_ne_u32_e32 vcc_lo, 0, v3
	v_cmp_ne_u32_e64 s0, 0, v5
	s_and_b32 s0, vcc_lo, s0
	s_delay_alu instid0(SALU_CYCLE_1) | instskip(NEXT) | instid1(VALU_DEP_1)
	v_cndmask_b32_e64 v3, 0, 1, s0
	v_add_nc_u32_e32 v3, v2, v3
.LBB7_766:
	s_or_b32 exec_lo, exec_lo, s25
	s_mov_b32 s25, -1
	s_mov_b32 s0, 0
	global_store_b8 v[6:7], v3, off
.LBB7_767:
	s_mov_b32 s26, 0
.LBB7_768:
	s_delay_alu instid0(SALU_CYCLE_1)
	s_and_b32 vcc_lo, exec_lo, s26
	s_cbranch_vccz .LBB7_771
; %bb.769:
	s_cmp_eq_u32 s24, 29
	s_mov_b32 s0, -1
	s_cbranch_scc0 .LBB7_771
; %bb.770:
	s_wait_xcnt 0x0
	v_trunc_f64_e32 v[2:3], v[0:1]
	s_mov_b32 s25, -1
	s_mov_b32 s0, 0
	s_mov_b32 s26, 0
	s_delay_alu instid0(VALU_DEP_1) | instskip(NEXT) | instid1(VALU_DEP_1)
	v_ldexp_f64 v[8:9], v[2:3], 0xffffffe0
	v_floor_f64_e32 v[8:9], v[8:9]
	s_delay_alu instid0(VALU_DEP_1) | instskip(SKIP_1) | instid1(VALU_DEP_2)
	v_fmamk_f64 v[2:3], v[8:9], 0xc1f00000, v[2:3]
	v_cvt_u32_f64_e32 v9, v[8:9]
	v_cvt_u32_f64_e32 v8, v[2:3]
	global_store_b64 v[6:7], v[8:9], off
	s_branch .LBB7_772
.LBB7_771:
	s_mov_b32 s26, 0
.LBB7_772:
	s_delay_alu instid0(SALU_CYCLE_1)
	s_and_b32 vcc_lo, exec_lo, s26
	s_cbranch_vccz .LBB7_788
; %bb.773:
	s_cmp_lt_i32 s24, 27
	s_mov_b32 s25, -1
	s_cbranch_scc1 .LBB7_779
; %bb.774:
	s_wait_xcnt 0x0
	v_cvt_u32_f64_e32 v2, v[0:1]
	s_cmp_gt_i32 s24, 27
	s_cbranch_scc0 .LBB7_776
; %bb.775:
	s_mov_b32 s25, 0
	global_store_b32 v[6:7], v2, off
.LBB7_776:
	s_and_not1_b32 vcc_lo, exec_lo, s25
	s_cbranch_vccnz .LBB7_778
; %bb.777:
	global_store_b16 v[6:7], v2, off
.LBB7_778:
	s_mov_b32 s25, 0
.LBB7_779:
	s_delay_alu instid0(SALU_CYCLE_1)
	s_and_not1_b32 vcc_lo, exec_lo, s25
	s_cbranch_vccnz .LBB7_787
; %bb.780:
	s_wait_xcnt 0x0
	v_cvt_f32_f64_e32 v2, v[0:1]
	v_mov_b32_e32 v5, 0x80
	s_mov_b32 s25, exec_lo
	s_delay_alu instid0(VALU_DEP_2) | instskip(NEXT) | instid1(VALU_DEP_1)
	v_and_b32_e32 v3, 0x7fffffff, v2
	v_cmpx_gt_u32_e32 0x43800000, v3
	s_cbranch_execz .LBB7_786
; %bb.781:
	v_cmp_lt_u32_e32 vcc_lo, 0x3bffffff, v3
	s_mov_b32 s26, 0
                                        ; implicit-def: $vgpr3
	s_and_saveexec_b32 s27, vcc_lo
	s_delay_alu instid0(SALU_CYCLE_1)
	s_xor_b32 s27, exec_lo, s27
	s_cbranch_execz .LBB7_864
; %bb.782:
	v_bfe_u32 v3, v2, 20, 1
	s_mov_b32 s26, exec_lo
	s_delay_alu instid0(VALU_DEP_1) | instskip(NEXT) | instid1(VALU_DEP_1)
	v_add3_u32 v3, v2, v3, 0x487ffff
	v_lshrrev_b32_e32 v3, 20, v3
	s_and_not1_saveexec_b32 s27, s27
	s_cbranch_execnz .LBB7_865
.LBB7_783:
	s_or_b32 exec_lo, exec_lo, s27
	v_mov_b32_e32 v5, 0
	s_and_saveexec_b32 s27, s26
.LBB7_784:
	v_lshrrev_b32_e32 v2, 24, v2
	s_delay_alu instid0(VALU_DEP_1)
	v_and_or_b32 v5, 0x80, v2, v3
.LBB7_785:
	s_or_b32 exec_lo, exec_lo, s27
.LBB7_786:
	s_delay_alu instid0(SALU_CYCLE_1)
	s_or_b32 exec_lo, exec_lo, s25
	global_store_b8 v[6:7], v5, off
.LBB7_787:
	s_mov_b32 s25, -1
.LBB7_788:
	s_mov_b32 s26, 0
.LBB7_789:
	s_delay_alu instid0(SALU_CYCLE_1)
	s_and_b32 vcc_lo, exec_lo, s26
	s_cbranch_vccz .LBB7_830
; %bb.790:
	s_cmp_gt_i32 s24, 22
	s_mov_b32 s26, -1
	s_cbranch_scc0 .LBB7_822
; %bb.791:
	s_cmp_lt_i32 s24, 24
	s_mov_b32 s25, -1
	s_cbranch_scc1 .LBB7_811
; %bb.792:
	s_cmp_gt_i32 s24, 24
	s_cbranch_scc0 .LBB7_800
; %bb.793:
	s_wait_xcnt 0x0
	v_cvt_f32_f64_e32 v2, v[0:1]
	v_mov_b32_e32 v5, 0x80
	s_mov_b32 s25, exec_lo
	s_delay_alu instid0(VALU_DEP_2) | instskip(NEXT) | instid1(VALU_DEP_1)
	v_and_b32_e32 v3, 0x7fffffff, v2
	v_cmpx_gt_u32_e32 0x47800000, v3
	s_cbranch_execz .LBB7_799
; %bb.794:
	v_cmp_lt_u32_e32 vcc_lo, 0x37ffffff, v3
	s_mov_b32 s26, 0
                                        ; implicit-def: $vgpr3
	s_and_saveexec_b32 s27, vcc_lo
	s_delay_alu instid0(SALU_CYCLE_1)
	s_xor_b32 s27, exec_lo, s27
	s_cbranch_execz .LBB7_867
; %bb.795:
	v_bfe_u32 v3, v2, 21, 1
	s_mov_b32 s26, exec_lo
	s_delay_alu instid0(VALU_DEP_1) | instskip(NEXT) | instid1(VALU_DEP_1)
	v_add3_u32 v3, v2, v3, 0x88fffff
	v_lshrrev_b32_e32 v3, 21, v3
	s_and_not1_saveexec_b32 s27, s27
	s_cbranch_execnz .LBB7_868
.LBB7_796:
	s_or_b32 exec_lo, exec_lo, s27
	v_mov_b32_e32 v5, 0
	s_and_saveexec_b32 s27, s26
.LBB7_797:
	v_lshrrev_b32_e32 v2, 24, v2
	s_delay_alu instid0(VALU_DEP_1)
	v_and_or_b32 v5, 0x80, v2, v3
.LBB7_798:
	s_or_b32 exec_lo, exec_lo, s27
.LBB7_799:
	s_delay_alu instid0(SALU_CYCLE_1)
	s_or_b32 exec_lo, exec_lo, s25
	s_mov_b32 s25, 0
	global_store_b8 v[6:7], v5, off
.LBB7_800:
	s_and_b32 vcc_lo, exec_lo, s25
	s_cbranch_vccz .LBB7_810
; %bb.801:
	s_wait_xcnt 0x0
	v_cvt_f32_f64_e32 v2, v[0:1]
	s_mov_b32 s25, exec_lo
                                        ; implicit-def: $vgpr3
	s_delay_alu instid0(VALU_DEP_1) | instskip(NEXT) | instid1(VALU_DEP_1)
	v_and_b32_e32 v5, 0x7fffffff, v2
	v_cmpx_gt_u32_e32 0x43f00000, v5
	s_xor_b32 s25, exec_lo, s25
	s_cbranch_execz .LBB7_807
; %bb.802:
	s_mov_b32 s26, exec_lo
                                        ; implicit-def: $vgpr3
	v_cmpx_lt_u32_e32 0x3c7fffff, v5
	s_xor_b32 s26, exec_lo, s26
; %bb.803:
	v_bfe_u32 v3, v2, 20, 1
	s_delay_alu instid0(VALU_DEP_1) | instskip(NEXT) | instid1(VALU_DEP_1)
	v_add3_u32 v3, v2, v3, 0x407ffff
	v_and_b32_e32 v5, 0xff00000, v3
	v_lshrrev_b32_e32 v3, 20, v3
	s_delay_alu instid0(VALU_DEP_2) | instskip(NEXT) | instid1(VALU_DEP_2)
	v_cmp_ne_u32_e32 vcc_lo, 0x7f00000, v5
	v_cndmask_b32_e32 v3, 0x7e, v3, vcc_lo
; %bb.804:
	s_and_not1_saveexec_b32 s26, s26
; %bb.805:
	v_add_f32_e64 v3, 0x46800000, |v2|
; %bb.806:
	s_or_b32 exec_lo, exec_lo, s26
                                        ; implicit-def: $vgpr5
.LBB7_807:
	s_and_not1_saveexec_b32 s25, s25
; %bb.808:
	v_mov_b32_e32 v3, 0x7f
	v_cmp_lt_u32_e32 vcc_lo, 0x7f800000, v5
	s_delay_alu instid0(VALU_DEP_2)
	v_cndmask_b32_e32 v3, 0x7e, v3, vcc_lo
; %bb.809:
	s_or_b32 exec_lo, exec_lo, s25
	v_lshrrev_b32_e32 v2, 24, v2
	s_delay_alu instid0(VALU_DEP_1)
	v_and_or_b32 v2, 0x80, v2, v3
	global_store_b8 v[6:7], v2, off
.LBB7_810:
	s_mov_b32 s25, 0
.LBB7_811:
	s_delay_alu instid0(SALU_CYCLE_1)
	s_and_not1_b32 vcc_lo, exec_lo, s25
	s_cbranch_vccnz .LBB7_821
; %bb.812:
	s_wait_xcnt 0x0
	v_cvt_f32_f64_e32 v2, v[0:1]
	s_mov_b32 s25, exec_lo
                                        ; implicit-def: $vgpr3
	s_delay_alu instid0(VALU_DEP_1) | instskip(NEXT) | instid1(VALU_DEP_1)
	v_and_b32_e32 v5, 0x7fffffff, v2
	v_cmpx_gt_u32_e32 0x47800000, v5
	s_xor_b32 s25, exec_lo, s25
	s_cbranch_execz .LBB7_818
; %bb.813:
	s_mov_b32 s26, exec_lo
                                        ; implicit-def: $vgpr3
	v_cmpx_lt_u32_e32 0x387fffff, v5
	s_xor_b32 s26, exec_lo, s26
; %bb.814:
	v_bfe_u32 v3, v2, 21, 1
	s_delay_alu instid0(VALU_DEP_1) | instskip(NEXT) | instid1(VALU_DEP_1)
	v_add3_u32 v3, v2, v3, 0x80fffff
	v_lshrrev_b32_e32 v3, 21, v3
; %bb.815:
	s_and_not1_saveexec_b32 s26, s26
; %bb.816:
	v_add_f32_e64 v3, 0x43000000, |v2|
; %bb.817:
	s_or_b32 exec_lo, exec_lo, s26
                                        ; implicit-def: $vgpr5
.LBB7_818:
	s_and_not1_saveexec_b32 s25, s25
; %bb.819:
	v_mov_b32_e32 v3, 0x7f
	v_cmp_lt_u32_e32 vcc_lo, 0x7f800000, v5
	s_delay_alu instid0(VALU_DEP_2)
	v_cndmask_b32_e32 v3, 0x7c, v3, vcc_lo
; %bb.820:
	s_or_b32 exec_lo, exec_lo, s25
	v_lshrrev_b32_e32 v2, 24, v2
	s_delay_alu instid0(VALU_DEP_1)
	v_and_or_b32 v2, 0x80, v2, v3
	global_store_b8 v[6:7], v2, off
.LBB7_821:
	s_mov_b32 s26, 0
	s_mov_b32 s25, -1
.LBB7_822:
	s_and_not1_b32 vcc_lo, exec_lo, s26
	s_cbranch_vccnz .LBB7_830
; %bb.823:
	s_cmp_gt_i32 s24, 14
	s_mov_b32 s26, -1
	s_cbranch_scc0 .LBB7_827
; %bb.824:
	s_cmp_eq_u32 s24, 15
	s_mov_b32 s0, -1
	s_cbranch_scc0 .LBB7_826
; %bb.825:
	s_wait_xcnt 0x0
	v_cvt_f32_f64_e32 v2, v[0:1]
	s_mov_b32 s25, -1
	s_mov_b32 s0, 0
	s_delay_alu instid0(VALU_DEP_1) | instskip(SKIP_1) | instid1(VALU_DEP_2)
	v_bfe_u32 v3, v2, 16, 1
	v_cmp_o_f32_e32 vcc_lo, v2, v2
	v_add3_u32 v3, v2, v3, 0x7fff
	s_delay_alu instid0(VALU_DEP_1) | instskip(NEXT) | instid1(VALU_DEP_1)
	v_lshrrev_b32_e32 v3, 16, v3
	v_cndmask_b32_e32 v2, 0x7fc0, v3, vcc_lo
	global_store_b16 v[6:7], v2, off
.LBB7_826:
	s_mov_b32 s26, 0
.LBB7_827:
	s_delay_alu instid0(SALU_CYCLE_1)
	s_and_b32 vcc_lo, exec_lo, s26
	s_cbranch_vccz .LBB7_830
; %bb.828:
	s_cmp_eq_u32 s24, 11
	s_mov_b32 s0, -1
	s_cbranch_scc0 .LBB7_830
; %bb.829:
	v_cmp_neq_f64_e32 vcc_lo, 0, v[0:1]
	s_mov_b32 s25, -1
	s_mov_b32 s0, 0
	s_wait_xcnt 0x0
	v_cndmask_b32_e64 v2, 0, 1, vcc_lo
	global_store_b8 v[6:7], v2, off
.LBB7_830:
.LBB7_831:
	s_and_not1_b32 vcc_lo, exec_lo, s25
	s_cbranch_vccnz .LBB7_756
.LBB7_832:
	v_add_nc_u32_e32 v4, 0x80, v4
	s_mov_b32 s23, -1
.LBB7_833:
	s_and_not1_b32 s24, s43, exec_lo
	s_and_b32 s0, s0, exec_lo
	s_and_not1_b32 s25, s42, exec_lo
	s_and_b32 s22, s22, exec_lo
	s_or_b32 s26, s24, s0
	s_or_b32 s0, s25, s22
	s_or_not1_b32 s25, s23, exec_lo
.LBB7_834:
	s_wait_xcnt 0x0
	s_or_b32 exec_lo, exec_lo, s45
	s_mov_b32 s23, 0
	s_mov_b32 s22, 0
	;; [unrolled: 1-line block ×3, first 2 shown]
                                        ; implicit-def: $vgpr0_vgpr1
                                        ; implicit-def: $vgpr2
                                        ; implicit-def: $vgpr6_vgpr7
	s_and_saveexec_b32 s27, s25
	s_cbranch_execz .LBB7_936
; %bb.835:
	v_cmp_gt_i32_e32 vcc_lo, s36, v4
	s_mov_b32 s25, s0
                                        ; implicit-def: $vgpr0_vgpr1
                                        ; implicit-def: $vgpr2
                                        ; implicit-def: $vgpr6_vgpr7
	s_and_saveexec_b32 s36, vcc_lo
	s_cbranch_execz .LBB7_935
; %bb.836:
	s_and_not1_b32 vcc_lo, exec_lo, s31
	s_cbranch_vccnz .LBB7_842
; %bb.837:
	s_and_not1_b32 vcc_lo, exec_lo, s38
	s_cbranch_vccnz .LBB7_843
; %bb.838:
	s_add_co_i32 s37, s37, 1
	s_cmp_eq_u32 s29, 2
	s_cbranch_scc1 .LBB7_844
; %bb.839:
	v_dual_mov_b32 v2, 0 :: v_dual_mov_b32 v0, 0
	v_mov_b32_e32 v1, v4
	s_and_b32 s22, s37, 28
	s_mov_b64 s[24:25], s[2:3]
.LBB7_840:                              ; =>This Inner Loop Header: Depth=1
	s_clause 0x1
	s_load_b256 s[48:55], s[24:25], 0x4
	s_load_b128 s[64:67], s[24:25], 0x24
	s_load_b256 s[56:63], s[20:21], 0x0
	s_add_co_i32 s23, s23, 4
	s_wait_xcnt 0x0
	s_add_nc_u64 s[24:25], s[24:25], 48
	s_cmp_eq_u32 s22, s23
	s_add_nc_u64 s[20:21], s[20:21], 32
	s_wait_kmcnt 0x0
	v_mul_hi_u32 v3, s49, v1
	s_delay_alu instid0(VALU_DEP_1) | instskip(NEXT) | instid1(VALU_DEP_1)
	v_add_nc_u32_e32 v3, v1, v3
	v_lshrrev_b32_e32 v3, s50, v3
	s_delay_alu instid0(VALU_DEP_1) | instskip(NEXT) | instid1(VALU_DEP_1)
	v_mul_hi_u32 v5, s52, v3
	v_add_nc_u32_e32 v5, v3, v5
	s_delay_alu instid0(VALU_DEP_1) | instskip(SKIP_1) | instid1(VALU_DEP_1)
	v_lshrrev_b32_e32 v5, s53, v5
	s_wait_loadcnt 0x0
	v_mul_hi_u32 v6, s55, v5
	s_delay_alu instid0(VALU_DEP_1) | instskip(SKIP_1) | instid1(VALU_DEP_1)
	v_add_nc_u32_e32 v6, v5, v6
	v_mul_lo_u32 v7, v3, s48
	v_sub_nc_u32_e32 v1, v1, v7
	v_mul_lo_u32 v7, v5, s51
	s_delay_alu instid0(VALU_DEP_4) | instskip(NEXT) | instid1(VALU_DEP_3)
	v_lshrrev_b32_e32 v6, s64, v6
	v_mad_u32 v0, v1, s57, v0
	v_mad_u32 v1, v1, s56, v2
	s_delay_alu instid0(VALU_DEP_4) | instskip(NEXT) | instid1(VALU_DEP_4)
	v_sub_nc_u32_e32 v2, v3, v7
	v_mul_hi_u32 v8, s66, v6
	v_mul_lo_u32 v3, v6, s54
	s_delay_alu instid0(VALU_DEP_3) | instskip(SKIP_1) | instid1(VALU_DEP_3)
	v_mad_u32 v0, v2, s59, v0
	v_mad_u32 v2, v2, s58, v1
	v_dual_add_nc_u32 v7, v6, v8 :: v_dual_sub_nc_u32 v3, v5, v3
	s_delay_alu instid0(VALU_DEP_1) | instskip(NEXT) | instid1(VALU_DEP_2)
	v_lshrrev_b32_e32 v1, s67, v7
	v_mad_u32 v0, v3, s61, v0
	s_delay_alu instid0(VALU_DEP_4) | instskip(NEXT) | instid1(VALU_DEP_3)
	v_mad_u32 v2, v3, s60, v2
	v_mul_lo_u32 v5, v1, s65
	s_delay_alu instid0(VALU_DEP_1) | instskip(NEXT) | instid1(VALU_DEP_1)
	v_sub_nc_u32_e32 v3, v6, v5
	v_mad_u32 v0, v3, s63, v0
	s_delay_alu instid0(VALU_DEP_4)
	v_mad_u32 v2, v3, s62, v2
	s_cbranch_scc0 .LBB7_840
; %bb.841:
	s_delay_alu instid0(VALU_DEP_2)
	v_mov_b32_e32 v3, v0
	s_branch .LBB7_845
.LBB7_842:
	s_mov_b32 s20, -1
                                        ; implicit-def: $vgpr0
                                        ; implicit-def: $vgpr2
	s_branch .LBB7_850
.LBB7_843:
	v_dual_mov_b32 v0, 0 :: v_dual_mov_b32 v2, 0
	s_branch .LBB7_849
.LBB7_844:
	v_mov_b64_e32 v[2:3], 0
	v_mov_b32_e32 v1, v4
                                        ; implicit-def: $vgpr0
.LBB7_845:
	s_and_b32 s24, s37, 3
	s_mov_b32 s23, 0
	s_cmp_eq_u32 s24, 0
	s_cbranch_scc1 .LBB7_849
; %bb.846:
	s_lshl_b32 s20, s22, 3
	s_mov_b32 s21, s23
	s_mul_u64 s[22:23], s[22:23], 12
	s_add_nc_u64 s[20:21], s[2:3], s[20:21]
	s_add_nc_u64 s[22:23], s[2:3], s[22:23]
	;; [unrolled: 1-line block ×3, first 2 shown]
.LBB7_847:                              ; =>This Inner Loop Header: Depth=1
	s_load_b96 s[48:50], s[22:23], 0x4
	s_load_b64 s[46:47], s[20:21], 0x0
	s_add_co_i32 s24, s24, -1
	s_wait_xcnt 0x0
	s_add_nc_u64 s[22:23], s[22:23], 12
	s_cmp_lg_u32 s24, 0
	s_add_nc_u64 s[20:21], s[20:21], 8
	s_wait_kmcnt 0x0
	v_mul_hi_u32 v0, s49, v1
	s_delay_alu instid0(VALU_DEP_1) | instskip(NEXT) | instid1(VALU_DEP_1)
	v_add_nc_u32_e32 v0, v1, v0
	v_lshrrev_b32_e32 v0, s50, v0
	s_delay_alu instid0(VALU_DEP_1) | instskip(NEXT) | instid1(VALU_DEP_1)
	v_mul_lo_u32 v5, v0, s48
	v_sub_nc_u32_e32 v1, v1, v5
	s_delay_alu instid0(VALU_DEP_1)
	v_mad_u32 v3, v1, s47, v3
	v_mad_u32 v2, v1, s46, v2
	v_mov_b32_e32 v1, v0
	s_cbranch_scc1 .LBB7_847
; %bb.848:
	s_delay_alu instid0(VALU_DEP_3)
	v_mov_b32_e32 v0, v3
.LBB7_849:
	s_mov_b32 s20, 0
.LBB7_850:
	s_delay_alu instid0(SALU_CYCLE_1)
	s_and_not1_b32 vcc_lo, exec_lo, s20
	s_cbranch_vccnz .LBB7_853
; %bb.851:
	v_mov_b32_e32 v5, 0
	s_and_not1_b32 vcc_lo, exec_lo, s35
	s_delay_alu instid0(VALU_DEP_1) | instskip(NEXT) | instid1(VALU_DEP_1)
	v_mul_u64_e32 v[0:1], s[16:17], v[4:5]
	v_add_nc_u32_e32 v0, v4, v1
	s_wait_loadcnt 0x0
	s_delay_alu instid0(VALU_DEP_1) | instskip(NEXT) | instid1(VALU_DEP_1)
	v_lshrrev_b32_e32 v6, s14, v0
	v_mul_lo_u32 v0, v6, s12
	s_delay_alu instid0(VALU_DEP_1) | instskip(NEXT) | instid1(VALU_DEP_1)
	v_sub_nc_u32_e32 v1, v4, v0
	v_mul_lo_u32 v0, v1, s9
	v_mul_lo_u32 v2, v1, s8
	s_cbranch_vccnz .LBB7_853
; %bb.852:
	v_mov_b32_e32 v7, v5
	s_delay_alu instid0(VALU_DEP_1) | instskip(NEXT) | instid1(VALU_DEP_1)
	v_mul_u64_e32 v[4:5], s[18:19], v[6:7]
	v_add_nc_u32_e32 v1, v6, v5
	s_delay_alu instid0(VALU_DEP_1) | instskip(NEXT) | instid1(VALU_DEP_1)
	v_lshrrev_b32_e32 v1, s1, v1
	v_mul_lo_u32 v1, v1, s15
	s_delay_alu instid0(VALU_DEP_1) | instskip(NEXT) | instid1(VALU_DEP_1)
	v_sub_nc_u32_e32 v1, v6, v1
	v_mad_u32 v2, v1, s10, v2
	v_mad_u32 v0, v1, s11, v0
.LBB7_853:
	v_mov_b32_e32 v1, 0
	s_and_b32 s1, 0xffff, s13
	s_delay_alu instid0(SALU_CYCLE_1) | instskip(NEXT) | instid1(VALU_DEP_1)
	s_cmp_lt_i32 s1, 11
	v_add_nc_u64_e32 v[0:1], s[6:7], v[0:1]
	s_cbranch_scc1 .LBB7_860
; %bb.854:
	s_cmp_gt_i32 s1, 25
	s_mov_b32 s7, 0
	s_cbranch_scc0 .LBB7_861
; %bb.855:
	s_cmp_gt_i32 s1, 28
	s_cbranch_scc0 .LBB7_862
; %bb.856:
	s_cmp_gt_i32 s1, 43
	;; [unrolled: 3-line block ×3, first 2 shown]
	s_cbranch_scc0 .LBB7_866
; %bb.858:
	s_cmp_eq_u32 s1, 46
	s_mov_b32 s9, 0
	s_cbranch_scc0 .LBB7_869
; %bb.859:
	global_load_b32 v3, v[0:1], off
	s_mov_b32 s6, 0
	s_mov_b32 s8, -1
	s_wait_loadcnt 0x0
	v_lshlrev_b32_e32 v3, 16, v3
	s_delay_alu instid0(VALU_DEP_1)
	v_cvt_f64_f32_e32 v[6:7], v3
	s_branch .LBB7_871
.LBB7_860:
	s_mov_b32 s1, -1
	s_mov_b32 s8, 0
	s_mov_b32 s7, 0
	;; [unrolled: 1-line block ×3, first 2 shown]
                                        ; implicit-def: $vgpr6_vgpr7
	s_branch .LBB7_934
.LBB7_861:
	s_mov_b32 s9, -1
	s_mov_b32 s8, 0
	s_mov_b32 s6, s0
                                        ; implicit-def: $vgpr6_vgpr7
	s_branch .LBB7_900
.LBB7_862:
	s_mov_b32 s9, -1
	s_mov_b32 s8, 0
	s_mov_b32 s6, s0
                                        ; implicit-def: $vgpr6_vgpr7
	s_branch .LBB7_881
.LBB7_863:
	s_mov_b32 s9, -1
	s_mov_b32 s8, 0
	s_mov_b32 s6, s0
                                        ; implicit-def: $vgpr6_vgpr7
	s_branch .LBB7_876
.LBB7_864:
	s_and_not1_saveexec_b32 s27, s27
	s_cbranch_execz .LBB7_783
.LBB7_865:
	v_add_f32_e64 v3, 0x46000000, |v2|
	s_and_not1_b32 s26, s26, exec_lo
	s_delay_alu instid0(VALU_DEP_1) | instskip(NEXT) | instid1(VALU_DEP_1)
	v_and_b32_e32 v3, 0xff, v3
	v_cmp_ne_u32_e32 vcc_lo, 0, v3
	s_and_b32 s46, vcc_lo, exec_lo
	s_delay_alu instid0(SALU_CYCLE_1)
	s_or_b32 s26, s26, s46
	s_or_b32 exec_lo, exec_lo, s27
	v_mov_b32_e32 v5, 0
	s_and_saveexec_b32 s27, s26
	s_cbranch_execnz .LBB7_784
	s_branch .LBB7_785
.LBB7_866:
	s_mov_b32 s9, -1
	s_mov_b32 s8, 0
	s_mov_b32 s6, s0
	s_branch .LBB7_870
.LBB7_867:
	s_and_not1_saveexec_b32 s27, s27
	s_cbranch_execz .LBB7_796
.LBB7_868:
	v_add_f32_e64 v3, 0x42800000, |v2|
	s_and_not1_b32 s26, s26, exec_lo
	s_delay_alu instid0(VALU_DEP_1) | instskip(NEXT) | instid1(VALU_DEP_1)
	v_and_b32_e32 v3, 0xff, v3
	v_cmp_ne_u32_e32 vcc_lo, 0, v3
	s_and_b32 s46, vcc_lo, exec_lo
	s_delay_alu instid0(SALU_CYCLE_1)
	s_or_b32 s26, s26, s46
	s_or_b32 exec_lo, exec_lo, s27
	v_mov_b32_e32 v5, 0
	s_and_saveexec_b32 s27, s26
	s_cbranch_execnz .LBB7_797
	s_branch .LBB7_798
.LBB7_869:
	s_mov_b32 s6, -1
	s_mov_b32 s8, 0
.LBB7_870:
                                        ; implicit-def: $vgpr6_vgpr7
.LBB7_871:
	s_and_b32 vcc_lo, exec_lo, s9
	s_cbranch_vccz .LBB7_875
; %bb.872:
	s_cmp_eq_u32 s1, 44
	s_cbranch_scc0 .LBB7_874
; %bb.873:
	global_load_u8 v3, v[0:1], off
	s_mov_b32 s6, 0
	s_mov_b32 s8, -1
	s_wait_loadcnt 0x0
	v_cmp_ne_u32_e32 vcc_lo, 0xff, v3
	v_lshlrev_b32_e32 v4, 23, v3
	s_delay_alu instid0(VALU_DEP_1) | instskip(NEXT) | instid1(VALU_DEP_1)
	v_cvt_f64_f32_e32 v[4:5], v4
	v_cndmask_b32_e32 v4, 0x20000000, v4, vcc_lo
	s_delay_alu instid0(VALU_DEP_2) | instskip(SKIP_1) | instid1(VALU_DEP_2)
	v_cndmask_b32_e32 v5, 0x7ff80000, v5, vcc_lo
	v_cmp_ne_u32_e32 vcc_lo, 0, v3
	v_cndmask_b32_e32 v7, 0x38000000, v5, vcc_lo
	s_delay_alu instid0(VALU_DEP_4)
	v_cndmask_b32_e32 v6, 0, v4, vcc_lo
	s_branch .LBB7_875
.LBB7_874:
	s_mov_b32 s6, -1
                                        ; implicit-def: $vgpr6_vgpr7
.LBB7_875:
	s_mov_b32 s9, 0
.LBB7_876:
	s_delay_alu instid0(SALU_CYCLE_1)
	s_and_b32 vcc_lo, exec_lo, s9
	s_cbranch_vccz .LBB7_880
; %bb.877:
	s_cmp_eq_u32 s1, 29
	s_cbranch_scc0 .LBB7_879
; %bb.878:
	global_load_b64 v[4:5], v[0:1], off
	s_mov_b32 s6, 0
	s_mov_b32 s8, -1
	s_mov_b32 s9, 0
	s_wait_loadcnt 0x0
	v_cvt_f64_u32_e32 v[6:7], v5
	v_cvt_f64_u32_e32 v[4:5], v4
	s_delay_alu instid0(VALU_DEP_2) | instskip(NEXT) | instid1(VALU_DEP_1)
	v_ldexp_f64 v[6:7], v[6:7], 32
	v_add_f64_e32 v[6:7], v[6:7], v[4:5]
	s_branch .LBB7_881
.LBB7_879:
	s_mov_b32 s6, -1
                                        ; implicit-def: $vgpr6_vgpr7
.LBB7_880:
	s_mov_b32 s9, 0
.LBB7_881:
	s_delay_alu instid0(SALU_CYCLE_1)
	s_and_b32 vcc_lo, exec_lo, s9
	s_cbranch_vccz .LBB7_899
; %bb.882:
	s_cmp_lt_i32 s1, 27
	s_cbranch_scc1 .LBB7_885
; %bb.883:
	s_cmp_gt_i32 s1, 27
	s_cbranch_scc0 .LBB7_886
; %bb.884:
	global_load_b32 v3, v[0:1], off
	s_mov_b32 s8, 0
	s_wait_loadcnt 0x0
	v_cvt_f64_u32_e32 v[6:7], v3
	s_branch .LBB7_887
.LBB7_885:
	s_mov_b32 s8, -1
                                        ; implicit-def: $vgpr6_vgpr7
	s_branch .LBB7_890
.LBB7_886:
	s_mov_b32 s8, -1
                                        ; implicit-def: $vgpr6_vgpr7
.LBB7_887:
	s_delay_alu instid0(SALU_CYCLE_1)
	s_and_not1_b32 vcc_lo, exec_lo, s8
	s_cbranch_vccnz .LBB7_889
; %bb.888:
	global_load_u16 v3, v[0:1], off
	s_wait_loadcnt 0x0
	v_cvt_f64_u32_e32 v[6:7], v3
.LBB7_889:
	s_mov_b32 s8, 0
.LBB7_890:
	s_delay_alu instid0(SALU_CYCLE_1)
	s_and_not1_b32 vcc_lo, exec_lo, s8
	s_cbranch_vccnz .LBB7_898
; %bb.891:
	global_load_u8 v3, v[0:1], off
	s_mov_b32 s8, 0
	s_mov_b32 s9, exec_lo
	s_wait_loadcnt 0x0
	v_cmpx_lt_i16_e32 0x7f, v3
	s_xor_b32 s9, exec_lo, s9
	s_cbranch_execz .LBB7_912
; %bb.892:
	s_mov_b32 s8, -1
	s_mov_b32 s10, exec_lo
	v_cmpx_eq_u16_e32 0x80, v3
; %bb.893:
	s_xor_b32 s8, exec_lo, -1
; %bb.894:
	s_or_b32 exec_lo, exec_lo, s10
	s_delay_alu instid0(SALU_CYCLE_1)
	s_and_b32 s8, s8, exec_lo
	s_or_saveexec_b32 s9, s9
	v_mov_b64_e32 v[6:7], 0x7ff8000020000000
	s_xor_b32 exec_lo, exec_lo, s9
	s_cbranch_execnz .LBB7_913
.LBB7_895:
	s_or_b32 exec_lo, exec_lo, s9
	s_and_saveexec_b32 s9, s8
	s_cbranch_execz .LBB7_897
.LBB7_896:
	v_and_b32_e32 v4, 0xffff, v3
	s_delay_alu instid0(VALU_DEP_1) | instskip(SKIP_1) | instid1(VALU_DEP_2)
	v_and_b32_e32 v5, 7, v4
	v_bfe_u32 v8, v4, 3, 4
	v_clz_i32_u32_e32 v6, v5
	s_delay_alu instid0(VALU_DEP_2) | instskip(NEXT) | instid1(VALU_DEP_2)
	v_cmp_eq_u32_e32 vcc_lo, 0, v8
	v_min_u32_e32 v6, 32, v6
	s_delay_alu instid0(VALU_DEP_1) | instskip(NEXT) | instid1(VALU_DEP_1)
	v_subrev_nc_u32_e32 v7, 28, v6
	v_dual_lshlrev_b32 v4, v7, v4 :: v_dual_sub_nc_u32 v6, 29, v6
	s_delay_alu instid0(VALU_DEP_1) | instskip(NEXT) | instid1(VALU_DEP_1)
	v_dual_lshlrev_b32 v3, 24, v3 :: v_dual_bitop2_b32 v4, 7, v4 bitop3:0x40
	v_dual_cndmask_b32 v6, v8, v6, vcc_lo :: v_dual_cndmask_b32 v4, v5, v4, vcc_lo
	s_delay_alu instid0(VALU_DEP_2) | instskip(NEXT) | instid1(VALU_DEP_2)
	v_and_b32_e32 v3, 0x80000000, v3
	v_lshl_add_u32 v5, v6, 23, 0x3b800000
	s_delay_alu instid0(VALU_DEP_3) | instskip(NEXT) | instid1(VALU_DEP_1)
	v_lshlrev_b32_e32 v4, 20, v4
	v_or3_b32 v3, v3, v5, v4
	s_delay_alu instid0(VALU_DEP_1)
	v_cvt_f64_f32_e32 v[6:7], v3
.LBB7_897:
	s_or_b32 exec_lo, exec_lo, s9
.LBB7_898:
	s_mov_b32 s8, -1
.LBB7_899:
	s_mov_b32 s9, 0
.LBB7_900:
	s_delay_alu instid0(SALU_CYCLE_1)
	s_and_b32 vcc_lo, exec_lo, s9
	s_cbranch_vccz .LBB7_933
; %bb.901:
	s_cmp_gt_i32 s1, 22
	s_cbranch_scc0 .LBB7_911
; %bb.902:
	s_cmp_lt_i32 s1, 24
	s_cbranch_scc1 .LBB7_914
; %bb.903:
	s_cmp_gt_i32 s1, 24
	s_cbranch_scc0 .LBB7_915
; %bb.904:
	global_load_u8 v3, v[0:1], off
	s_mov_b32 s8, exec_lo
	s_wait_loadcnt 0x0
	v_cmpx_lt_i16_e32 0x7f, v3
	s_xor_b32 s8, exec_lo, s8
	s_cbranch_execz .LBB7_927
; %bb.905:
	s_mov_b32 s7, -1
	s_mov_b32 s9, exec_lo
	v_cmpx_eq_u16_e32 0x80, v3
; %bb.906:
	s_xor_b32 s7, exec_lo, -1
; %bb.907:
	s_or_b32 exec_lo, exec_lo, s9
	s_delay_alu instid0(SALU_CYCLE_1)
	s_and_b32 s7, s7, exec_lo
	s_or_saveexec_b32 s8, s8
	v_mov_b64_e32 v[6:7], 0x7ff8000020000000
	s_xor_b32 exec_lo, exec_lo, s8
	s_cbranch_execnz .LBB7_928
.LBB7_908:
	s_or_b32 exec_lo, exec_lo, s8
	s_and_saveexec_b32 s8, s7
	s_cbranch_execz .LBB7_910
.LBB7_909:
	v_and_b32_e32 v4, 0xffff, v3
	s_delay_alu instid0(VALU_DEP_1) | instskip(SKIP_1) | instid1(VALU_DEP_2)
	v_and_b32_e32 v5, 3, v4
	v_bfe_u32 v8, v4, 2, 5
	v_clz_i32_u32_e32 v6, v5
	s_delay_alu instid0(VALU_DEP_2) | instskip(NEXT) | instid1(VALU_DEP_2)
	v_cmp_eq_u32_e32 vcc_lo, 0, v8
	v_min_u32_e32 v6, 32, v6
	s_delay_alu instid0(VALU_DEP_1) | instskip(NEXT) | instid1(VALU_DEP_1)
	v_subrev_nc_u32_e32 v7, 29, v6
	v_dual_lshlrev_b32 v4, v7, v4 :: v_dual_sub_nc_u32 v6, 30, v6
	s_delay_alu instid0(VALU_DEP_1) | instskip(NEXT) | instid1(VALU_DEP_1)
	v_dual_lshlrev_b32 v3, 24, v3 :: v_dual_bitop2_b32 v4, 3, v4 bitop3:0x40
	v_dual_cndmask_b32 v6, v8, v6, vcc_lo :: v_dual_cndmask_b32 v4, v5, v4, vcc_lo
	s_delay_alu instid0(VALU_DEP_2) | instskip(NEXT) | instid1(VALU_DEP_2)
	v_and_b32_e32 v3, 0x80000000, v3
	v_lshl_add_u32 v5, v6, 23, 0x37800000
	s_delay_alu instid0(VALU_DEP_3) | instskip(NEXT) | instid1(VALU_DEP_1)
	v_lshlrev_b32_e32 v4, 21, v4
	v_or3_b32 v3, v3, v5, v4
	s_delay_alu instid0(VALU_DEP_1)
	v_cvt_f64_f32_e32 v[6:7], v3
.LBB7_910:
	s_or_b32 exec_lo, exec_lo, s8
	s_mov_b32 s7, 0
	s_branch .LBB7_916
.LBB7_911:
	s_mov_b32 s7, -1
                                        ; implicit-def: $vgpr6_vgpr7
	s_branch .LBB7_922
.LBB7_912:
	s_or_saveexec_b32 s9, s9
	v_mov_b64_e32 v[6:7], 0x7ff8000020000000
	s_xor_b32 exec_lo, exec_lo, s9
	s_cbranch_execz .LBB7_895
.LBB7_913:
	v_cmp_ne_u16_e32 vcc_lo, 0, v3
	v_mov_b64_e32 v[6:7], 0
	s_and_not1_b32 s8, s8, exec_lo
	s_and_b32 s10, vcc_lo, exec_lo
	s_delay_alu instid0(SALU_CYCLE_1)
	s_or_b32 s8, s8, s10
	s_or_b32 exec_lo, exec_lo, s9
	s_and_saveexec_b32 s9, s8
	s_cbranch_execnz .LBB7_896
	s_branch .LBB7_897
.LBB7_914:
	s_mov_b32 s7, -1
                                        ; implicit-def: $vgpr6_vgpr7
	s_branch .LBB7_919
.LBB7_915:
	s_mov_b32 s7, -1
                                        ; implicit-def: $vgpr6_vgpr7
.LBB7_916:
	s_delay_alu instid0(SALU_CYCLE_1)
	s_and_b32 vcc_lo, exec_lo, s7
	s_cbranch_vccz .LBB7_918
; %bb.917:
	global_load_u8 v3, v[0:1], off
	s_wait_loadcnt 0x0
	v_lshlrev_b32_e32 v3, 24, v3
	s_delay_alu instid0(VALU_DEP_1) | instskip(NEXT) | instid1(VALU_DEP_1)
	v_and_b32_e32 v4, 0x7f000000, v3
	v_clz_i32_u32_e32 v5, v4
	v_cmp_ne_u32_e32 vcc_lo, 0, v4
	v_add_nc_u32_e32 v7, 0x1000000, v4
	s_delay_alu instid0(VALU_DEP_3) | instskip(NEXT) | instid1(VALU_DEP_1)
	v_min_u32_e32 v5, 32, v5
	v_sub_nc_u32_e64 v5, v5, 4 clamp
	s_delay_alu instid0(VALU_DEP_1) | instskip(NEXT) | instid1(VALU_DEP_1)
	v_dual_lshlrev_b32 v6, v5, v4 :: v_dual_lshlrev_b32 v5, 23, v5
	v_lshrrev_b32_e32 v6, 4, v6
	s_delay_alu instid0(VALU_DEP_1) | instskip(NEXT) | instid1(VALU_DEP_1)
	v_dual_sub_nc_u32 v5, v6, v5 :: v_dual_ashrrev_i32 v6, 8, v7
	v_add_nc_u32_e32 v5, 0x3c000000, v5
	s_delay_alu instid0(VALU_DEP_1) | instskip(NEXT) | instid1(VALU_DEP_1)
	v_and_or_b32 v5, 0x7f800000, v6, v5
	v_cndmask_b32_e32 v4, 0, v5, vcc_lo
	s_delay_alu instid0(VALU_DEP_1) | instskip(NEXT) | instid1(VALU_DEP_1)
	v_and_or_b32 v3, 0x80000000, v3, v4
	v_cvt_f64_f32_e32 v[6:7], v3
.LBB7_918:
	s_mov_b32 s7, 0
.LBB7_919:
	s_delay_alu instid0(SALU_CYCLE_1)
	s_and_not1_b32 vcc_lo, exec_lo, s7
	s_cbranch_vccnz .LBB7_921
; %bb.920:
	global_load_u8 v3, v[0:1], off
	s_wait_loadcnt 0x0
	v_lshlrev_b32_e32 v4, 25, v3
	v_lshlrev_b16 v3, 8, v3
	s_delay_alu instid0(VALU_DEP_1) | instskip(SKIP_1) | instid1(VALU_DEP_2)
	v_and_or_b32 v6, 0x7f00, v3, 0.5
	v_bfe_i32 v3, v3, 0, 16
	v_dual_add_f32 v6, -0.5, v6 :: v_dual_lshrrev_b32 v5, 4, v4
	v_cmp_gt_u32_e32 vcc_lo, 0x8000000, v4
	s_delay_alu instid0(VALU_DEP_2) | instskip(NEXT) | instid1(VALU_DEP_1)
	v_or_b32_e32 v5, 0x70000000, v5
	v_mul_f32_e32 v5, 0x7800000, v5
	s_delay_alu instid0(VALU_DEP_1) | instskip(NEXT) | instid1(VALU_DEP_1)
	v_cndmask_b32_e32 v4, v5, v6, vcc_lo
	v_and_or_b32 v3, 0x80000000, v3, v4
	s_delay_alu instid0(VALU_DEP_1)
	v_cvt_f64_f32_e32 v[6:7], v3
.LBB7_921:
	s_mov_b32 s7, 0
	s_mov_b32 s8, -1
.LBB7_922:
	s_and_not1_b32 vcc_lo, exec_lo, s7
	s_mov_b32 s7, 0
	s_cbranch_vccnz .LBB7_933
; %bb.923:
	s_cmp_gt_i32 s1, 14
	s_cbranch_scc0 .LBB7_926
; %bb.924:
	s_cmp_eq_u32 s1, 15
	s_cbranch_scc0 .LBB7_929
; %bb.925:
	global_load_u16 v3, v[0:1], off
	s_mov_b32 s6, 0
	s_mov_b32 s8, -1
	s_wait_loadcnt 0x0
	v_lshlrev_b32_e32 v3, 16, v3
	s_delay_alu instid0(VALU_DEP_1)
	v_cvt_f64_f32_e32 v[6:7], v3
	s_branch .LBB7_931
.LBB7_926:
	s_mov_b32 s7, -1
	s_branch .LBB7_930
.LBB7_927:
	s_or_saveexec_b32 s8, s8
	v_mov_b64_e32 v[6:7], 0x7ff8000020000000
	s_xor_b32 exec_lo, exec_lo, s8
	s_cbranch_execz .LBB7_908
.LBB7_928:
	v_cmp_ne_u16_e32 vcc_lo, 0, v3
	v_mov_b64_e32 v[6:7], 0
	s_and_not1_b32 s7, s7, exec_lo
	s_and_b32 s9, vcc_lo, exec_lo
	s_delay_alu instid0(SALU_CYCLE_1)
	s_or_b32 s7, s7, s9
	s_or_b32 exec_lo, exec_lo, s8
	s_and_saveexec_b32 s8, s7
	s_cbranch_execnz .LBB7_909
	s_branch .LBB7_910
.LBB7_929:
	s_mov_b32 s6, -1
.LBB7_930:
                                        ; implicit-def: $vgpr6_vgpr7
.LBB7_931:
	s_and_b32 vcc_lo, exec_lo, s7
	s_mov_b32 s7, 0
	s_cbranch_vccz .LBB7_933
; %bb.932:
	s_cmp_lg_u32 s1, 11
	s_mov_b32 s7, -1
	s_cselect_b32 s1, -1, 0
	s_and_not1_b32 s6, s6, exec_lo
	s_and_b32 s1, s1, exec_lo
	s_delay_alu instid0(SALU_CYCLE_1)
	s_or_b32 s6, s6, s1
.LBB7_933:
	s_mov_b32 s1, 0
.LBB7_934:
	s_delay_alu instid0(SALU_CYCLE_1)
	s_and_b32 s22, s1, exec_lo
	s_and_not1_b32 s1, s0, exec_lo
	s_and_b32 s6, s6, exec_lo
	s_and_b32 s24, s8, exec_lo
	;; [unrolled: 1-line block ×3, first 2 shown]
	s_or_b32 s25, s1, s6
.LBB7_935:
	s_wait_xcnt 0x0
	s_or_b32 exec_lo, exec_lo, s36
	s_delay_alu instid0(SALU_CYCLE_1)
	s_and_not1_b32 s0, s0, exec_lo
	s_and_b32 s1, s25, exec_lo
	s_and_b32 s24, s24, exec_lo
	;; [unrolled: 1-line block ×4, first 2 shown]
	s_or_b32 s0, s0, s1
.LBB7_936:
	s_or_b32 exec_lo, exec_lo, s27
	s_delay_alu instid0(SALU_CYCLE_1)
	s_and_not1_b32 s1, s43, exec_lo
	s_and_b32 s6, s26, exec_lo
	s_and_b32 s0, s0, exec_lo
	s_or_b32 s43, s1, s6
	s_and_not1_b32 s1, s42, exec_lo
	s_and_b32 s24, s24, exec_lo
	s_and_b32 s22, s22, exec_lo
	;; [unrolled: 1-line block ×3, first 2 shown]
	s_or_b32 s42, s1, s0
.LBB7_937:
	s_or_b32 exec_lo, exec_lo, s44
	s_delay_alu instid0(SALU_CYCLE_1)
	s_and_not1_b32 s0, s39, exec_lo
	s_and_b32 s1, s43, exec_lo
	s_and_b32 s6, s42, exec_lo
	s_or_b32 s39, s0, s1
	s_and_not1_b32 s1, s40, exec_lo
	s_and_b32 s0, s24, exec_lo
	s_and_b32 s22, s22, exec_lo
	;; [unrolled: 1-line block ×3, first 2 shown]
	s_or_b32 s40, s1, s6
	s_or_b32 exec_lo, exec_lo, s41
	s_mov_b32 s1, 0
	s_and_saveexec_b32 s6, s40
	s_cbranch_execz .LBB7_280
.LBB7_938:
	s_mov_b32 s1, exec_lo
	s_and_not1_b32 s17, s17, exec_lo
	s_trap 2
	s_or_b32 exec_lo, exec_lo, s6
	s_and_saveexec_b32 s6, s17
	s_delay_alu instid0(SALU_CYCLE_1)
	s_xor_b32 s6, exec_lo, s6
	s_cbranch_execnz .LBB7_281
.LBB7_939:
	s_or_b32 exec_lo, exec_lo, s6
	s_and_saveexec_b32 s6, s22
	s_cbranch_execz .LBB7_985
.LBB7_940:
	s_sext_i32_i16 s7, s13
	s_delay_alu instid0(SALU_CYCLE_1)
	s_cmp_lt_i32 s7, 5
	s_cbranch_scc1 .LBB7_945
; %bb.941:
	s_cmp_lt_i32 s7, 8
	s_cbranch_scc1 .LBB7_946
; %bb.942:
	;; [unrolled: 3-line block ×3, first 2 shown]
	s_cmp_gt_i32 s7, 9
	s_cbranch_scc0 .LBB7_948
; %bb.944:
	s_wait_loadcnt 0x0
	global_load_b64 v[6:7], v[0:1], off
	s_mov_b32 s7, 0
	s_branch .LBB7_949
.LBB7_945:
                                        ; implicit-def: $vgpr6_vgpr7
	s_branch .LBB7_966
.LBB7_946:
                                        ; implicit-def: $vgpr6_vgpr7
	s_branch .LBB7_955
.LBB7_947:
	s_mov_b32 s7, -1
                                        ; implicit-def: $vgpr6_vgpr7
	s_branch .LBB7_952
.LBB7_948:
	s_mov_b32 s7, -1
                                        ; implicit-def: $vgpr6_vgpr7
.LBB7_949:
	s_delay_alu instid0(SALU_CYCLE_1)
	s_and_not1_b32 vcc_lo, exec_lo, s7
	s_cbranch_vccnz .LBB7_951
; %bb.950:
	global_load_b32 v3, v[0:1], off
	s_wait_loadcnt 0x0
	v_cvt_f64_f32_e32 v[6:7], v3
.LBB7_951:
	s_mov_b32 s7, 0
.LBB7_952:
	s_delay_alu instid0(SALU_CYCLE_1)
	s_and_not1_b32 vcc_lo, exec_lo, s7
	s_cbranch_vccnz .LBB7_954
; %bb.953:
	global_load_b32 v3, v[0:1], off
	s_wait_loadcnt 0x0
	v_cvt_f32_f16_e32 v3, v3
	s_delay_alu instid0(VALU_DEP_1)
	v_cvt_f64_f32_e32 v[6:7], v3
.LBB7_954:
	s_cbranch_execnz .LBB7_965
.LBB7_955:
	s_sext_i32_i16 s7, s13
	s_delay_alu instid0(SALU_CYCLE_1)
	s_cmp_lt_i32 s7, 6
	s_cbranch_scc1 .LBB7_958
; %bb.956:
	s_cmp_gt_i32 s7, 6
	s_cbranch_scc0 .LBB7_959
; %bb.957:
	s_wait_loadcnt 0x0
	global_load_b64 v[6:7], v[0:1], off
	s_mov_b32 s7, 0
	s_branch .LBB7_960
.LBB7_958:
	s_mov_b32 s7, -1
                                        ; implicit-def: $vgpr6_vgpr7
	s_branch .LBB7_963
.LBB7_959:
	s_mov_b32 s7, -1
                                        ; implicit-def: $vgpr6_vgpr7
.LBB7_960:
	s_delay_alu instid0(SALU_CYCLE_1)
	s_and_not1_b32 vcc_lo, exec_lo, s7
	s_cbranch_vccnz .LBB7_962
; %bb.961:
	global_load_b32 v3, v[0:1], off
	s_wait_loadcnt 0x0
	v_cvt_f64_f32_e32 v[6:7], v3
.LBB7_962:
	s_mov_b32 s7, 0
.LBB7_963:
	s_delay_alu instid0(SALU_CYCLE_1)
	s_and_not1_b32 vcc_lo, exec_lo, s7
	s_cbranch_vccnz .LBB7_965
; %bb.964:
	global_load_u16 v3, v[0:1], off
	s_wait_loadcnt 0x0
	v_cvt_f32_f16_e32 v3, v3
	s_delay_alu instid0(VALU_DEP_1)
	v_cvt_f64_f32_e32 v[6:7], v3
.LBB7_965:
	s_cbranch_execnz .LBB7_984
.LBB7_966:
	s_sext_i32_i16 s7, s13
	s_delay_alu instid0(SALU_CYCLE_1)
	s_cmp_lt_i32 s7, 2
	s_cbranch_scc1 .LBB7_970
; %bb.967:
	s_cmp_lt_i32 s7, 3
	s_cbranch_scc1 .LBB7_971
; %bb.968:
	s_cmp_gt_i32 s7, 3
	s_cbranch_scc0 .LBB7_972
; %bb.969:
	global_load_b64 v[4:5], v[0:1], off
	s_mov_b32 s7, 0
	s_wait_loadcnt 0x0
	v_cvt_f64_i32_e32 v[6:7], v5
	v_cvt_f64_u32_e32 v[4:5], v4
	s_delay_alu instid0(VALU_DEP_2) | instskip(NEXT) | instid1(VALU_DEP_1)
	v_ldexp_f64 v[6:7], v[6:7], 32
	v_add_f64_e32 v[6:7], v[6:7], v[4:5]
	s_branch .LBB7_973
.LBB7_970:
                                        ; implicit-def: $vgpr6_vgpr7
	s_branch .LBB7_979
.LBB7_971:
	s_mov_b32 s7, -1
                                        ; implicit-def: $vgpr6_vgpr7
	s_branch .LBB7_976
.LBB7_972:
	s_mov_b32 s7, -1
                                        ; implicit-def: $vgpr6_vgpr7
.LBB7_973:
	s_delay_alu instid0(SALU_CYCLE_1)
	s_and_not1_b32 vcc_lo, exec_lo, s7
	s_cbranch_vccnz .LBB7_975
; %bb.974:
	global_load_b32 v3, v[0:1], off
	s_wait_loadcnt 0x0
	v_cvt_f64_i32_e32 v[6:7], v3
.LBB7_975:
	s_mov_b32 s7, 0
.LBB7_976:
	s_delay_alu instid0(SALU_CYCLE_1)
	s_and_not1_b32 vcc_lo, exec_lo, s7
	s_cbranch_vccnz .LBB7_978
; %bb.977:
	global_load_i16 v3, v[0:1], off
	s_wait_loadcnt 0x0
	v_cvt_f64_i32_e32 v[6:7], v3
.LBB7_978:
	s_cbranch_execnz .LBB7_984
.LBB7_979:
	s_sext_i32_i16 s7, s13
	s_delay_alu instid0(SALU_CYCLE_1)
	s_cmp_gt_i32 s7, 0
	s_mov_b32 s7, 0
	s_cbranch_scc0 .LBB7_981
; %bb.980:
	global_load_i8 v3, v[0:1], off
	s_wait_loadcnt 0x0
	v_cvt_f64_i32_e32 v[6:7], v3
	s_branch .LBB7_982
.LBB7_981:
	s_mov_b32 s7, -1
                                        ; implicit-def: $vgpr6_vgpr7
.LBB7_982:
	s_delay_alu instid0(SALU_CYCLE_1)
	s_and_not1_b32 vcc_lo, exec_lo, s7
	s_cbranch_vccnz .LBB7_984
; %bb.983:
	global_load_u8 v0, v[0:1], off
	s_wait_loadcnt 0x0
	v_cvt_f64_u32_e32 v[6:7], v0
.LBB7_984:
	s_or_b32 s0, s0, exec_lo
.LBB7_985:
	s_wait_xcnt 0x0
	s_or_b32 exec_lo, exec_lo, s6
	s_mov_b32 s9, 0
	s_mov_b32 s8, 0
                                        ; implicit-def: $sgpr6
                                        ; implicit-def: $vgpr4_vgpr5
                                        ; implicit-def: $vgpr0_vgpr1
	s_and_saveexec_b32 s7, s0
	s_cbranch_execz .LBB7_1064
; %bb.986:
	s_wait_loadcnt 0x0
	s_delay_alu instid0(VALU_DEP_1) | instskip(SKIP_1) | instid1(SALU_CYCLE_1)
	v_cmp_ngt_f64_e64 s0, 0x41d00000, |v[6:7]|
                                        ; implicit-def: $vgpr3
                                        ; implicit-def: $vgpr0_vgpr1
                                        ; implicit-def: $vgpr4_vgpr5
	s_and_saveexec_b32 s6, s0
	s_xor_b32 s0, exec_lo, s6
	s_cbranch_execz .LBB7_988
; %bb.987:
	v_ldexp_f64 v[0:1], |v[6:7]|, 0xffffff80
	v_cmp_le_f64_e64 vcc_lo, 0x7b000000, |v[6:7]|
	v_trig_preop_f64 v[4:5], |v[6:7]|, 0
	v_and_b32_e32 v3, 0x7fffffff, v7
	v_trig_preop_f64 v[8:9], |v[6:7]|, 1
	v_trig_preop_f64 v[18:19], |v[6:7]|, 2
	s_mov_b64 s[8:9], 0x3ff921fb54442d18
	s_delay_alu instid0(VALU_DEP_3) | instskip(SKIP_1) | instid1(VALU_DEP_1)
	v_dual_mov_b32 v26, 0 :: v_dual_cndmask_b32 v1, v3, v1
	v_cndmask_b32_e32 v0, v6, v0, vcc_lo
	v_mul_f64_e32 v[10:11], v[4:5], v[0:1]
	v_mul_f64_e32 v[12:13], v[8:9], v[0:1]
	;; [unrolled: 1-line block ×3, first 2 shown]
	s_delay_alu instid0(VALU_DEP_3) | instskip(NEXT) | instid1(VALU_DEP_3)
	v_fma_f64 v[4:5], v[4:5], v[0:1], -v[10:11]
	v_fma_f64 v[8:9], v[8:9], v[0:1], -v[12:13]
	s_delay_alu instid0(VALU_DEP_3) | instskip(NEXT) | instid1(VALU_DEP_3)
	v_fma_f64 v[0:1], v[18:19], v[0:1], -v[24:25]
	v_add_f64_e32 v[14:15], v[12:13], v[4:5]
	s_delay_alu instid0(VALU_DEP_1) | instskip(SKIP_1) | instid1(VALU_DEP_2)
	v_add_f64_e64 v[16:17], v[14:15], -v[12:13]
	v_add_f64_e32 v[22:23], v[10:11], v[14:15]
	v_add_f64_e64 v[20:21], v[14:15], -v[16:17]
	v_add_f64_e64 v[4:5], v[4:5], -v[16:17]
	s_delay_alu instid0(VALU_DEP_3) | instskip(NEXT) | instid1(VALU_DEP_3)
	v_ldexp_f64 v[16:17], v[22:23], -2
	v_add_f64_e64 v[12:13], v[12:13], -v[20:21]
	v_add_f64_e32 v[20:21], v[24:25], v[8:9]
	s_delay_alu instid0(VALU_DEP_3) | instskip(NEXT) | instid1(VALU_DEP_3)
	v_cmp_neq_f64_e64 vcc_lo, 0x7ff00000, |v[16:17]|
	v_add_f64_e32 v[4:5], v[4:5], v[12:13]
	v_fract_f64_e32 v[12:13], v[16:17]
	s_delay_alu instid0(VALU_DEP_1) | instskip(NEXT) | instid1(VALU_DEP_1)
	v_ldexp_f64 v[12:13], v[12:13], 2
	v_dual_add_f64 v[10:11], v[22:23], -v[10:11] :: v_dual_cndmask_b32 v13, 0, v13, vcc_lo
	s_delay_alu instid0(VALU_DEP_1) | instskip(SKIP_1) | instid1(VALU_DEP_1)
	v_dual_add_f64 v[10:11], v[14:15], -v[10:11] :: v_dual_cndmask_b32 v12, 0, v12, vcc_lo
	v_add_f64_e32 v[14:15], v[20:21], v[4:5]
	v_add_f64_e32 v[16:17], v[10:11], v[14:15]
	v_add_f64_e64 v[28:29], v[14:15], -v[20:21]
	s_delay_alu instid0(VALU_DEP_2) | instskip(NEXT) | instid1(VALU_DEP_2)
	v_add_f64_e32 v[22:23], v[16:17], v[12:13]
	v_add_f64_e64 v[34:35], v[14:15], -v[28:29]
	v_add_f64_e64 v[4:5], v[4:5], -v[28:29]
	;; [unrolled: 1-line block ×3, first 2 shown]
	s_delay_alu instid0(VALU_DEP_4) | instskip(SKIP_1) | instid1(VALU_DEP_3)
	v_cmp_gt_f64_e32 vcc_lo, 0, v[22:23]
	v_add_f64_e64 v[22:23], v[20:21], -v[24:25]
	v_add_f64_e64 v[10:11], v[14:15], -v[10:11]
	v_cndmask_b32_e64 v27, 0, 0x40100000, vcc_lo
	s_delay_alu instid0(VALU_DEP_3) | instskip(SKIP_2) | instid1(VALU_DEP_4)
	v_add_f64_e64 v[32:33], v[20:21], -v[22:23]
	v_add_f64_e64 v[8:9], v[8:9], -v[22:23]
	;; [unrolled: 1-line block ×3, first 2 shown]
	v_add_f64_e32 v[12:13], v[12:13], v[26:27]
	s_delay_alu instid0(VALU_DEP_4) | instskip(NEXT) | instid1(VALU_DEP_3)
	v_add_f64_e64 v[22:23], v[24:25], -v[32:33]
	v_add_f64_e32 v[4:5], v[4:5], v[20:21]
	s_delay_alu instid0(VALU_DEP_3) | instskip(NEXT) | instid1(VALU_DEP_3)
	v_add_f64_e32 v[30:31], v[16:17], v[12:13]
	v_add_f64_e32 v[8:9], v[8:9], v[22:23]
	s_delay_alu instid0(VALU_DEP_2) | instskip(NEXT) | instid1(VALU_DEP_2)
	v_cvt_i32_f64_e32 v3, v[30:31]
	v_add_f64_e32 v[4:5], v[8:9], v[4:5]
	s_delay_alu instid0(VALU_DEP_2) | instskip(NEXT) | instid1(VALU_DEP_2)
	v_cvt_f64_i32_e32 v[28:29], v3
	v_add_f64_e32 v[0:1], v[0:1], v[4:5]
	s_delay_alu instid0(VALU_DEP_2) | instskip(NEXT) | instid1(VALU_DEP_2)
	v_add_f64_e64 v[12:13], v[12:13], -v[28:29]
	v_add_f64_e32 v[0:1], v[10:11], v[0:1]
	s_delay_alu instid0(VALU_DEP_2) | instskip(NEXT) | instid1(VALU_DEP_1)
	v_add_f64_e32 v[8:9], v[16:17], v[12:13]
	v_add_f64_e64 v[4:5], v[8:9], -v[12:13]
	v_cmp_le_f64_e32 vcc_lo, 0.5, v[8:9]
	s_delay_alu instid0(VALU_DEP_2) | instskip(SKIP_2) | instid1(VALU_DEP_3)
	v_add_f64_e64 v[4:5], v[16:17], -v[4:5]
	v_cndmask_b32_e64 v27, 0, 0x3ff00000, vcc_lo
	v_add_co_ci_u32_e64 v3, null, 0, v3, vcc_lo
	v_add_f64_e32 v[0:1], v[0:1], v[4:5]
	s_delay_alu instid0(VALU_DEP_3) | instskip(NEXT) | instid1(VALU_DEP_1)
	v_add_f64_e64 v[4:5], v[8:9], -v[26:27]
	v_add_f64_e32 v[8:9], v[4:5], v[0:1]
	s_delay_alu instid0(VALU_DEP_1) | instskip(SKIP_1) | instid1(VALU_DEP_2)
	v_mul_f64_e32 v[10:11], 0x3ff921fb54442d18, v[8:9]
	v_add_f64_e64 v[4:5], v[8:9], -v[4:5]
	v_fma_f64 v[12:13], v[8:9], s[8:9], -v[10:11]
	s_delay_alu instid0(VALU_DEP_2) | instskip(NEXT) | instid1(VALU_DEP_2)
	v_add_f64_e64 v[0:1], v[0:1], -v[4:5]
	v_fmamk_f64 v[4:5], v[8:9], 0x3c91a62633145c07, v[12:13]
	s_delay_alu instid0(VALU_DEP_1) | instskip(NEXT) | instid1(VALU_DEP_1)
	v_fmac_f64_e32 v[4:5], 0x3ff921fb54442d18, v[0:1]
	v_add_f64_e32 v[0:1], v[10:11], v[4:5]
	s_delay_alu instid0(VALU_DEP_1) | instskip(NEXT) | instid1(VALU_DEP_1)
	v_add_f64_e64 v[8:9], v[0:1], -v[10:11]
	v_add_f64_e64 v[4:5], v[4:5], -v[8:9]
.LBB7_988:
	s_and_not1_saveexec_b32 s0, s0
	s_cbranch_execz .LBB7_990
; %bb.989:
	s_mov_b64 s[8:9], 0x3fe45f306dc9c883
	s_delay_alu instid0(SALU_CYCLE_1) | instskip(SKIP_1) | instid1(VALU_DEP_1)
	v_mul_f64_e64 v[0:1], |v[6:7]|, s[8:9]
	s_mov_b64 s[8:9], 0xbff921fb54442d18
	v_rndne_f64_e32 v[8:9], v[0:1]
	s_delay_alu instid0(VALU_DEP_1) | instskip(SKIP_2) | instid1(VALU_DEP_3)
	v_fma_f64 v[0:1], v[8:9], s[8:9], |v[6:7]|
	v_mul_f64_e32 v[4:5], 0xbc91a62633145c00, v[8:9]
	v_cvt_i32_f64_e32 v3, v[8:9]
	v_fmamk_f64 v[14:15], v[8:9], 0xbc91a62633145c00, v[0:1]
	s_delay_alu instid0(VALU_DEP_3) | instskip(NEXT) | instid1(VALU_DEP_1)
	v_add_f64_e32 v[10:11], v[0:1], v[4:5]
	v_add_f64_e64 v[12:13], v[0:1], -v[10:11]
	s_delay_alu instid0(VALU_DEP_3) | instskip(NEXT) | instid1(VALU_DEP_2)
	v_add_f64_e64 v[0:1], v[10:11], -v[14:15]
	v_add_f64_e32 v[10:11], v[12:13], v[4:5]
	v_fmamk_f64 v[4:5], v[8:9], 0x3c91a62633145c00, v[4:5]
	s_delay_alu instid0(VALU_DEP_2) | instskip(NEXT) | instid1(VALU_DEP_1)
	v_add_f64_e32 v[0:1], v[0:1], v[10:11]
	v_add_f64_e64 v[0:1], v[0:1], -v[4:5]
	s_delay_alu instid0(VALU_DEP_1) | instskip(NEXT) | instid1(VALU_DEP_1)
	v_fmamk_f64 v[4:5], v[8:9], 0xb97b839a252049c0, v[0:1]
	v_add_f64_e32 v[0:1], v[14:15], v[4:5]
	s_delay_alu instid0(VALU_DEP_1) | instskip(NEXT) | instid1(VALU_DEP_1)
	v_add_f64_e64 v[10:11], v[0:1], -v[14:15]
	v_add_f64_e64 v[4:5], v[4:5], -v[10:11]
.LBB7_990:
	s_or_b32 exec_lo, exec_lo, s0
	v_mul_f64_e32 v[8:9], v[0:1], v[0:1]
	s_delay_alu instid0(VALU_DEP_2) | instskip(SKIP_3) | instid1(SALU_CYCLE_1)
	v_mul_f64_e32 v[16:17], 0.5, v[4:5]
	s_mov_b64 s[8:9], 0x3de5e0b2f9a43bb8
	v_cmp_class_f64_e64 s0, v[6:7], 0x1f8
	s_and_b32 s6, s34, 0xff
	s_cmp_lt_i32 s6, 11
	v_mul_f64_e32 v[10:11], 0.5, v[8:9]
	v_mul_f64_e64 v[18:19], v[0:1], -v[8:9]
	v_fmaak_f64 v[20:21], s[8:9], v[8:9], 0xbe5ae600b42fdfa7
	s_mov_b64 s[8:9], 0xbda907db46cc5e42
	s_delay_alu instid0(VALU_DEP_3) | instskip(NEXT) | instid1(VALU_DEP_1)
	v_add_f64_e64 v[12:13], -v[10:11], 1.0
	v_add_f64_e64 v[14:15], -v[12:13], 1.0
	s_delay_alu instid0(VALU_DEP_1) | instskip(NEXT) | instid1(VALU_DEP_4)
	v_add_f64_e64 v[10:11], v[14:15], -v[10:11]
	v_fmaak_f64 v[14:15], v[8:9], v[20:21], 0x3ec71de3796cde01
	v_mul_f64_e32 v[20:21], v[8:9], v[8:9]
	s_delay_alu instid0(VALU_DEP_2) | instskip(NEXT) | instid1(VALU_DEP_1)
	v_fmaak_f64 v[14:15], v[8:9], v[14:15], 0xbf2a01a019e83e5c
	v_fmaak_f64 v[14:15], v[8:9], v[14:15], 0x3f81111111110bb3
	s_delay_alu instid0(VALU_DEP_1) | instskip(SKIP_2) | instid1(VALU_DEP_1)
	v_fmac_f64_e32 v[16:17], v[18:19], v[14:15]
	v_fmaak_f64 v[14:15], s[8:9], v[8:9], 0x3e21eeb69037ab78
	s_mov_b32 s9, 0
	v_fmaak_f64 v[14:15], v[8:9], v[14:15], 0xbe927e4fa17f65f6
	v_fma_f64 v[10:11], v[0:1], -v[4:5], v[10:11]
	s_delay_alu instid0(VALU_DEP_2) | instskip(NEXT) | instid1(VALU_DEP_1)
	v_fmaak_f64 v[14:15], v[8:9], v[14:15], 0x3efa01a019f4ec90
	v_fmaak_f64 v[14:15], v[8:9], v[14:15], 0xbf56c16c16c16967
	v_fma_f64 v[4:5], v[8:9], v[16:17], -v[4:5]
	s_delay_alu instid0(VALU_DEP_2) | instskip(NEXT) | instid1(VALU_DEP_1)
	v_fmaak_f64 v[8:9], v[8:9], v[14:15], 0x3fa5555555555555
	v_fmac_f64_e32 v[10:11], v[20:21], v[8:9]
	v_dual_lshlrev_b32 v3, 30, v3 :: v_dual_bitop2_b32 v8, 1, v3 bitop3:0x40
	s_delay_alu instid0(VALU_DEP_1) | instskip(SKIP_1) | instid1(VALU_DEP_1)
	v_cmp_eq_u32_e32 vcc_lo, 0, v8
	v_fmamk_f64 v[4:5], v[18:19], 0xbfc5555555555555, v[4:5]
	v_add_f64_e64 v[0:1], v[0:1], -v[4:5]
	v_add_f64_e32 v[4:5], v[12:13], v[10:11]
	s_delay_alu instid0(VALU_DEP_1) | instskip(NEXT) | instid1(VALU_DEP_1)
	v_dual_cndmask_b32 v0, v4, v0, vcc_lo :: v_dual_bitop2_b32 v4, v3, v7 bitop3:0x14
	v_dual_mov_b32 v3, 0 :: v_dual_cndmask_b32 v0, 0, v0, s0
	s_delay_alu instid0(VALU_DEP_3) | instskip(NEXT) | instid1(VALU_DEP_1)
	v_cndmask_b32_e32 v1, v5, v1, vcc_lo
	v_bitop3_b32 v1, v1, v4, 0x80000000 bitop3:0x78
	s_delay_alu instid0(VALU_DEP_3) | instskip(SKIP_1) | instid1(VALU_DEP_2)
	v_add_nc_u64_e32 v[4:5], s[4:5], v[2:3]
	s_mov_b32 s5, -1
	v_cndmask_b32_e64 v1, 0x7ff80000, v1, s0
	s_mov_b32 s0, s39
	s_cbranch_scc1 .LBB7_1068
; %bb.991:
	s_and_b32 s4, 0xffff, s6
	s_mov_b32 s0, s39
	s_cmp_gt_i32 s4, 25
	s_cbranch_scc0 .LBB7_1024
; %bb.992:
	s_cmp_gt_i32 s4, 28
	s_mov_b32 s0, s39
	s_cbranch_scc0 .LBB7_1008
; %bb.993:
	s_cmp_gt_i32 s4, 43
	s_mov_b32 s0, s39
	;; [unrolled: 4-line block ×3, first 2 shown]
	s_cbranch_scc0 .LBB7_998
; %bb.995:
	s_cmp_eq_u32 s4, 46
	s_mov_b32 s0, -1
	s_cbranch_scc0 .LBB7_997
; %bb.996:
	v_cvt_f32_f64_e32 v2, v[0:1]
	s_mov_b32 s0, 0
	s_delay_alu instid0(VALU_DEP_1) | instskip(SKIP_1) | instid1(VALU_DEP_2)
	v_bfe_u32 v3, v2, 16, 1
	v_cmp_o_f32_e32 vcc_lo, v2, v2
	v_add3_u32 v3, v2, v3, 0x7fff
	s_delay_alu instid0(VALU_DEP_1) | instskip(NEXT) | instid1(VALU_DEP_1)
	v_lshrrev_b32_e32 v3, 16, v3
	v_cndmask_b32_e32 v2, 0x7fc0, v3, vcc_lo
	global_store_b32 v[4:5], v2, off
.LBB7_997:
	s_mov_b32 s5, 0
.LBB7_998:
	s_delay_alu instid0(SALU_CYCLE_1)
	s_and_b32 vcc_lo, exec_lo, s5
	s_cbranch_vccz .LBB7_1003
; %bb.999:
	s_cmp_eq_u32 s4, 44
	s_mov_b32 s0, -1
	s_cbranch_scc0 .LBB7_1003
; %bb.1000:
	s_wait_xcnt 0x0
	v_cvt_f32_f64_e32 v2, v[0:1]
	v_mov_b32_e32 v3, 0xff
	s_mov_b32 s5, exec_lo
	s_delay_alu instid0(VALU_DEP_2) | instskip(NEXT) | instid1(VALU_DEP_1)
	v_bfe_u32 v6, v2, 23, 8
	v_cmpx_ne_u32_e32 0xff, v6
	s_cbranch_execz .LBB7_1002
; %bb.1001:
	v_and_b32_e32 v3, 0x400000, v2
	v_and_or_b32 v6, 0x3fffff, v2, v6
	v_lshrrev_b32_e32 v2, 23, v2
	s_delay_alu instid0(VALU_DEP_3) | instskip(NEXT) | instid1(VALU_DEP_3)
	v_cmp_ne_u32_e32 vcc_lo, 0, v3
	v_cmp_ne_u32_e64 s0, 0, v6
	s_and_b32 s0, vcc_lo, s0
	s_delay_alu instid0(SALU_CYCLE_1) | instskip(NEXT) | instid1(VALU_DEP_1)
	v_cndmask_b32_e64 v3, 0, 1, s0
	v_add_nc_u32_e32 v3, v2, v3
.LBB7_1002:
	s_or_b32 exec_lo, exec_lo, s5
	s_mov_b32 s0, 0
	global_store_b8 v[4:5], v3, off
.LBB7_1003:
	s_mov_b32 s5, 0
.LBB7_1004:
	s_delay_alu instid0(SALU_CYCLE_1)
	s_and_b32 vcc_lo, exec_lo, s5
	s_cbranch_vccz .LBB7_1007
; %bb.1005:
	s_cmp_eq_u32 s4, 29
	s_mov_b32 s0, -1
	s_cbranch_scc0 .LBB7_1007
; %bb.1006:
	s_wait_xcnt 0x0
	v_trunc_f64_e32 v[2:3], v[0:1]
	s_mov_b32 s0, 0
	s_delay_alu instid0(VALU_DEP_1) | instskip(NEXT) | instid1(VALU_DEP_1)
	v_ldexp_f64 v[6:7], v[2:3], 0xffffffe0
	v_floor_f64_e32 v[6:7], v[6:7]
	s_delay_alu instid0(VALU_DEP_1) | instskip(SKIP_1) | instid1(VALU_DEP_2)
	v_fmamk_f64 v[2:3], v[6:7], 0xc1f00000, v[2:3]
	v_cvt_u32_f64_e32 v7, v[6:7]
	v_cvt_u32_f64_e32 v6, v[2:3]
	global_store_b64 v[4:5], v[6:7], off
.LBB7_1007:
	s_mov_b32 s5, 0
.LBB7_1008:
	s_delay_alu instid0(SALU_CYCLE_1)
	s_and_b32 vcc_lo, exec_lo, s5
	s_cbranch_vccz .LBB7_1023
; %bb.1009:
	s_cmp_lt_i32 s4, 27
	s_mov_b32 s5, -1
	s_cbranch_scc1 .LBB7_1015
; %bb.1010:
	s_cmp_gt_i32 s4, 27
	s_cbranch_scc0 .LBB7_1012
; %bb.1011:
	s_wait_xcnt 0x0
	v_cvt_u32_f64_e32 v2, v[0:1]
	s_mov_b32 s5, 0
	global_store_b32 v[4:5], v2, off
.LBB7_1012:
	s_and_not1_b32 vcc_lo, exec_lo, s5
	s_cbranch_vccnz .LBB7_1014
; %bb.1013:
	s_wait_xcnt 0x0
	v_cvt_u32_f64_e32 v2, v[0:1]
	global_store_b16 v[4:5], v2, off
.LBB7_1014:
	s_mov_b32 s5, 0
.LBB7_1015:
	s_delay_alu instid0(SALU_CYCLE_1)
	s_and_not1_b32 vcc_lo, exec_lo, s5
	s_cbranch_vccnz .LBB7_1023
; %bb.1016:
	s_wait_xcnt 0x0
	v_cvt_f32_f64_e32 v2, v[0:1]
	v_mov_b32_e32 v6, 0x80
	s_mov_b32 s5, exec_lo
	s_delay_alu instid0(VALU_DEP_2) | instskip(NEXT) | instid1(VALU_DEP_1)
	v_and_b32_e32 v3, 0x7fffffff, v2
	v_cmpx_gt_u32_e32 0x43800000, v3
	s_cbranch_execz .LBB7_1022
; %bb.1017:
	v_cmp_lt_u32_e32 vcc_lo, 0x3bffffff, v3
	s_mov_b32 s8, 0
                                        ; implicit-def: $vgpr3
	s_and_saveexec_b32 s9, vcc_lo
	s_delay_alu instid0(SALU_CYCLE_1)
	s_xor_b32 s9, exec_lo, s9
	s_cbranch_execz .LBB7_1183
; %bb.1018:
	v_bfe_u32 v3, v2, 20, 1
	s_mov_b32 s8, exec_lo
	s_delay_alu instid0(VALU_DEP_1) | instskip(NEXT) | instid1(VALU_DEP_1)
	v_add3_u32 v3, v2, v3, 0x487ffff
	v_lshrrev_b32_e32 v3, 20, v3
	s_and_not1_saveexec_b32 s9, s9
	s_cbranch_execnz .LBB7_1184
.LBB7_1019:
	s_or_b32 exec_lo, exec_lo, s9
	v_mov_b32_e32 v6, 0
	s_and_saveexec_b32 s9, s8
.LBB7_1020:
	v_lshrrev_b32_e32 v2, 24, v2
	s_delay_alu instid0(VALU_DEP_1)
	v_and_or_b32 v6, 0x80, v2, v3
.LBB7_1021:
	s_or_b32 exec_lo, exec_lo, s9
.LBB7_1022:
	s_delay_alu instid0(SALU_CYCLE_1)
	s_or_b32 exec_lo, exec_lo, s5
	global_store_b8 v[4:5], v6, off
.LBB7_1023:
	s_mov_b32 s5, 0
.LBB7_1024:
	s_delay_alu instid0(SALU_CYCLE_1)
	s_and_b32 vcc_lo, exec_lo, s5
	s_mov_b32 s5, 0
	s_cbranch_vccz .LBB7_1067
; %bb.1025:
	s_cmp_gt_i32 s4, 22
	s_mov_b32 s8, -1
	s_cbranch_scc0 .LBB7_1057
; %bb.1026:
	s_cmp_lt_i32 s4, 24
	s_cbranch_scc1 .LBB7_1046
; %bb.1027:
	s_cmp_gt_i32 s4, 24
	s_cbranch_scc0 .LBB7_1035
; %bb.1028:
	s_wait_xcnt 0x0
	v_cvt_f32_f64_e32 v2, v[0:1]
	v_mov_b32_e32 v6, 0x80
	s_mov_b32 s8, exec_lo
	s_delay_alu instid0(VALU_DEP_2) | instskip(NEXT) | instid1(VALU_DEP_1)
	v_and_b32_e32 v3, 0x7fffffff, v2
	v_cmpx_gt_u32_e32 0x47800000, v3
	s_cbranch_execz .LBB7_1034
; %bb.1029:
	v_cmp_lt_u32_e32 vcc_lo, 0x37ffffff, v3
	s_mov_b32 s9, 0
                                        ; implicit-def: $vgpr3
	s_and_saveexec_b32 s10, vcc_lo
	s_delay_alu instid0(SALU_CYCLE_1)
	s_xor_b32 s10, exec_lo, s10
	s_cbranch_execz .LBB7_1313
; %bb.1030:
	v_bfe_u32 v3, v2, 21, 1
	s_mov_b32 s9, exec_lo
	s_delay_alu instid0(VALU_DEP_1) | instskip(NEXT) | instid1(VALU_DEP_1)
	v_add3_u32 v3, v2, v3, 0x88fffff
	v_lshrrev_b32_e32 v3, 21, v3
	s_and_not1_saveexec_b32 s10, s10
	s_cbranch_execnz .LBB7_1314
.LBB7_1031:
	s_or_b32 exec_lo, exec_lo, s10
	v_mov_b32_e32 v6, 0
	s_and_saveexec_b32 s10, s9
.LBB7_1032:
	v_lshrrev_b32_e32 v2, 24, v2
	s_delay_alu instid0(VALU_DEP_1)
	v_and_or_b32 v6, 0x80, v2, v3
.LBB7_1033:
	s_or_b32 exec_lo, exec_lo, s10
.LBB7_1034:
	s_delay_alu instid0(SALU_CYCLE_1)
	s_or_b32 exec_lo, exec_lo, s8
	s_mov_b32 s8, 0
	global_store_b8 v[4:5], v6, off
.LBB7_1035:
	s_and_b32 vcc_lo, exec_lo, s8
	s_cbranch_vccz .LBB7_1045
; %bb.1036:
	s_wait_xcnt 0x0
	v_cvt_f32_f64_e32 v2, v[0:1]
	s_mov_b32 s8, exec_lo
                                        ; implicit-def: $vgpr3
	s_delay_alu instid0(VALU_DEP_1) | instskip(NEXT) | instid1(VALU_DEP_1)
	v_and_b32_e32 v6, 0x7fffffff, v2
	v_cmpx_gt_u32_e32 0x43f00000, v6
	s_xor_b32 s8, exec_lo, s8
	s_cbranch_execz .LBB7_1042
; %bb.1037:
	s_mov_b32 s9, exec_lo
                                        ; implicit-def: $vgpr3
	v_cmpx_lt_u32_e32 0x3c7fffff, v6
	s_xor_b32 s9, exec_lo, s9
; %bb.1038:
	v_bfe_u32 v3, v2, 20, 1
	s_delay_alu instid0(VALU_DEP_1) | instskip(NEXT) | instid1(VALU_DEP_1)
	v_add3_u32 v3, v2, v3, 0x407ffff
	v_and_b32_e32 v6, 0xff00000, v3
	v_lshrrev_b32_e32 v3, 20, v3
	s_delay_alu instid0(VALU_DEP_2) | instskip(NEXT) | instid1(VALU_DEP_2)
	v_cmp_ne_u32_e32 vcc_lo, 0x7f00000, v6
	v_cndmask_b32_e32 v3, 0x7e, v3, vcc_lo
; %bb.1039:
	s_and_not1_saveexec_b32 s9, s9
; %bb.1040:
	v_add_f32_e64 v3, 0x46800000, |v2|
; %bb.1041:
	s_or_b32 exec_lo, exec_lo, s9
                                        ; implicit-def: $vgpr6
.LBB7_1042:
	s_and_not1_saveexec_b32 s8, s8
; %bb.1043:
	v_mov_b32_e32 v3, 0x7f
	v_cmp_lt_u32_e32 vcc_lo, 0x7f800000, v6
	s_delay_alu instid0(VALU_DEP_2)
	v_cndmask_b32_e32 v3, 0x7e, v3, vcc_lo
; %bb.1044:
	s_or_b32 exec_lo, exec_lo, s8
	v_lshrrev_b32_e32 v2, 24, v2
	s_delay_alu instid0(VALU_DEP_1)
	v_and_or_b32 v2, 0x80, v2, v3
	global_store_b8 v[4:5], v2, off
.LBB7_1045:
	s_mov_b32 s8, 0
.LBB7_1046:
	s_delay_alu instid0(SALU_CYCLE_1)
	s_and_not1_b32 vcc_lo, exec_lo, s8
	s_cbranch_vccnz .LBB7_1056
; %bb.1047:
	s_wait_xcnt 0x0
	v_cvt_f32_f64_e32 v2, v[0:1]
	s_mov_b32 s8, exec_lo
                                        ; implicit-def: $vgpr3
	s_delay_alu instid0(VALU_DEP_1) | instskip(NEXT) | instid1(VALU_DEP_1)
	v_and_b32_e32 v6, 0x7fffffff, v2
	v_cmpx_gt_u32_e32 0x47800000, v6
	s_xor_b32 s8, exec_lo, s8
	s_cbranch_execz .LBB7_1053
; %bb.1048:
	s_mov_b32 s9, exec_lo
                                        ; implicit-def: $vgpr3
	v_cmpx_lt_u32_e32 0x387fffff, v6
	s_xor_b32 s9, exec_lo, s9
; %bb.1049:
	v_bfe_u32 v3, v2, 21, 1
	s_delay_alu instid0(VALU_DEP_1) | instskip(NEXT) | instid1(VALU_DEP_1)
	v_add3_u32 v3, v2, v3, 0x80fffff
	v_lshrrev_b32_e32 v3, 21, v3
; %bb.1050:
	s_and_not1_saveexec_b32 s9, s9
; %bb.1051:
	v_add_f32_e64 v3, 0x43000000, |v2|
; %bb.1052:
	s_or_b32 exec_lo, exec_lo, s9
                                        ; implicit-def: $vgpr6
.LBB7_1053:
	s_and_not1_saveexec_b32 s8, s8
; %bb.1054:
	v_mov_b32_e32 v3, 0x7f
	v_cmp_lt_u32_e32 vcc_lo, 0x7f800000, v6
	s_delay_alu instid0(VALU_DEP_2)
	v_cndmask_b32_e32 v3, 0x7c, v3, vcc_lo
; %bb.1055:
	s_or_b32 exec_lo, exec_lo, s8
	v_lshrrev_b32_e32 v2, 24, v2
	s_delay_alu instid0(VALU_DEP_1)
	v_and_or_b32 v2, 0x80, v2, v3
	global_store_b8 v[4:5], v2, off
.LBB7_1056:
	s_mov_b32 s8, 0
.LBB7_1057:
	s_delay_alu instid0(SALU_CYCLE_1)
	s_and_not1_b32 vcc_lo, exec_lo, s8
	s_mov_b32 s9, 0
	s_cbranch_vccnz .LBB7_1068
; %bb.1058:
	s_cmp_gt_i32 s4, 14
	s_mov_b32 s8, -1
	s_cbranch_scc0 .LBB7_1062
; %bb.1059:
	s_cmp_eq_u32 s4, 15
	s_mov_b32 s0, -1
	s_cbranch_scc0 .LBB7_1061
; %bb.1060:
	s_wait_xcnt 0x0
	v_cvt_f32_f64_e32 v2, v[0:1]
	s_mov_b32 s0, 0
	s_delay_alu instid0(VALU_DEP_1) | instskip(SKIP_1) | instid1(VALU_DEP_2)
	v_bfe_u32 v3, v2, 16, 1
	v_cmp_o_f32_e32 vcc_lo, v2, v2
	v_add3_u32 v3, v2, v3, 0x7fff
	s_delay_alu instid0(VALU_DEP_1) | instskip(NEXT) | instid1(VALU_DEP_1)
	v_lshrrev_b32_e32 v3, 16, v3
	v_cndmask_b32_e32 v2, 0x7fc0, v3, vcc_lo
	global_store_b16 v[4:5], v2, off
.LBB7_1061:
	s_mov_b32 s8, 0
.LBB7_1062:
	s_delay_alu instid0(SALU_CYCLE_1)
	s_and_b32 vcc_lo, exec_lo, s8
	s_cbranch_vccz .LBB7_1068
; %bb.1063:
	s_cmp_lg_u32 s4, 11
	s_mov_b32 s9, -1
	s_cselect_b32 s4, -1, 0
	s_and_not1_b32 s0, s0, exec_lo
	s_and_b32 s4, s4, exec_lo
	s_delay_alu instid0(SALU_CYCLE_1)
	s_or_b32 s0, s0, s4
	s_branch .LBB7_1068
.LBB7_1064:
	s_or_b32 exec_lo, exec_lo, s7
	s_and_saveexec_b32 s0, s39
	s_cbranch_execnz .LBB7_1069
.LBB7_1065:
	s_or_b32 exec_lo, exec_lo, s0
	s_and_saveexec_b32 s0, s9
	s_delay_alu instid0(SALU_CYCLE_1)
	s_xor_b32 s0, exec_lo, s0
	s_cbranch_execz .LBB7_1070
.LBB7_1066:
	v_cmp_neq_f64_e32 vcc_lo, 0, v[0:1]
	v_cndmask_b32_e64 v2, 0, 1, vcc_lo
	global_store_b8 v[4:5], v2, off
	s_wait_xcnt 0x0
	s_or_b32 exec_lo, exec_lo, s0
	s_and_saveexec_b32 s0, s8
	s_delay_alu instid0(SALU_CYCLE_1)
	s_xor_b32 s0, exec_lo, s0
	s_cbranch_execz .LBB7_1108
	s_branch .LBB7_1071
.LBB7_1067:
	s_mov_b32 s9, 0
.LBB7_1068:
	s_and_not1_b32 s4, s39, exec_lo
	s_and_b32 s0, s0, exec_lo
	s_and_b32 s8, s5, exec_lo
	;; [unrolled: 1-line block ×3, first 2 shown]
	s_or_b32 s39, s4, s0
	s_wait_xcnt 0x0
	s_or_b32 exec_lo, exec_lo, s7
	s_and_saveexec_b32 s0, s39
	s_cbranch_execz .LBB7_1065
.LBB7_1069:
	s_or_b32 s1, s1, exec_lo
	s_and_not1_b32 s9, s9, exec_lo
	s_trap 2
	s_or_b32 exec_lo, exec_lo, s0
	s_and_saveexec_b32 s0, s9
	s_delay_alu instid0(SALU_CYCLE_1)
	s_xor_b32 s0, exec_lo, s0
	s_cbranch_execnz .LBB7_1066
.LBB7_1070:
	s_or_b32 exec_lo, exec_lo, s0
	s_and_saveexec_b32 s0, s8
	s_delay_alu instid0(SALU_CYCLE_1)
	s_xor_b32 s0, exec_lo, s0
	s_cbranch_execz .LBB7_1108
.LBB7_1071:
	s_sext_i32_i16 s5, s6
	s_mov_b32 s4, -1
	s_cmp_lt_i32 s5, 5
	s_cbranch_scc1 .LBB7_1092
; %bb.1072:
	s_cmp_lt_i32 s5, 8
	s_cbranch_scc1 .LBB7_1082
; %bb.1073:
	s_cmp_lt_i32 s5, 9
	s_cbranch_scc1 .LBB7_1079
; %bb.1074:
	s_cmp_gt_i32 s5, 9
	s_cbranch_scc0 .LBB7_1076
; %bb.1075:
	v_mov_b64_e32 v[2:3], 0
	s_mov_b32 s4, 0
	global_store_b128 v[4:5], v[0:3], off
.LBB7_1076:
	s_and_not1_b32 vcc_lo, exec_lo, s4
	s_cbranch_vccnz .LBB7_1078
; %bb.1077:
	s_wait_xcnt 0x0
	v_cvt_f32_f64_e32 v2, v[0:1]
	v_mov_b32_e32 v3, 0
	global_store_b64 v[4:5], v[2:3], off
.LBB7_1078:
	s_mov_b32 s4, 0
.LBB7_1079:
	s_delay_alu instid0(SALU_CYCLE_1)
	s_and_not1_b32 vcc_lo, exec_lo, s4
	s_cbranch_vccnz .LBB7_1081
; %bb.1080:
	s_wait_xcnt 0x0
	v_and_or_b32 v2, 0x1ff, v1, v0
	v_lshrrev_b32_e32 v3, 8, v1
	s_wait_loadcnt 0x0
	v_bfe_u32 v6, v1, 20, 11
	s_delay_alu instid0(VALU_DEP_3) | instskip(NEXT) | instid1(VALU_DEP_2)
	v_cmp_ne_u32_e32 vcc_lo, 0, v2
	v_sub_nc_u32_e32 v7, 0x3f1, v6
	v_cndmask_b32_e64 v2, 0, 1, vcc_lo
	s_delay_alu instid0(VALU_DEP_1) | instskip(NEXT) | instid1(VALU_DEP_3)
	v_and_or_b32 v2, 0xffe, v3, v2
	v_med3_i32 v3, v7, 0, 13
	s_delay_alu instid0(VALU_DEP_2) | instskip(NEXT) | instid1(VALU_DEP_1)
	v_or_b32_e32 v7, 0x1000, v2
	v_lshrrev_b32_e32 v8, v3, v7
	s_delay_alu instid0(VALU_DEP_1) | instskip(NEXT) | instid1(VALU_DEP_1)
	v_lshlrev_b32_e32 v3, v3, v8
	v_cmp_ne_u32_e32 vcc_lo, v3, v7
	v_cndmask_b32_e64 v3, 0, 1, vcc_lo
	s_delay_alu instid0(VALU_DEP_1) | instskip(SKIP_1) | instid1(VALU_DEP_1)
	v_or_b32_e32 v3, v8, v3
	v_add_nc_u32_e32 v6, 0xfffffc10, v6
	v_lshl_or_b32 v7, v6, 12, v2
	v_cmp_gt_i32_e32 vcc_lo, 1, v6
	s_delay_alu instid0(VALU_DEP_2) | instskip(NEXT) | instid1(VALU_DEP_1)
	v_cndmask_b32_e32 v3, v7, v3, vcc_lo
	v_dual_lshrrev_b32 v3, 2, v3 :: v_dual_bitop2_b32 v7, 7, v3 bitop3:0x40
	s_delay_alu instid0(VALU_DEP_1) | instskip(SKIP_4) | instid1(VALU_DEP_2)
	v_cmp_lt_i32_e32 vcc_lo, 5, v7
	v_cndmask_b32_e64 v8, 0, 1, vcc_lo
	v_cmp_eq_u32_e32 vcc_lo, 3, v7
	v_cndmask_b32_e64 v7, 0, 1, vcc_lo
	v_cmp_ne_u32_e32 vcc_lo, 0, v2
	v_or_b32_e32 v7, v7, v8
	s_delay_alu instid0(VALU_DEP_1) | instskip(NEXT) | instid1(VALU_DEP_1)
	v_dual_mov_b32 v8, 0x7e00 :: v_dual_add_nc_u32 v3, v3, v7
	v_cndmask_b32_e32 v2, 0x7c00, v8, vcc_lo
	v_cmp_gt_i32_e32 vcc_lo, 31, v6
	v_lshrrev_b32_e32 v7, 16, v1
	s_delay_alu instid0(VALU_DEP_4) | instskip(SKIP_1) | instid1(VALU_DEP_2)
	v_cndmask_b32_e32 v3, 0x7c00, v3, vcc_lo
	v_cmp_eq_u32_e32 vcc_lo, 0x40f, v6
	v_cndmask_b32_e32 v2, v3, v2, vcc_lo
	s_delay_alu instid0(VALU_DEP_4) | instskip(NEXT) | instid1(VALU_DEP_1)
	v_and_b32_e32 v3, 0x8000, v7
	v_bitop3_b32 v2, v3, 0xffff, v2 bitop3:0xc8
	global_store_b32 v[4:5], v2, off
.LBB7_1081:
	s_mov_b32 s4, 0
.LBB7_1082:
	s_delay_alu instid0(SALU_CYCLE_1)
	s_and_not1_b32 vcc_lo, exec_lo, s4
	s_cbranch_vccnz .LBB7_1091
; %bb.1083:
	s_sext_i32_i16 s5, s6
	s_mov_b32 s4, -1
	s_cmp_lt_i32 s5, 6
	s_cbranch_scc1 .LBB7_1089
; %bb.1084:
	s_cmp_gt_i32 s5, 6
	s_cbranch_scc0 .LBB7_1086
; %bb.1085:
	s_mov_b32 s4, 0
	global_store_b64 v[4:5], v[0:1], off
.LBB7_1086:
	s_and_not1_b32 vcc_lo, exec_lo, s4
	s_cbranch_vccnz .LBB7_1088
; %bb.1087:
	s_wait_xcnt 0x0
	v_cvt_f32_f64_e32 v2, v[0:1]
	global_store_b32 v[4:5], v2, off
.LBB7_1088:
	s_mov_b32 s4, 0
.LBB7_1089:
	s_delay_alu instid0(SALU_CYCLE_1)
	s_and_not1_b32 vcc_lo, exec_lo, s4
	s_cbranch_vccnz .LBB7_1091
; %bb.1090:
	s_wait_xcnt 0x0
	v_and_or_b32 v2, 0x1ff, v1, v0
	v_lshrrev_b32_e32 v3, 8, v1
	s_wait_loadcnt 0x0
	v_bfe_u32 v6, v1, 20, 11
	s_delay_alu instid0(VALU_DEP_3) | instskip(NEXT) | instid1(VALU_DEP_2)
	v_cmp_ne_u32_e32 vcc_lo, 0, v2
	v_sub_nc_u32_e32 v7, 0x3f1, v6
	v_cndmask_b32_e64 v2, 0, 1, vcc_lo
	s_delay_alu instid0(VALU_DEP_1) | instskip(NEXT) | instid1(VALU_DEP_3)
	v_and_or_b32 v2, 0xffe, v3, v2
	v_med3_i32 v3, v7, 0, 13
	s_delay_alu instid0(VALU_DEP_2) | instskip(NEXT) | instid1(VALU_DEP_1)
	v_or_b32_e32 v7, 0x1000, v2
	v_lshrrev_b32_e32 v8, v3, v7
	s_delay_alu instid0(VALU_DEP_1) | instskip(NEXT) | instid1(VALU_DEP_1)
	v_lshlrev_b32_e32 v3, v3, v8
	v_cmp_ne_u32_e32 vcc_lo, v3, v7
	v_cndmask_b32_e64 v3, 0, 1, vcc_lo
	s_delay_alu instid0(VALU_DEP_1) | instskip(SKIP_1) | instid1(VALU_DEP_1)
	v_or_b32_e32 v3, v8, v3
	v_add_nc_u32_e32 v6, 0xfffffc10, v6
	v_lshl_or_b32 v7, v6, 12, v2
	v_cmp_gt_i32_e32 vcc_lo, 1, v6
	s_delay_alu instid0(VALU_DEP_2) | instskip(NEXT) | instid1(VALU_DEP_1)
	v_cndmask_b32_e32 v3, v7, v3, vcc_lo
	v_dual_lshrrev_b32 v3, 2, v3 :: v_dual_bitop2_b32 v7, 7, v3 bitop3:0x40
	s_delay_alu instid0(VALU_DEP_1) | instskip(SKIP_4) | instid1(VALU_DEP_2)
	v_cmp_lt_i32_e32 vcc_lo, 5, v7
	v_cndmask_b32_e64 v8, 0, 1, vcc_lo
	v_cmp_eq_u32_e32 vcc_lo, 3, v7
	v_cndmask_b32_e64 v7, 0, 1, vcc_lo
	v_cmp_ne_u32_e32 vcc_lo, 0, v2
	v_or_b32_e32 v7, v7, v8
	s_delay_alu instid0(VALU_DEP_1) | instskip(NEXT) | instid1(VALU_DEP_1)
	v_dual_mov_b32 v8, 0x7e00 :: v_dual_add_nc_u32 v3, v3, v7
	v_cndmask_b32_e32 v2, 0x7c00, v8, vcc_lo
	v_cmp_gt_i32_e32 vcc_lo, 31, v6
	s_delay_alu instid0(VALU_DEP_3) | instskip(SKIP_1) | instid1(VALU_DEP_2)
	v_cndmask_b32_e32 v3, 0x7c00, v3, vcc_lo
	v_cmp_eq_u32_e32 vcc_lo, 0x40f, v6
	v_dual_cndmask_b32 v2, v3, v2 :: v_dual_lshrrev_b32 v3, 16, v1
	s_delay_alu instid0(VALU_DEP_1)
	v_and_or_b32 v2, 0x8000, v3, v2
	global_store_b16 v[4:5], v2, off
.LBB7_1091:
	s_mov_b32 s4, 0
.LBB7_1092:
	s_delay_alu instid0(SALU_CYCLE_1)
	s_and_not1_b32 vcc_lo, exec_lo, s4
	s_cbranch_vccnz .LBB7_1108
; %bb.1093:
	s_sext_i32_i16 s5, s6
	s_mov_b32 s4, -1
	s_cmp_lt_i32 s5, 2
	s_cbranch_scc1 .LBB7_1103
; %bb.1094:
	s_cmp_lt_i32 s5, 3
	s_cbranch_scc1 .LBB7_1100
; %bb.1095:
	s_cmp_gt_i32 s5, 3
	s_cbranch_scc0 .LBB7_1097
; %bb.1096:
	s_wait_xcnt 0x0
	v_trunc_f64_e32 v[2:3], v[0:1]
	s_mov_b32 s4, 0
	s_wait_loadcnt 0x0
	s_delay_alu instid0(VALU_DEP_1) | instskip(NEXT) | instid1(VALU_DEP_1)
	v_ldexp_f64 v[6:7], v[2:3], 0xffffffe0
	v_floor_f64_e32 v[6:7], v[6:7]
	s_delay_alu instid0(VALU_DEP_1) | instskip(SKIP_1) | instid1(VALU_DEP_2)
	v_fmamk_f64 v[2:3], v[6:7], 0xc1f00000, v[2:3]
	v_cvt_i32_f64_e32 v7, v[6:7]
	v_cvt_u32_f64_e32 v6, v[2:3]
	global_store_b64 v[4:5], v[6:7], off
.LBB7_1097:
	s_and_not1_b32 vcc_lo, exec_lo, s4
	s_cbranch_vccnz .LBB7_1099
; %bb.1098:
	s_wait_xcnt 0x0
	v_cvt_i32_f64_e32 v2, v[0:1]
	global_store_b32 v[4:5], v2, off
.LBB7_1099:
	s_mov_b32 s4, 0
.LBB7_1100:
	s_delay_alu instid0(SALU_CYCLE_1)
	s_and_not1_b32 vcc_lo, exec_lo, s4
	s_cbranch_vccnz .LBB7_1102
; %bb.1101:
	s_wait_xcnt 0x0
	v_cvt_i32_f64_e32 v2, v[0:1]
	global_store_b16 v[4:5], v2, off
.LBB7_1102:
	s_mov_b32 s4, 0
.LBB7_1103:
	s_delay_alu instid0(SALU_CYCLE_1)
	s_and_not1_b32 vcc_lo, exec_lo, s4
	s_cbranch_vccnz .LBB7_1108
; %bb.1104:
	s_sext_i32_i16 s4, s6
	s_delay_alu instid0(SALU_CYCLE_1)
	s_cmp_gt_i32 s4, 0
	s_mov_b32 s4, -1
	s_cbranch_scc0 .LBB7_1106
; %bb.1105:
	s_wait_xcnt 0x0
	v_cvt_i32_f64_e32 v2, v[0:1]
	s_mov_b32 s4, 0
	global_store_b8 v[4:5], v2, off
.LBB7_1106:
	s_and_not1_b32 vcc_lo, exec_lo, s4
	s_cbranch_vccnz .LBB7_1108
; %bb.1107:
	s_wait_xcnt 0x0
	v_trunc_f64_e32 v[0:1], v[0:1]
	s_delay_alu instid0(VALU_DEP_1) | instskip(NEXT) | instid1(VALU_DEP_1)
	v_ldexp_f64 v[2:3], v[0:1], 0xffffffe0
	v_floor_f64_e32 v[2:3], v[2:3]
	s_delay_alu instid0(VALU_DEP_1) | instskip(NEXT) | instid1(VALU_DEP_1)
	v_fmamk_f64 v[0:1], v[2:3], 0xc1f00000, v[0:1]
	v_cvt_u32_f64_e32 v0, v[0:1]
	global_store_b8 v[4:5], v0, off
.LBB7_1108:
	s_wait_xcnt 0x0
	s_or_b32 exec_lo, exec_lo, s0
	s_delay_alu instid0(SALU_CYCLE_1)
	s_and_b32 s8, s1, exec_lo
                                        ; implicit-def: $vgpr3
                                        ; implicit-def: $vgpr4
.LBB7_1109:
	s_or_saveexec_b32 s9, s33
	s_mov_b32 s0, 0
                                        ; implicit-def: $vgpr6_vgpr7
                                        ; implicit-def: $sgpr6
                                        ; implicit-def: $vgpr0_vgpr1
	s_xor_b32 exec_lo, exec_lo, s9
	s_cbranch_execz .LBB7_2134
; %bb.1110:
	v_cndmask_b32_e64 v5, 0, 1, s31
	s_and_not1_b32 vcc_lo, exec_lo, s31
	s_cbranch_vccnz .LBB7_1116
; %bb.1111:
	s_cmp_lg_u32 s28, 0
	s_mov_b32 s10, 0
	s_cbranch_scc0 .LBB7_1117
; %bb.1112:
	s_min_u32 s1, s29, 15
	s_delay_alu instid0(SALU_CYCLE_1)
	s_add_co_i32 s1, s1, 1
	s_cmp_eq_u32 s29, 2
	s_cbranch_scc1 .LBB7_1118
; %bb.1113:
	v_dual_mov_b32 v0, 0 :: v_dual_mov_b32 v2, 0
	s_wait_loadcnt 0x0
	v_mov_b32_e32 v6, v4
	s_and_b32 s0, s1, 28
	s_add_nc_u64 s[4:5], s[2:3], 0xc4
	s_mov_b32 s11, 0
	s_mov_b64 s[6:7], s[2:3]
.LBB7_1114:                             ; =>This Inner Loop Header: Depth=1
	s_clause 0x1
	s_load_b256 s[12:19], s[6:7], 0x4
	s_load_b128 s[36:39], s[6:7], 0x24
	s_load_b256 s[20:27], s[4:5], 0x0
	s_add_co_i32 s11, s11, 4
	s_wait_xcnt 0x0
	s_add_nc_u64 s[6:7], s[6:7], 48
	s_cmp_lg_u32 s0, s11
	s_add_nc_u64 s[4:5], s[4:5], 32
	s_wait_kmcnt 0x0
	v_mul_hi_u32 v1, s13, v6
	s_delay_alu instid0(VALU_DEP_1) | instskip(NEXT) | instid1(VALU_DEP_1)
	v_add_nc_u32_e32 v1, v6, v1
	v_lshrrev_b32_e32 v1, s14, v1
	s_delay_alu instid0(VALU_DEP_1) | instskip(NEXT) | instid1(VALU_DEP_1)
	v_mul_hi_u32 v7, s16, v1
	v_add_nc_u32_e32 v7, v1, v7
	s_delay_alu instid0(VALU_DEP_1) | instskip(NEXT) | instid1(VALU_DEP_1)
	v_lshrrev_b32_e32 v7, s17, v7
	v_mul_hi_u32 v8, s19, v7
	s_delay_alu instid0(VALU_DEP_1) | instskip(SKIP_1) | instid1(VALU_DEP_1)
	v_add_nc_u32_e32 v8, v7, v8
	v_mul_lo_u32 v9, v1, s12
	v_sub_nc_u32_e32 v6, v6, v9
	v_mul_lo_u32 v9, v7, s15
	s_delay_alu instid0(VALU_DEP_4) | instskip(NEXT) | instid1(VALU_DEP_3)
	v_lshrrev_b32_e32 v8, s36, v8
	v_mad_u32 v2, v6, s21, v2
	v_mad_u32 v0, v6, s20, v0
	s_delay_alu instid0(VALU_DEP_4) | instskip(NEXT) | instid1(VALU_DEP_4)
	v_sub_nc_u32_e32 v1, v1, v9
	v_mul_hi_u32 v10, s38, v8
	v_mul_lo_u32 v9, v8, s18
	s_delay_alu instid0(VALU_DEP_3) | instskip(SKIP_1) | instid1(VALU_DEP_3)
	v_mad_u32 v2, v1, s23, v2
	v_mad_u32 v0, v1, s22, v0
	v_dual_add_nc_u32 v6, v8, v10 :: v_dual_sub_nc_u32 v1, v7, v9
	s_delay_alu instid0(VALU_DEP_1) | instskip(NEXT) | instid1(VALU_DEP_2)
	v_lshrrev_b32_e32 v6, s39, v6
	v_mad_u32 v2, v1, s25, v2
	s_delay_alu instid0(VALU_DEP_4) | instskip(NEXT) | instid1(VALU_DEP_3)
	v_mad_u32 v0, v1, s24, v0
	v_mul_lo_u32 v7, v6, s37
	s_delay_alu instid0(VALU_DEP_1) | instskip(NEXT) | instid1(VALU_DEP_1)
	v_sub_nc_u32_e32 v1, v8, v7
	v_mad_u32 v2, v1, s27, v2
	s_delay_alu instid0(VALU_DEP_4)
	v_mad_u32 v0, v1, s26, v0
	s_cbranch_scc1 .LBB7_1114
; %bb.1115:
	s_delay_alu instid0(VALU_DEP_2)
	v_mov_b32_e32 v1, v2
	s_and_b32 s6, s1, 3
	s_mov_b32 s1, 0
	s_cmp_eq_u32 s6, 0
	s_cbranch_scc0 .LBB7_1119
	s_branch .LBB7_1122
.LBB7_1116:
	s_mov_b32 s10, -1
                                        ; implicit-def: $vgpr2
                                        ; implicit-def: $vgpr0
	s_branch .LBB7_1122
.LBB7_1117:
	v_dual_mov_b32 v2, 0 :: v_dual_mov_b32 v0, 0
	s_branch .LBB7_1122
.LBB7_1118:
	v_mov_b64_e32 v[0:1], 0
	s_wait_loadcnt 0x0
	v_mov_b32_e32 v6, v4
                                        ; implicit-def: $vgpr2
	s_and_b32 s6, s1, 3
	s_mov_b32 s1, 0
	s_cmp_eq_u32 s6, 0
	s_cbranch_scc1 .LBB7_1122
.LBB7_1119:
	s_lshl_b32 s4, s0, 3
	s_mov_b32 s5, s1
	s_mul_u64 s[12:13], s[0:1], 12
	s_add_nc_u64 s[4:5], s[2:3], s[4:5]
	s_delay_alu instid0(SALU_CYCLE_1)
	s_add_nc_u64 s[0:1], s[4:5], 0xc4
	s_add_nc_u64 s[4:5], s[2:3], s[12:13]
.LBB7_1120:                             ; =>This Inner Loop Header: Depth=1
	s_load_b96 s[12:14], s[4:5], 0x4
	s_add_co_i32 s6, s6, -1
	s_wait_xcnt 0x0
	s_add_nc_u64 s[4:5], s[4:5], 12
	s_cmp_lg_u32 s6, 0
	s_wait_kmcnt 0x0
	v_mul_hi_u32 v2, s13, v6
	s_delay_alu instid0(VALU_DEP_1) | instskip(NEXT) | instid1(VALU_DEP_1)
	v_add_nc_u32_e32 v2, v6, v2
	v_lshrrev_b32_e32 v2, s14, v2
	s_load_b64 s[14:15], s[0:1], 0x0
	s_wait_xcnt 0x0
	s_add_nc_u64 s[0:1], s[0:1], 8
	s_delay_alu instid0(VALU_DEP_1) | instskip(NEXT) | instid1(VALU_DEP_1)
	v_mul_lo_u32 v7, v2, s12
	v_sub_nc_u32_e32 v6, v6, v7
	s_wait_kmcnt 0x0
	s_delay_alu instid0(VALU_DEP_1)
	v_mad_u32 v1, v6, s15, v1
	v_mad_u32 v0, v6, s14, v0
	v_mov_b32_e32 v6, v2
	s_cbranch_scc1 .LBB7_1120
; %bb.1121:
	s_delay_alu instid0(VALU_DEP_3)
	v_mov_b32_e32 v2, v1
.LBB7_1122:
	s_and_not1_b32 vcc_lo, exec_lo, s10
	s_cbranch_vccnz .LBB7_1125
; %bb.1123:
	s_clause 0x1
	s_load_b96 s[4:6], s[2:3], 0x4
	s_load_b64 s[0:1], s[2:3], 0xc4
	s_cmp_lt_u32 s28, 2
	s_wait_kmcnt 0x0
	v_mul_hi_u32 v0, s5, v4
	s_delay_alu instid0(VALU_DEP_1) | instskip(NEXT) | instid1(VALU_DEP_1)
	v_add_nc_u32_e32 v0, v4, v0
	v_lshrrev_b32_e32 v1, s6, v0
	s_delay_alu instid0(VALU_DEP_1) | instskip(NEXT) | instid1(VALU_DEP_1)
	v_mul_lo_u32 v0, v1, s4
	v_sub_nc_u32_e32 v0, v4, v0
	s_delay_alu instid0(VALU_DEP_1)
	v_mul_lo_u32 v2, v0, s1
	v_mul_lo_u32 v0, v0, s0
	s_cbranch_scc1 .LBB7_1125
; %bb.1124:
	s_clause 0x1
	s_load_b96 s[4:6], s[2:3], 0x10
	s_load_b64 s[0:1], s[2:3], 0xcc
	s_wait_loadcnt 0x0
	s_wait_kmcnt 0x0
	v_mul_hi_u32 v6, s5, v1
	s_delay_alu instid0(VALU_DEP_1) | instskip(NEXT) | instid1(VALU_DEP_1)
	v_add_nc_u32_e32 v6, v1, v6
	v_lshrrev_b32_e32 v6, s6, v6
	s_delay_alu instid0(VALU_DEP_1) | instskip(NEXT) | instid1(VALU_DEP_1)
	v_mul_lo_u32 v6, v6, s4
	v_sub_nc_u32_e32 v1, v1, v6
	s_delay_alu instid0(VALU_DEP_1)
	v_mad_u32 v0, v1, s0, v0
	v_mad_u32 v2, v1, s1, v2
.LBB7_1125:
	v_cmp_ne_u32_e32 vcc_lo, 1, v5
	v_add_nc_u32_e32 v1, 0x80, v4
	s_cbranch_vccnz .LBB7_1131
; %bb.1126:
	s_cmp_lg_u32 s28, 0
	s_mov_b32 s10, 0
	s_cbranch_scc0 .LBB7_1132
; %bb.1127:
	s_min_u32 s1, s29, 15
	s_delay_alu instid0(SALU_CYCLE_1)
	s_add_co_i32 s1, s1, 1
	s_cmp_eq_u32 s29, 2
	s_cbranch_scc1 .LBB7_1133
; %bb.1128:
	v_dual_mov_b32 v8, 0 :: v_dual_mov_b32 v10, 0
	s_wait_loadcnt 0x0
	v_mov_b32_e32 v6, v1
	s_and_b32 s0, s1, 28
	s_add_nc_u64 s[4:5], s[2:3], 0xc4
	s_mov_b32 s11, 0
	s_mov_b64 s[6:7], s[2:3]
.LBB7_1129:                             ; =>This Inner Loop Header: Depth=1
	s_clause 0x1
	s_load_b256 s[12:19], s[6:7], 0x4
	s_load_b128 s[36:39], s[6:7], 0x24
	s_load_b256 s[20:27], s[4:5], 0x0
	s_add_co_i32 s11, s11, 4
	s_wait_xcnt 0x0
	s_add_nc_u64 s[6:7], s[6:7], 48
	s_cmp_lg_u32 s0, s11
	s_add_nc_u64 s[4:5], s[4:5], 32
	s_wait_kmcnt 0x0
	v_mul_hi_u32 v7, s13, v6
	s_delay_alu instid0(VALU_DEP_1) | instskip(NEXT) | instid1(VALU_DEP_1)
	v_add_nc_u32_e32 v7, v6, v7
	v_lshrrev_b32_e32 v7, s14, v7
	s_delay_alu instid0(VALU_DEP_1) | instskip(NEXT) | instid1(VALU_DEP_1)
	v_mul_lo_u32 v12, v7, s12
	v_sub_nc_u32_e32 v6, v6, v12
	v_mul_hi_u32 v9, s16, v7
	s_delay_alu instid0(VALU_DEP_2) | instskip(SKIP_1) | instid1(VALU_DEP_3)
	v_mad_u32 v10, v6, s21, v10
	v_mad_u32 v6, v6, s20, v8
	v_add_nc_u32_e32 v9, v7, v9
	s_delay_alu instid0(VALU_DEP_1) | instskip(NEXT) | instid1(VALU_DEP_1)
	v_lshrrev_b32_e32 v9, s17, v9
	v_mul_hi_u32 v11, s19, v9
	v_mul_lo_u32 v12, v9, s15
	s_delay_alu instid0(VALU_DEP_1) | instskip(NEXT) | instid1(VALU_DEP_1)
	v_dual_add_nc_u32 v11, v9, v11 :: v_dual_sub_nc_u32 v7, v7, v12
	v_lshrrev_b32_e32 v11, s36, v11
	s_delay_alu instid0(VALU_DEP_2) | instskip(SKIP_1) | instid1(VALU_DEP_3)
	v_mad_u32 v10, v7, s23, v10
	v_mad_u32 v7, v7, s22, v6
	v_mul_hi_u32 v13, s38, v11
	v_mul_lo_u32 v8, v11, s18
	s_delay_alu instid0(VALU_DEP_1) | instskip(NEXT) | instid1(VALU_DEP_1)
	v_dual_add_nc_u32 v12, v11, v13 :: v_dual_sub_nc_u32 v8, v9, v8
	v_lshrrev_b32_e32 v6, s39, v12
	s_delay_alu instid0(VALU_DEP_2) | instskip(SKIP_1) | instid1(VALU_DEP_3)
	v_mad_u32 v10, v8, s25, v10
	v_mad_u32 v7, v8, s24, v7
	v_mul_lo_u32 v9, v6, s37
	s_delay_alu instid0(VALU_DEP_1) | instskip(NEXT) | instid1(VALU_DEP_1)
	v_sub_nc_u32_e32 v8, v11, v9
	v_mad_u32 v10, v8, s27, v10
	s_delay_alu instid0(VALU_DEP_4)
	v_mad_u32 v8, v8, s26, v7
	s_cbranch_scc1 .LBB7_1129
; %bb.1130:
	s_delay_alu instid0(VALU_DEP_2)
	v_mov_b32_e32 v9, v10
	s_and_b32 s6, s1, 3
	s_mov_b32 s1, 0
	s_cmp_eq_u32 s6, 0
	s_cbranch_scc0 .LBB7_1134
	s_branch .LBB7_1137
.LBB7_1131:
	s_mov_b32 s10, -1
                                        ; implicit-def: $vgpr10
                                        ; implicit-def: $vgpr8
	s_branch .LBB7_1137
.LBB7_1132:
	v_dual_mov_b32 v10, 0 :: v_dual_mov_b32 v8, 0
	s_branch .LBB7_1137
.LBB7_1133:
	v_mov_b64_e32 v[8:9], 0
	s_wait_loadcnt 0x0
	v_mov_b32_e32 v6, v1
	s_mov_b32 s0, 0
                                        ; implicit-def: $vgpr10
	s_and_b32 s6, s1, 3
	s_mov_b32 s1, 0
	s_cmp_eq_u32 s6, 0
	s_cbranch_scc1 .LBB7_1137
.LBB7_1134:
	s_lshl_b32 s4, s0, 3
	s_mov_b32 s5, s1
	s_mul_u64 s[12:13], s[0:1], 12
	s_add_nc_u64 s[4:5], s[2:3], s[4:5]
	s_delay_alu instid0(SALU_CYCLE_1)
	s_add_nc_u64 s[0:1], s[4:5], 0xc4
	s_add_nc_u64 s[4:5], s[2:3], s[12:13]
.LBB7_1135:                             ; =>This Inner Loop Header: Depth=1
	s_load_b96 s[12:14], s[4:5], 0x4
	s_add_co_i32 s6, s6, -1
	s_wait_xcnt 0x0
	s_add_nc_u64 s[4:5], s[4:5], 12
	s_cmp_lg_u32 s6, 0
	s_wait_kmcnt 0x0
	v_mul_hi_u32 v7, s13, v6
	s_delay_alu instid0(VALU_DEP_1) | instskip(NEXT) | instid1(VALU_DEP_1)
	v_add_nc_u32_e32 v7, v6, v7
	v_lshrrev_b32_e32 v7, s14, v7
	s_load_b64 s[14:15], s[0:1], 0x0
	s_wait_xcnt 0x0
	s_add_nc_u64 s[0:1], s[0:1], 8
	s_delay_alu instid0(VALU_DEP_1) | instskip(NEXT) | instid1(VALU_DEP_1)
	v_mul_lo_u32 v10, v7, s12
	v_sub_nc_u32_e32 v6, v6, v10
	s_wait_kmcnt 0x0
	s_delay_alu instid0(VALU_DEP_1)
	v_mad_u32 v9, v6, s15, v9
	v_mad_u32 v8, v6, s14, v8
	v_mov_b32_e32 v6, v7
	s_cbranch_scc1 .LBB7_1135
; %bb.1136:
	s_delay_alu instid0(VALU_DEP_3)
	v_mov_b32_e32 v10, v9
.LBB7_1137:
	s_and_not1_b32 vcc_lo, exec_lo, s10
	s_cbranch_vccnz .LBB7_1140
; %bb.1138:
	s_clause 0x1
	s_load_b96 s[4:6], s[2:3], 0x4
	s_load_b64 s[0:1], s[2:3], 0xc4
	s_cmp_lt_u32 s28, 2
	s_wait_loadcnt 0x0
	s_wait_kmcnt 0x0
	v_mul_hi_u32 v6, s5, v1
	s_delay_alu instid0(VALU_DEP_1) | instskip(NEXT) | instid1(VALU_DEP_1)
	v_add_nc_u32_e32 v6, v1, v6
	v_lshrrev_b32_e32 v6, s6, v6
	s_delay_alu instid0(VALU_DEP_1) | instskip(NEXT) | instid1(VALU_DEP_1)
	v_mul_lo_u32 v7, v6, s4
	v_sub_nc_u32_e32 v1, v1, v7
	s_delay_alu instid0(VALU_DEP_1)
	v_mul_lo_u32 v10, v1, s1
	v_mul_lo_u32 v8, v1, s0
	s_cbranch_scc1 .LBB7_1140
; %bb.1139:
	s_clause 0x1
	s_load_b96 s[4:6], s[2:3], 0x10
	s_load_b64 s[0:1], s[2:3], 0xcc
	s_wait_kmcnt 0x0
	v_mul_hi_u32 v1, s5, v6
	s_delay_alu instid0(VALU_DEP_1) | instskip(NEXT) | instid1(VALU_DEP_1)
	v_add_nc_u32_e32 v1, v6, v1
	v_lshrrev_b32_e32 v1, s6, v1
	s_delay_alu instid0(VALU_DEP_1) | instskip(NEXT) | instid1(VALU_DEP_1)
	v_mul_lo_u32 v1, v1, s4
	v_sub_nc_u32_e32 v1, v6, v1
	s_delay_alu instid0(VALU_DEP_1)
	v_mad_u32 v8, v1, s0, v8
	v_mad_u32 v10, v1, s1, v10
.LBB7_1140:
	v_cmp_ne_u32_e32 vcc_lo, 1, v5
	v_add_nc_u32_e32 v1, 0x100, v4
	s_cbranch_vccnz .LBB7_1146
; %bb.1141:
	s_cmp_lg_u32 s28, 0
	s_mov_b32 s10, 0
	s_cbranch_scc0 .LBB7_1147
; %bb.1142:
	s_min_u32 s1, s29, 15
	s_delay_alu instid0(SALU_CYCLE_1)
	s_add_co_i32 s1, s1, 1
	s_cmp_eq_u32 s29, 2
	s_cbranch_scc1 .LBB7_1148
; %bb.1143:
	s_wait_loadcnt 0x0
	v_dual_mov_b32 v6, 0 :: v_dual_mov_b32 v12, 0
	v_mov_b32_e32 v4, v1
	s_and_b32 s0, s1, 28
	s_add_nc_u64 s[4:5], s[2:3], 0xc4
	s_mov_b32 s11, 0
	s_mov_b64 s[6:7], s[2:3]
.LBB7_1144:                             ; =>This Inner Loop Header: Depth=1
	s_clause 0x1
	s_load_b256 s[12:19], s[6:7], 0x4
	s_load_b128 s[36:39], s[6:7], 0x24
	s_load_b256 s[20:27], s[4:5], 0x0
	s_add_co_i32 s11, s11, 4
	s_wait_xcnt 0x0
	s_add_nc_u64 s[6:7], s[6:7], 48
	s_cmp_lg_u32 s0, s11
	s_add_nc_u64 s[4:5], s[4:5], 32
	s_wait_kmcnt 0x0
	v_mul_hi_u32 v7, s13, v4
	s_delay_alu instid0(VALU_DEP_1) | instskip(NEXT) | instid1(VALU_DEP_1)
	v_add_nc_u32_e32 v7, v4, v7
	v_lshrrev_b32_e32 v7, s14, v7
	s_delay_alu instid0(VALU_DEP_1) | instskip(NEXT) | instid1(VALU_DEP_1)
	v_mul_lo_u32 v13, v7, s12
	v_sub_nc_u32_e32 v4, v4, v13
	v_mul_hi_u32 v9, s16, v7
	s_delay_alu instid0(VALU_DEP_2) | instskip(SKIP_1) | instid1(VALU_DEP_3)
	v_mad_u32 v12, v4, s21, v12
	v_mad_u32 v4, v4, s20, v6
	v_add_nc_u32_e32 v9, v7, v9
	s_delay_alu instid0(VALU_DEP_1) | instskip(NEXT) | instid1(VALU_DEP_1)
	v_lshrrev_b32_e32 v9, s17, v9
	v_mul_hi_u32 v11, s19, v9
	v_mul_lo_u32 v13, v9, s15
	s_delay_alu instid0(VALU_DEP_1) | instskip(NEXT) | instid1(VALU_DEP_1)
	v_dual_add_nc_u32 v11, v9, v11 :: v_dual_sub_nc_u32 v6, v7, v13
	v_lshrrev_b32_e32 v11, s36, v11
	s_delay_alu instid0(VALU_DEP_2) | instskip(SKIP_1) | instid1(VALU_DEP_3)
	v_mad_u32 v12, v6, s23, v12
	v_mad_u32 v6, v6, s22, v4
	v_mul_hi_u32 v14, s38, v11
	v_mul_lo_u32 v7, v11, s18
	s_delay_alu instid0(VALU_DEP_1) | instskip(NEXT) | instid1(VALU_DEP_1)
	v_dual_add_nc_u32 v13, v11, v14 :: v_dual_sub_nc_u32 v7, v9, v7
	v_lshrrev_b32_e32 v4, s39, v13
	s_delay_alu instid0(VALU_DEP_2) | instskip(SKIP_1) | instid1(VALU_DEP_3)
	v_mad_u32 v12, v7, s25, v12
	v_mad_u32 v6, v7, s24, v6
	v_mul_lo_u32 v9, v4, s37
	s_delay_alu instid0(VALU_DEP_1) | instskip(NEXT) | instid1(VALU_DEP_1)
	v_sub_nc_u32_e32 v7, v11, v9
	v_mad_u32 v12, v7, s27, v12
	s_delay_alu instid0(VALU_DEP_4)
	v_mad_u32 v6, v7, s26, v6
	s_cbranch_scc1 .LBB7_1144
; %bb.1145:
	s_delay_alu instid0(VALU_DEP_2)
	v_mov_b32_e32 v7, v12
	s_and_b32 s6, s1, 3
	s_mov_b32 s1, 0
	s_cmp_eq_u32 s6, 0
	s_cbranch_scc0 .LBB7_1149
	s_branch .LBB7_1152
.LBB7_1146:
	s_mov_b32 s10, -1
                                        ; implicit-def: $vgpr12
                                        ; implicit-def: $vgpr6
	s_branch .LBB7_1152
.LBB7_1147:
	s_wait_loadcnt 0x0
	v_dual_mov_b32 v12, 0 :: v_dual_mov_b32 v6, 0
	s_branch .LBB7_1152
.LBB7_1148:
	s_wait_loadcnt 0x0
	v_mov_b64_e32 v[6:7], 0
	v_mov_b32_e32 v4, v1
	s_mov_b32 s0, 0
                                        ; implicit-def: $vgpr12
	s_and_b32 s6, s1, 3
	s_mov_b32 s1, 0
	s_cmp_eq_u32 s6, 0
	s_cbranch_scc1 .LBB7_1152
.LBB7_1149:
	s_lshl_b32 s4, s0, 3
	s_mov_b32 s5, s1
	s_mul_u64 s[12:13], s[0:1], 12
	s_add_nc_u64 s[4:5], s[2:3], s[4:5]
	s_delay_alu instid0(SALU_CYCLE_1)
	s_add_nc_u64 s[0:1], s[4:5], 0xc4
	s_add_nc_u64 s[4:5], s[2:3], s[12:13]
.LBB7_1150:                             ; =>This Inner Loop Header: Depth=1
	s_load_b96 s[12:14], s[4:5], 0x4
	s_add_co_i32 s6, s6, -1
	s_wait_xcnt 0x0
	s_add_nc_u64 s[4:5], s[4:5], 12
	s_cmp_lg_u32 s6, 0
	s_wait_kmcnt 0x0
	v_mul_hi_u32 v9, s13, v4
	s_delay_alu instid0(VALU_DEP_1) | instskip(NEXT) | instid1(VALU_DEP_1)
	v_add_nc_u32_e32 v9, v4, v9
	v_lshrrev_b32_e32 v9, s14, v9
	s_load_b64 s[14:15], s[0:1], 0x0
	s_wait_xcnt 0x0
	s_add_nc_u64 s[0:1], s[0:1], 8
	s_delay_alu instid0(VALU_DEP_1) | instskip(NEXT) | instid1(VALU_DEP_1)
	v_mul_lo_u32 v11, v9, s12
	v_sub_nc_u32_e32 v4, v4, v11
	s_wait_kmcnt 0x0
	s_delay_alu instid0(VALU_DEP_1)
	v_mad_u32 v7, v4, s15, v7
	v_mad_u32 v6, v4, s14, v6
	v_mov_b32_e32 v4, v9
	s_cbranch_scc1 .LBB7_1150
; %bb.1151:
	s_delay_alu instid0(VALU_DEP_3)
	v_mov_b32_e32 v12, v7
.LBB7_1152:
	s_and_not1_b32 vcc_lo, exec_lo, s10
	s_cbranch_vccnz .LBB7_1155
; %bb.1153:
	s_clause 0x1
	s_load_b96 s[4:6], s[2:3], 0x4
	s_load_b64 s[0:1], s[2:3], 0xc4
	s_cmp_lt_u32 s28, 2
	s_wait_kmcnt 0x0
	v_mul_hi_u32 v4, s5, v1
	s_delay_alu instid0(VALU_DEP_1) | instskip(NEXT) | instid1(VALU_DEP_1)
	v_add_nc_u32_e32 v4, v1, v4
	v_lshrrev_b32_e32 v4, s6, v4
	s_wait_loadcnt 0x0
	s_delay_alu instid0(VALU_DEP_1) | instskip(NEXT) | instid1(VALU_DEP_1)
	v_mul_lo_u32 v6, v4, s4
	v_sub_nc_u32_e32 v1, v1, v6
	s_delay_alu instid0(VALU_DEP_1)
	v_mul_lo_u32 v12, v1, s1
	v_mul_lo_u32 v6, v1, s0
	s_cbranch_scc1 .LBB7_1155
; %bb.1154:
	s_clause 0x1
	s_load_b96 s[4:6], s[2:3], 0x10
	s_load_b64 s[0:1], s[2:3], 0xcc
	s_wait_kmcnt 0x0
	v_mul_hi_u32 v1, s5, v4
	s_delay_alu instid0(VALU_DEP_1) | instskip(NEXT) | instid1(VALU_DEP_1)
	v_add_nc_u32_e32 v1, v4, v1
	v_lshrrev_b32_e32 v1, s6, v1
	s_delay_alu instid0(VALU_DEP_1) | instskip(NEXT) | instid1(VALU_DEP_1)
	v_mul_lo_u32 v1, v1, s4
	v_sub_nc_u32_e32 v1, v4, v1
	s_delay_alu instid0(VALU_DEP_1)
	v_mad_u32 v6, v1, s0, v6
	v_mad_u32 v12, v1, s1, v12
.LBB7_1155:
	v_cmp_ne_u32_e32 vcc_lo, 1, v5
	s_cbranch_vccnz .LBB7_1161
; %bb.1156:
	s_cmp_lg_u32 s28, 0
	s_mov_b32 s10, 0
	s_cbranch_scc0 .LBB7_1162
; %bb.1157:
	s_min_u32 s1, s29, 15
	s_delay_alu instid0(SALU_CYCLE_1)
	s_add_co_i32 s1, s1, 1
	s_cmp_eq_u32 s29, 2
	s_cbranch_scc1 .LBB7_1163
; %bb.1158:
	v_dual_mov_b32 v4, 0 :: v_dual_mov_b32 v14, 0
	v_mov_b32_e32 v1, v3
	s_and_b32 s0, s1, 28
	s_add_nc_u64 s[4:5], s[2:3], 0xc4
	s_mov_b32 s11, 0
	s_mov_b64 s[6:7], s[2:3]
.LBB7_1159:                             ; =>This Inner Loop Header: Depth=1
	s_clause 0x1
	s_load_b256 s[12:19], s[6:7], 0x4
	s_load_b128 s[36:39], s[6:7], 0x24
	s_load_b256 s[20:27], s[4:5], 0x0
	s_add_co_i32 s11, s11, 4
	s_wait_xcnt 0x0
	s_add_nc_u64 s[6:7], s[6:7], 48
	s_cmp_lg_u32 s0, s11
	s_add_nc_u64 s[4:5], s[4:5], 32
	s_wait_kmcnt 0x0
	v_mul_hi_u32 v5, s13, v1
	s_delay_alu instid0(VALU_DEP_1) | instskip(NEXT) | instid1(VALU_DEP_1)
	v_add_nc_u32_e32 v5, v1, v5
	v_lshrrev_b32_e32 v5, s14, v5
	s_delay_alu instid0(VALU_DEP_1) | instskip(NEXT) | instid1(VALU_DEP_1)
	v_mul_lo_u32 v11, v5, s12
	v_sub_nc_u32_e32 v1, v1, v11
	s_wait_loadcnt 0x0
	v_mul_hi_u32 v7, s16, v5
	s_delay_alu instid0(VALU_DEP_2) | instskip(SKIP_1) | instid1(VALU_DEP_3)
	v_mad_u32 v14, v1, s21, v14
	v_mad_u32 v1, v1, s20, v4
	v_add_nc_u32_e32 v7, v5, v7
	s_delay_alu instid0(VALU_DEP_1) | instskip(NEXT) | instid1(VALU_DEP_1)
	v_lshrrev_b32_e32 v7, s17, v7
	v_mul_hi_u32 v9, s19, v7
	v_mul_lo_u32 v11, v7, s15
	s_delay_alu instid0(VALU_DEP_1) | instskip(NEXT) | instid1(VALU_DEP_1)
	v_dual_add_nc_u32 v9, v7, v9 :: v_dual_sub_nc_u32 v4, v5, v11
	v_lshrrev_b32_e32 v9, s36, v9
	s_delay_alu instid0(VALU_DEP_1) | instskip(SKIP_1) | instid1(VALU_DEP_2)
	v_mul_hi_u32 v13, s38, v9
	v_mul_lo_u32 v5, v9, s18
	v_add_nc_u32_e32 v11, v9, v13
	v_mad_u32 v13, v4, s23, v14
	v_mad_u32 v4, v4, s22, v1
	s_delay_alu instid0(VALU_DEP_3) | instskip(NEXT) | instid1(VALU_DEP_1)
	v_dual_sub_nc_u32 v5, v7, v5 :: v_dual_lshrrev_b32 v1, s39, v11
	v_mul_lo_u32 v7, v1, s37
	s_delay_alu instid0(VALU_DEP_2) | instskip(NEXT) | instid1(VALU_DEP_4)
	v_mad_u32 v11, v5, s25, v13
	v_mad_u32 v4, v5, s24, v4
	s_delay_alu instid0(VALU_DEP_3) | instskip(NEXT) | instid1(VALU_DEP_1)
	v_sub_nc_u32_e32 v5, v9, v7
	v_mad_u32 v14, v5, s27, v11
	s_delay_alu instid0(VALU_DEP_3)
	v_mad_u32 v4, v5, s26, v4
	s_cbranch_scc1 .LBB7_1159
; %bb.1160:
	s_delay_alu instid0(VALU_DEP_2)
	v_mov_b32_e32 v5, v14
	s_and_b32 s6, s1, 3
	s_mov_b32 s1, 0
	s_cmp_eq_u32 s6, 0
	s_cbranch_scc0 .LBB7_1164
	s_branch .LBB7_1167
.LBB7_1161:
	s_mov_b32 s10, -1
                                        ; implicit-def: $vgpr14
                                        ; implicit-def: $vgpr4
	s_branch .LBB7_1167
.LBB7_1162:
	v_dual_mov_b32 v14, 0 :: v_dual_mov_b32 v4, 0
	s_branch .LBB7_1167
.LBB7_1163:
	v_mov_b64_e32 v[4:5], 0
	v_mov_b32_e32 v1, v3
	s_mov_b32 s0, 0
                                        ; implicit-def: $vgpr14
	s_and_b32 s6, s1, 3
	s_mov_b32 s1, 0
	s_cmp_eq_u32 s6, 0
	s_cbranch_scc1 .LBB7_1167
.LBB7_1164:
	s_lshl_b32 s4, s0, 3
	s_mov_b32 s5, s1
	s_mul_u64 s[12:13], s[0:1], 12
	s_add_nc_u64 s[4:5], s[2:3], s[4:5]
	s_delay_alu instid0(SALU_CYCLE_1)
	s_add_nc_u64 s[0:1], s[4:5], 0xc4
	s_add_nc_u64 s[4:5], s[2:3], s[12:13]
.LBB7_1165:                             ; =>This Inner Loop Header: Depth=1
	s_load_b96 s[12:14], s[4:5], 0x4
	s_add_co_i32 s6, s6, -1
	s_wait_xcnt 0x0
	s_add_nc_u64 s[4:5], s[4:5], 12
	s_cmp_lg_u32 s6, 0
	s_wait_loadcnt 0x0
	s_wait_kmcnt 0x0
	v_mul_hi_u32 v7, s13, v1
	s_delay_alu instid0(VALU_DEP_1) | instskip(NEXT) | instid1(VALU_DEP_1)
	v_add_nc_u32_e32 v7, v1, v7
	v_lshrrev_b32_e32 v7, s14, v7
	s_load_b64 s[14:15], s[0:1], 0x0
	s_wait_xcnt 0x0
	s_add_nc_u64 s[0:1], s[0:1], 8
	s_delay_alu instid0(VALU_DEP_1) | instskip(NEXT) | instid1(VALU_DEP_1)
	v_mul_lo_u32 v9, v7, s12
	v_sub_nc_u32_e32 v1, v1, v9
	s_wait_kmcnt 0x0
	s_delay_alu instid0(VALU_DEP_1)
	v_mad_u32 v5, v1, s15, v5
	v_mad_u32 v4, v1, s14, v4
	v_mov_b32_e32 v1, v7
	s_cbranch_scc1 .LBB7_1165
; %bb.1166:
	s_delay_alu instid0(VALU_DEP_3)
	v_mov_b32_e32 v14, v5
.LBB7_1167:
	s_and_not1_b32 vcc_lo, exec_lo, s10
	s_cbranch_vccnz .LBB7_1170
; %bb.1168:
	s_clause 0x1
	s_load_b96 s[4:6], s[2:3], 0x4
	s_load_b64 s[0:1], s[2:3], 0xc4
	s_cmp_lt_u32 s28, 2
	s_wait_kmcnt 0x0
	v_mul_hi_u32 v1, s5, v3
	s_delay_alu instid0(VALU_DEP_1) | instskip(NEXT) | instid1(VALU_DEP_1)
	v_add_nc_u32_e32 v1, v3, v1
	v_lshrrev_b32_e32 v1, s6, v1
	s_delay_alu instid0(VALU_DEP_1) | instskip(NEXT) | instid1(VALU_DEP_1)
	v_mul_lo_u32 v4, v1, s4
	v_sub_nc_u32_e32 v3, v3, v4
	s_delay_alu instid0(VALU_DEP_1)
	v_mul_lo_u32 v14, v3, s1
	v_mul_lo_u32 v4, v3, s0
	s_cbranch_scc1 .LBB7_1170
; %bb.1169:
	s_clause 0x1
	s_load_b96 s[4:6], s[2:3], 0x10
	s_load_b64 s[0:1], s[2:3], 0xcc
	s_wait_kmcnt 0x0
	v_mul_hi_u32 v3, s5, v1
	s_delay_alu instid0(VALU_DEP_1) | instskip(NEXT) | instid1(VALU_DEP_1)
	v_add_nc_u32_e32 v3, v1, v3
	v_lshrrev_b32_e32 v3, s6, v3
	s_delay_alu instid0(VALU_DEP_1) | instskip(NEXT) | instid1(VALU_DEP_1)
	v_mul_lo_u32 v3, v3, s4
	v_sub_nc_u32_e32 v1, v1, v3
	s_delay_alu instid0(VALU_DEP_1)
	v_mad_u32 v4, v1, s0, v4
	v_mad_u32 v14, v1, s1, v14
.LBB7_1170:
	v_mov_b32_e32 v3, 0
	s_load_b128 s[4:7], s[2:3], 0x148
	global_load_u8 v1, v3, s[2:3] offset:346
	s_wait_kmcnt 0x0
	v_add_nc_u64_e32 v[16:17], s[6:7], v[2:3]
	s_wait_loadcnt 0x0
	v_and_b32_e32 v5, 0xffff, v1
	v_readfirstlane_b32 s0, v1
	s_delay_alu instid0(VALU_DEP_2)
	v_cmp_gt_i32_e32 vcc_lo, 11, v5
	s_cbranch_vccnz .LBB7_1177
; %bb.1171:
	s_and_b32 s1, 0xffff, s0
	s_mov_b32 s11, 0
	s_cmp_gt_i32 s1, 25
	s_cbranch_scc0 .LBB7_1179
; %bb.1172:
	s_cmp_gt_i32 s1, 28
	s_cbranch_scc0 .LBB7_1180
; %bb.1173:
	s_cmp_gt_i32 s1, 43
	s_cbranch_scc0 .LBB7_1181
; %bb.1174:
	s_cmp_gt_i32 s1, 45
	s_cbranch_scc0 .LBB7_1182
; %bb.1175:
	s_cmp_eq_u32 s1, 46
	s_mov_b32 s13, 0
	s_cbranch_scc0 .LBB7_1185
; %bb.1176:
	global_load_b32 v1, v[16:17], off
	s_mov_b32 s10, 0
	s_mov_b32 s12, -1
	s_wait_loadcnt 0x0
	v_lshlrev_b32_e32 v1, 16, v1
	s_wait_xcnt 0x1
	s_delay_alu instid0(VALU_DEP_1)
	v_cvt_f64_f32_e32 v[2:3], v1
	s_branch .LBB7_1187
.LBB7_1177:
	s_mov_b32 s12, 0
	s_mov_b32 s1, s8
                                        ; implicit-def: $vgpr2_vgpr3
	s_cbranch_execnz .LBB7_1250
.LBB7_1178:
	s_and_not1_b32 vcc_lo, exec_lo, s12
	s_cbranch_vccz .LBB7_1295
	s_branch .LBB7_2132
.LBB7_1179:
	s_mov_b32 s12, 0
	s_mov_b32 s10, 0
                                        ; implicit-def: $vgpr2_vgpr3
	s_cbranch_execnz .LBB7_1215
	s_branch .LBB7_1246
.LBB7_1180:
	s_mov_b32 s13, -1
	s_mov_b32 s12, 0
	s_mov_b32 s10, 0
                                        ; implicit-def: $vgpr2_vgpr3
	s_branch .LBB7_1196
.LBB7_1181:
	s_mov_b32 s12, 0
	s_mov_b32 s10, 0
                                        ; implicit-def: $vgpr2_vgpr3
	s_cbranch_execnz .LBB7_1192
	s_branch .LBB7_1195
.LBB7_1182:
	s_mov_b32 s13, -1
	s_mov_b32 s12, 0
	s_mov_b32 s10, 0
	s_branch .LBB7_1186
.LBB7_1183:
	s_and_not1_saveexec_b32 s9, s9
	s_cbranch_execz .LBB7_1019
.LBB7_1184:
	v_add_f32_e64 v3, 0x46000000, |v2|
	s_and_not1_b32 s8, s8, exec_lo
	s_delay_alu instid0(VALU_DEP_1) | instskip(NEXT) | instid1(VALU_DEP_1)
	v_and_b32_e32 v3, 0xff, v3
	v_cmp_ne_u32_e32 vcc_lo, 0, v3
	s_and_b32 s10, vcc_lo, exec_lo
	s_delay_alu instid0(SALU_CYCLE_1)
	s_or_b32 s8, s8, s10
	s_or_b32 exec_lo, exec_lo, s9
	v_mov_b32_e32 v6, 0
	s_and_saveexec_b32 s9, s8
	s_cbranch_execnz .LBB7_1020
	s_branch .LBB7_1021
.LBB7_1185:
	s_mov_b32 s10, -1
	s_mov_b32 s12, 0
.LBB7_1186:
                                        ; implicit-def: $vgpr2_vgpr3
.LBB7_1187:
	s_and_b32 vcc_lo, exec_lo, s13
	s_cbranch_vccz .LBB7_1190
; %bb.1188:
	s_cmp_eq_u32 s1, 44
	s_cbranch_scc0 .LBB7_1191
; %bb.1189:
	global_load_u8 v1, v[16:17], off
	s_mov_b32 s10, 0
	s_mov_b32 s12, -1
	s_wait_loadcnt 0x0
	v_cmp_ne_u32_e32 vcc_lo, 0xff, v1
	v_lshlrev_b32_e32 v2, 23, v1
	s_wait_xcnt 0x1
	s_delay_alu instid0(VALU_DEP_1) | instskip(NEXT) | instid1(VALU_DEP_1)
	v_cvt_f64_f32_e32 v[2:3], v2
	v_cndmask_b32_e32 v2, 0x20000000, v2, vcc_lo
	s_delay_alu instid0(VALU_DEP_2) | instskip(SKIP_1) | instid1(VALU_DEP_2)
	v_cndmask_b32_e32 v3, 0x7ff80000, v3, vcc_lo
	v_cmp_ne_u32_e32 vcc_lo, 0, v1
	v_cndmask_b32_e32 v3, 0x38000000, v3, vcc_lo
	s_delay_alu instid0(VALU_DEP_4)
	v_cndmask_b32_e32 v2, 0, v2, vcc_lo
.LBB7_1190:
	s_branch .LBB7_1195
.LBB7_1191:
	s_mov_b32 s10, -1
                                        ; implicit-def: $vgpr2_vgpr3
	s_branch .LBB7_1195
.LBB7_1192:
	s_cmp_eq_u32 s1, 29
	s_cbranch_scc0 .LBB7_1194
; %bb.1193:
	global_load_b64 v[2:3], v[16:17], off
	s_mov_b32 s10, 0
	s_mov_b32 s12, -1
	s_mov_b32 s13, 0
	s_wait_loadcnt 0x0
	v_cvt_f64_u32_e32 v[18:19], v3
	v_cvt_f64_u32_e32 v[2:3], v2
	s_delay_alu instid0(VALU_DEP_2) | instskip(NEXT) | instid1(VALU_DEP_1)
	v_ldexp_f64 v[18:19], v[18:19], 32
	v_add_f64_e32 v[2:3], v[18:19], v[2:3]
	s_branch .LBB7_1196
.LBB7_1194:
	s_mov_b32 s10, -1
                                        ; implicit-def: $vgpr2_vgpr3
.LBB7_1195:
	s_mov_b32 s13, 0
.LBB7_1196:
	s_delay_alu instid0(SALU_CYCLE_1)
	s_and_b32 vcc_lo, exec_lo, s13
	s_cbranch_vccz .LBB7_1214
; %bb.1197:
	s_cmp_lt_i32 s1, 27
	s_cbranch_scc1 .LBB7_1200
; %bb.1198:
	s_cmp_gt_i32 s1, 27
	s_cbranch_scc0 .LBB7_1201
; %bb.1199:
	global_load_b32 v1, v[16:17], off
	s_mov_b32 s12, 0
	s_wait_loadcnt 0x0
	s_wait_xcnt 0x1
	v_cvt_f64_u32_e32 v[2:3], v1
	s_branch .LBB7_1202
.LBB7_1200:
	s_mov_b32 s12, -1
                                        ; implicit-def: $vgpr2_vgpr3
	s_branch .LBB7_1205
.LBB7_1201:
	s_mov_b32 s12, -1
                                        ; implicit-def: $vgpr2_vgpr3
.LBB7_1202:
	s_delay_alu instid0(SALU_CYCLE_1)
	s_and_not1_b32 vcc_lo, exec_lo, s12
	s_cbranch_vccnz .LBB7_1204
; %bb.1203:
	global_load_u16 v1, v[16:17], off
	s_wait_loadcnt 0x0
	s_wait_xcnt 0x1
	v_cvt_f64_u32_e32 v[2:3], v1
.LBB7_1204:
	s_mov_b32 s12, 0
.LBB7_1205:
	s_delay_alu instid0(SALU_CYCLE_1)
	s_and_not1_b32 vcc_lo, exec_lo, s12
	s_cbranch_vccnz .LBB7_1213
; %bb.1206:
	global_load_u8 v1, v[16:17], off
	s_mov_b32 s12, 0
	s_mov_b32 s13, exec_lo
	s_wait_loadcnt 0x0
	v_cmpx_lt_i16_e32 0x7f, v1
	s_xor_b32 s13, exec_lo, s13
	s_cbranch_execz .LBB7_1226
; %bb.1207:
	s_mov_b32 s12, -1
	s_mov_b32 s14, exec_lo
	v_cmpx_eq_u16_e32 0x80, v1
; %bb.1208:
	s_xor_b32 s12, exec_lo, -1
; %bb.1209:
	s_or_b32 exec_lo, exec_lo, s14
	s_delay_alu instid0(SALU_CYCLE_1)
	s_and_b32 s12, s12, exec_lo
	s_or_saveexec_b32 s13, s13
	v_mov_b64_e32 v[2:3], 0x7ff8000020000000
	s_xor_b32 exec_lo, exec_lo, s13
	s_cbranch_execnz .LBB7_1227
.LBB7_1210:
	s_or_b32 exec_lo, exec_lo, s13
	s_and_saveexec_b32 s13, s12
	s_cbranch_execz .LBB7_1212
.LBB7_1211:
	v_and_b32_e32 v2, 0xffff, v1
	s_delay_alu instid0(VALU_DEP_1) | instskip(SKIP_1) | instid1(VALU_DEP_2)
	v_and_b32_e32 v3, 7, v2
	v_bfe_u32 v9, v2, 3, 4
	v_clz_i32_u32_e32 v5, v3
	s_delay_alu instid0(VALU_DEP_2) | instskip(NEXT) | instid1(VALU_DEP_2)
	v_cmp_eq_u32_e32 vcc_lo, 0, v9
	v_min_u32_e32 v5, 32, v5
	s_delay_alu instid0(VALU_DEP_1) | instskip(NEXT) | instid1(VALU_DEP_1)
	v_subrev_nc_u32_e32 v7, 28, v5
	v_dual_lshlrev_b32 v2, v7, v2 :: v_dual_sub_nc_u32 v5, 29, v5
	s_delay_alu instid0(VALU_DEP_1) | instskip(NEXT) | instid1(VALU_DEP_1)
	v_dual_lshlrev_b32 v1, 24, v1 :: v_dual_bitop2_b32 v2, 7, v2 bitop3:0x40
	v_dual_cndmask_b32 v2, v3, v2 :: v_dual_cndmask_b32 v5, v9, v5
	s_delay_alu instid0(VALU_DEP_2) | instskip(NEXT) | instid1(VALU_DEP_2)
	v_and_b32_e32 v1, 0x80000000, v1
	v_lshlrev_b32_e32 v2, 20, v2
	s_delay_alu instid0(VALU_DEP_3) | instskip(NEXT) | instid1(VALU_DEP_1)
	v_lshl_add_u32 v3, v5, 23, 0x3b800000
	v_or3_b32 v1, v1, v3, v2
	s_delay_alu instid0(VALU_DEP_1)
	v_cvt_f64_f32_e32 v[2:3], v1
.LBB7_1212:
	s_or_b32 exec_lo, exec_lo, s13
.LBB7_1213:
	s_mov_b32 s12, -1
.LBB7_1214:
	s_branch .LBB7_1246
.LBB7_1215:
	s_cmp_gt_i32 s1, 22
	s_cbranch_scc0 .LBB7_1225
; %bb.1216:
	s_cmp_lt_i32 s1, 24
	s_cbranch_scc1 .LBB7_1228
; %bb.1217:
	s_cmp_gt_i32 s1, 24
	s_cbranch_scc0 .LBB7_1229
; %bb.1218:
	global_load_u8 v1, v[16:17], off
	s_mov_b32 s12, exec_lo
	s_wait_loadcnt 0x0
	v_cmpx_lt_i16_e32 0x7f, v1
	s_xor_b32 s12, exec_lo, s12
	s_cbranch_execz .LBB7_1240
; %bb.1219:
	s_mov_b32 s11, -1
	s_mov_b32 s13, exec_lo
	v_cmpx_eq_u16_e32 0x80, v1
; %bb.1220:
	s_xor_b32 s11, exec_lo, -1
; %bb.1221:
	s_or_b32 exec_lo, exec_lo, s13
	s_delay_alu instid0(SALU_CYCLE_1)
	s_and_b32 s11, s11, exec_lo
	s_or_saveexec_b32 s12, s12
	v_mov_b64_e32 v[2:3], 0x7ff8000020000000
	s_xor_b32 exec_lo, exec_lo, s12
	s_cbranch_execnz .LBB7_1241
.LBB7_1222:
	s_or_b32 exec_lo, exec_lo, s12
	s_and_saveexec_b32 s12, s11
	s_cbranch_execz .LBB7_1224
.LBB7_1223:
	v_and_b32_e32 v2, 0xffff, v1
	s_delay_alu instid0(VALU_DEP_1) | instskip(SKIP_1) | instid1(VALU_DEP_2)
	v_and_b32_e32 v3, 3, v2
	v_bfe_u32 v9, v2, 2, 5
	v_clz_i32_u32_e32 v5, v3
	s_delay_alu instid0(VALU_DEP_2) | instskip(NEXT) | instid1(VALU_DEP_2)
	v_cmp_eq_u32_e32 vcc_lo, 0, v9
	v_min_u32_e32 v5, 32, v5
	s_delay_alu instid0(VALU_DEP_1) | instskip(NEXT) | instid1(VALU_DEP_1)
	v_subrev_nc_u32_e32 v7, 29, v5
	v_dual_lshlrev_b32 v2, v7, v2 :: v_dual_sub_nc_u32 v5, 30, v5
	s_delay_alu instid0(VALU_DEP_1) | instskip(NEXT) | instid1(VALU_DEP_1)
	v_dual_lshlrev_b32 v1, 24, v1 :: v_dual_bitop2_b32 v2, 3, v2 bitop3:0x40
	v_dual_cndmask_b32 v2, v3, v2 :: v_dual_cndmask_b32 v5, v9, v5
	s_delay_alu instid0(VALU_DEP_2) | instskip(NEXT) | instid1(VALU_DEP_2)
	v_and_b32_e32 v1, 0x80000000, v1
	v_lshlrev_b32_e32 v2, 21, v2
	s_delay_alu instid0(VALU_DEP_3) | instskip(NEXT) | instid1(VALU_DEP_1)
	v_lshl_add_u32 v3, v5, 23, 0x37800000
	v_or3_b32 v1, v1, v3, v2
	s_delay_alu instid0(VALU_DEP_1)
	v_cvt_f64_f32_e32 v[2:3], v1
.LBB7_1224:
	s_or_b32 exec_lo, exec_lo, s12
	s_mov_b32 s11, 0
	s_branch .LBB7_1230
.LBB7_1225:
                                        ; implicit-def: $vgpr2_vgpr3
	s_mov_b32 s11, 0
	s_branch .LBB7_1236
.LBB7_1226:
	s_or_saveexec_b32 s13, s13
	v_mov_b64_e32 v[2:3], 0x7ff8000020000000
	s_xor_b32 exec_lo, exec_lo, s13
	s_cbranch_execz .LBB7_1210
.LBB7_1227:
	v_cmp_ne_u16_e32 vcc_lo, 0, v1
	v_mov_b64_e32 v[2:3], 0
	s_and_not1_b32 s12, s12, exec_lo
	s_and_b32 s14, vcc_lo, exec_lo
	s_delay_alu instid0(SALU_CYCLE_1)
	s_or_b32 s12, s12, s14
	s_or_b32 exec_lo, exec_lo, s13
	s_and_saveexec_b32 s13, s12
	s_cbranch_execnz .LBB7_1211
	s_branch .LBB7_1212
.LBB7_1228:
	s_mov_b32 s11, -1
                                        ; implicit-def: $vgpr2_vgpr3
	s_branch .LBB7_1233
.LBB7_1229:
	s_mov_b32 s11, -1
                                        ; implicit-def: $vgpr2_vgpr3
.LBB7_1230:
	s_delay_alu instid0(SALU_CYCLE_1)
	s_and_b32 vcc_lo, exec_lo, s11
	s_cbranch_vccz .LBB7_1232
; %bb.1231:
	global_load_u8 v1, v[16:17], off
	s_wait_loadcnt 0x0
	v_lshlrev_b32_e32 v1, 24, v1
	s_delay_alu instid0(VALU_DEP_1) | instskip(SKIP_1) | instid1(VALU_DEP_1)
	v_and_b32_e32 v2, 0x7f000000, v1
	s_wait_xcnt 0x1
	v_clz_i32_u32_e32 v3, v2
	v_cmp_ne_u32_e32 vcc_lo, 0, v2
	v_add_nc_u32_e32 v7, 0x1000000, v2
	s_delay_alu instid0(VALU_DEP_3) | instskip(NEXT) | instid1(VALU_DEP_1)
	v_min_u32_e32 v3, 32, v3
	v_sub_nc_u32_e64 v3, v3, 4 clamp
	s_delay_alu instid0(VALU_DEP_1) | instskip(NEXT) | instid1(VALU_DEP_1)
	v_dual_lshlrev_b32 v5, v3, v2 :: v_dual_lshlrev_b32 v3, 23, v3
	v_lshrrev_b32_e32 v5, 4, v5
	s_delay_alu instid0(VALU_DEP_1) | instskip(SKIP_1) | instid1(VALU_DEP_2)
	v_sub_nc_u32_e32 v3, v5, v3
	v_ashrrev_i32_e32 v5, 8, v7
	v_add_nc_u32_e32 v3, 0x3c000000, v3
	s_delay_alu instid0(VALU_DEP_1) | instskip(NEXT) | instid1(VALU_DEP_1)
	v_and_or_b32 v3, 0x7f800000, v5, v3
	v_cndmask_b32_e32 v2, 0, v3, vcc_lo
	s_delay_alu instid0(VALU_DEP_1) | instskip(NEXT) | instid1(VALU_DEP_1)
	v_and_or_b32 v1, 0x80000000, v1, v2
	v_cvt_f64_f32_e32 v[2:3], v1
.LBB7_1232:
	s_mov_b32 s11, 0
.LBB7_1233:
	s_delay_alu instid0(SALU_CYCLE_1)
	s_and_not1_b32 vcc_lo, exec_lo, s11
	s_cbranch_vccnz .LBB7_1235
; %bb.1234:
	global_load_u8 v1, v[16:17], off
	s_wait_loadcnt 0x0
	v_lshlrev_b32_e32 v2, 25, v1
	v_lshlrev_b16 v1, 8, v1
	s_delay_alu instid0(VALU_DEP_1) | instskip(SKIP_1) | instid1(VALU_DEP_3)
	v_and_or_b32 v5, 0x7f00, v1, 0.5
	s_wait_xcnt 0x1
	v_lshrrev_b32_e32 v3, 4, v2
	v_bfe_i32 v1, v1, 0, 16
	s_delay_alu instid0(VALU_DEP_3) | instskip(NEXT) | instid1(VALU_DEP_3)
	v_add_f32_e32 v5, -0.5, v5
	v_or_b32_e32 v3, 0x70000000, v3
	s_delay_alu instid0(VALU_DEP_1) | instskip(SKIP_1) | instid1(VALU_DEP_2)
	v_mul_f32_e32 v3, 0x7800000, v3
	v_cmp_gt_u32_e32 vcc_lo, 0x8000000, v2
	v_cndmask_b32_e32 v2, v3, v5, vcc_lo
	s_delay_alu instid0(VALU_DEP_1) | instskip(NEXT) | instid1(VALU_DEP_1)
	v_and_or_b32 v1, 0x80000000, v1, v2
	v_cvt_f64_f32_e32 v[2:3], v1
.LBB7_1235:
	s_mov_b32 s12, -1
	s_mov_b32 s11, 0
	s_cbranch_execnz .LBB7_1246
.LBB7_1236:
	s_cmp_gt_i32 s1, 14
	s_cbranch_scc0 .LBB7_1239
; %bb.1237:
	s_cmp_eq_u32 s1, 15
	s_cbranch_scc0 .LBB7_1242
; %bb.1238:
	global_load_u16 v1, v[16:17], off
	s_mov_b32 s10, 0
	s_mov_b32 s12, -1
	s_wait_loadcnt 0x0
	v_lshlrev_b32_e32 v1, 16, v1
	s_wait_xcnt 0x1
	s_delay_alu instid0(VALU_DEP_1)
	v_cvt_f64_f32_e32 v[2:3], v1
	s_branch .LBB7_1244
.LBB7_1239:
	s_mov_b32 s11, -1
	s_branch .LBB7_1243
.LBB7_1240:
	s_or_saveexec_b32 s12, s12
	v_mov_b64_e32 v[2:3], 0x7ff8000020000000
	s_xor_b32 exec_lo, exec_lo, s12
	s_cbranch_execz .LBB7_1222
.LBB7_1241:
	v_cmp_ne_u16_e32 vcc_lo, 0, v1
	v_mov_b64_e32 v[2:3], 0
	s_and_not1_b32 s11, s11, exec_lo
	s_and_b32 s13, vcc_lo, exec_lo
	s_delay_alu instid0(SALU_CYCLE_1)
	s_or_b32 s11, s11, s13
	s_or_b32 exec_lo, exec_lo, s12
	s_and_saveexec_b32 s12, s11
	s_cbranch_execnz .LBB7_1223
	s_branch .LBB7_1224
.LBB7_1242:
	s_mov_b32 s10, -1
.LBB7_1243:
                                        ; implicit-def: $vgpr2_vgpr3
.LBB7_1244:
	s_and_b32 vcc_lo, exec_lo, s11
	s_mov_b32 s11, 0
	s_cbranch_vccz .LBB7_1246
; %bb.1245:
	s_cmp_lg_u32 s1, 11
	s_mov_b32 s11, -1
	s_cselect_b32 s10, -1, 0
.LBB7_1246:
	s_delay_alu instid0(SALU_CYCLE_1)
	s_and_b32 vcc_lo, exec_lo, s10
	s_mov_b32 s1, s8
	s_cbranch_vccnz .LBB7_1311
; %bb.1247:
	s_and_not1_b32 vcc_lo, exec_lo, s11
	s_cbranch_vccnz .LBB7_1249
.LBB7_1248:
	global_load_u8 v1, v[16:17], off
	v_mov_b32_e32 v2, 0
	s_mov_b32 s12, -1
	s_wait_loadcnt 0x0
	v_cmp_ne_u16_e32 vcc_lo, 0, v1
	s_wait_xcnt 0x1
	v_cndmask_b32_e64 v3, 0, 0x3ff00000, vcc_lo
.LBB7_1249:
	s_branch .LBB7_1178
.LBB7_1250:
	s_and_b32 s10, 0xffff, s0
	s_delay_alu instid0(SALU_CYCLE_1)
	s_cmp_lt_i32 s10, 5
	s_cbranch_scc1 .LBB7_1255
; %bb.1251:
	s_cmp_lt_i32 s10, 8
	s_cbranch_scc1 .LBB7_1256
; %bb.1252:
	;; [unrolled: 3-line block ×3, first 2 shown]
	s_cmp_gt_i32 s10, 9
	s_cbranch_scc0 .LBB7_1258
; %bb.1254:
	global_load_b64 v[2:3], v[16:17], off
	s_mov_b32 s11, 0
	s_branch .LBB7_1259
.LBB7_1255:
                                        ; implicit-def: $vgpr2_vgpr3
	s_branch .LBB7_1276
.LBB7_1256:
                                        ; implicit-def: $vgpr2_vgpr3
	s_branch .LBB7_1265
.LBB7_1257:
	s_mov_b32 s11, -1
                                        ; implicit-def: $vgpr2_vgpr3
	s_branch .LBB7_1262
.LBB7_1258:
	s_mov_b32 s11, -1
                                        ; implicit-def: $vgpr2_vgpr3
.LBB7_1259:
	s_delay_alu instid0(SALU_CYCLE_1)
	s_and_not1_b32 vcc_lo, exec_lo, s11
	s_cbranch_vccnz .LBB7_1261
; %bb.1260:
	global_load_b32 v1, v[16:17], off
	s_wait_loadcnt 0x0
	s_wait_xcnt 0x1
	v_cvt_f64_f32_e32 v[2:3], v1
.LBB7_1261:
	s_mov_b32 s11, 0
.LBB7_1262:
	s_delay_alu instid0(SALU_CYCLE_1)
	s_and_not1_b32 vcc_lo, exec_lo, s11
	s_cbranch_vccnz .LBB7_1264
; %bb.1263:
	global_load_b32 v1, v[16:17], off
	s_wait_loadcnt 0x0
	v_cvt_f32_f16_e32 v1, v1
	s_wait_xcnt 0x1
	s_delay_alu instid0(VALU_DEP_1)
	v_cvt_f64_f32_e32 v[2:3], v1
.LBB7_1264:
	s_cbranch_execnz .LBB7_1275
.LBB7_1265:
	s_cmp_lt_i32 s10, 6
	s_cbranch_scc1 .LBB7_1268
; %bb.1266:
	s_cmp_gt_i32 s10, 6
	s_cbranch_scc0 .LBB7_1269
; %bb.1267:
	s_wait_loadcnt 0x0
	global_load_b64 v[2:3], v[16:17], off
	s_mov_b32 s11, 0
	s_branch .LBB7_1270
.LBB7_1268:
	s_mov_b32 s11, -1
                                        ; implicit-def: $vgpr2_vgpr3
	s_branch .LBB7_1273
.LBB7_1269:
	s_mov_b32 s11, -1
                                        ; implicit-def: $vgpr2_vgpr3
.LBB7_1270:
	s_delay_alu instid0(SALU_CYCLE_1)
	s_and_not1_b32 vcc_lo, exec_lo, s11
	s_cbranch_vccnz .LBB7_1272
; %bb.1271:
	global_load_b32 v1, v[16:17], off
	s_wait_loadcnt 0x0
	s_wait_xcnt 0x1
	v_cvt_f64_f32_e32 v[2:3], v1
.LBB7_1272:
	s_mov_b32 s11, 0
.LBB7_1273:
	s_delay_alu instid0(SALU_CYCLE_1)
	s_and_not1_b32 vcc_lo, exec_lo, s11
	s_cbranch_vccnz .LBB7_1275
; %bb.1274:
	global_load_u16 v1, v[16:17], off
	s_wait_loadcnt 0x0
	v_cvt_f32_f16_e32 v1, v1
	s_wait_xcnt 0x1
	s_delay_alu instid0(VALU_DEP_1)
	v_cvt_f64_f32_e32 v[2:3], v1
.LBB7_1275:
	s_cbranch_execnz .LBB7_1294
.LBB7_1276:
	s_cmp_lt_i32 s10, 2
	s_cbranch_scc1 .LBB7_1280
; %bb.1277:
	s_cmp_lt_i32 s10, 3
	s_cbranch_scc1 .LBB7_1281
; %bb.1278:
	s_cmp_gt_i32 s10, 3
	s_cbranch_scc0 .LBB7_1282
; %bb.1279:
	s_wait_loadcnt 0x0
	global_load_b64 v[2:3], v[16:17], off
	s_mov_b32 s11, 0
	s_wait_loadcnt 0x0
	v_cvt_f64_i32_e32 v[18:19], v3
	v_cvt_f64_u32_e32 v[2:3], v2
	s_delay_alu instid0(VALU_DEP_2) | instskip(NEXT) | instid1(VALU_DEP_1)
	v_ldexp_f64 v[18:19], v[18:19], 32
	v_add_f64_e32 v[2:3], v[18:19], v[2:3]
	s_branch .LBB7_1283
.LBB7_1280:
                                        ; implicit-def: $vgpr2_vgpr3
	s_branch .LBB7_1289
.LBB7_1281:
	s_mov_b32 s11, -1
                                        ; implicit-def: $vgpr2_vgpr3
	s_branch .LBB7_1286
.LBB7_1282:
	s_mov_b32 s11, -1
                                        ; implicit-def: $vgpr2_vgpr3
.LBB7_1283:
	s_delay_alu instid0(SALU_CYCLE_1)
	s_and_not1_b32 vcc_lo, exec_lo, s11
	s_cbranch_vccnz .LBB7_1285
; %bb.1284:
	global_load_b32 v1, v[16:17], off
	s_wait_loadcnt 0x0
	s_wait_xcnt 0x1
	v_cvt_f64_i32_e32 v[2:3], v1
.LBB7_1285:
	s_mov_b32 s11, 0
.LBB7_1286:
	s_delay_alu instid0(SALU_CYCLE_1)
	s_and_not1_b32 vcc_lo, exec_lo, s11
	s_cbranch_vccnz .LBB7_1288
; %bb.1287:
	global_load_i16 v1, v[16:17], off
	s_wait_loadcnt 0x0
	s_wait_xcnt 0x1
	v_cvt_f64_i32_e32 v[2:3], v1
.LBB7_1288:
	s_cbranch_execnz .LBB7_1294
.LBB7_1289:
	s_cmp_gt_i32 s10, 0
	s_mov_b32 s10, 0
	s_cbranch_scc0 .LBB7_1291
; %bb.1290:
	global_load_i8 v1, v[16:17], off
	s_wait_loadcnt 0x0
	s_wait_xcnt 0x1
	v_cvt_f64_i32_e32 v[2:3], v1
	s_branch .LBB7_1292
.LBB7_1291:
	s_mov_b32 s10, -1
                                        ; implicit-def: $vgpr2_vgpr3
.LBB7_1292:
	s_delay_alu instid0(SALU_CYCLE_1)
	s_and_not1_b32 vcc_lo, exec_lo, s10
	s_cbranch_vccnz .LBB7_1294
; %bb.1293:
	global_load_u8 v1, v[16:17], off
	s_wait_loadcnt 0x0
	s_wait_xcnt 0x1
	v_cvt_f64_u32_e32 v[2:3], v1
.LBB7_1294:
.LBB7_1295:
	s_wait_loadcnt 0x0
	s_delay_alu instid0(VALU_DEP_1) | instskip(SKIP_2) | instid1(SALU_CYCLE_1)
	v_cmp_ngt_f64_e64 s10, 0x41d00000, |v[2:3]|
                                        ; implicit-def: $vgpr5
                                        ; implicit-def: $vgpr16_vgpr17
                                        ; implicit-def: $vgpr18_vgpr19
	s_wait_xcnt 0x0
	s_and_saveexec_b32 s11, s10
	s_xor_b32 s10, exec_lo, s11
	s_cbranch_execz .LBB7_1297
; %bb.1296:
	v_ldexp_f64 v[16:17], |v[2:3]|, 0xffffff80
	v_cmp_le_f64_e64 vcc_lo, 0x7b000000, |v[2:3]|
	v_trig_preop_f64 v[18:19], |v[2:3]|, 0
	v_and_b32_e32 v1, 0x7fffffff, v3
	v_trig_preop_f64 v[20:21], |v[2:3]|, 1
	v_trig_preop_f64 v[30:31], |v[2:3]|, 2
	s_mov_b64 s[12:13], 0x3ff921fb54442d18
	s_delay_alu instid0(VALU_DEP_3) | instskip(SKIP_1) | instid1(VALU_DEP_1)
	v_dual_mov_b32 v38, 0 :: v_dual_cndmask_b32 v17, v1, v17
	v_cndmask_b32_e32 v16, v2, v16, vcc_lo
	v_mul_f64_e32 v[22:23], v[18:19], v[16:17]
	v_mul_f64_e32 v[24:25], v[20:21], v[16:17]
	;; [unrolled: 1-line block ×3, first 2 shown]
	s_delay_alu instid0(VALU_DEP_3) | instskip(NEXT) | instid1(VALU_DEP_3)
	v_fma_f64 v[18:19], v[18:19], v[16:17], -v[22:23]
	v_fma_f64 v[20:21], v[20:21], v[16:17], -v[24:25]
	s_delay_alu instid0(VALU_DEP_3) | instskip(NEXT) | instid1(VALU_DEP_3)
	v_fma_f64 v[16:17], v[30:31], v[16:17], -v[36:37]
	v_add_f64_e32 v[26:27], v[24:25], v[18:19]
	s_delay_alu instid0(VALU_DEP_1) | instskip(SKIP_1) | instid1(VALU_DEP_2)
	v_add_f64_e64 v[28:29], v[26:27], -v[24:25]
	v_add_f64_e32 v[34:35], v[22:23], v[26:27]
	v_add_f64_e64 v[32:33], v[26:27], -v[28:29]
	v_add_f64_e64 v[18:19], v[18:19], -v[28:29]
	s_delay_alu instid0(VALU_DEP_3) | instskip(NEXT) | instid1(VALU_DEP_3)
	v_ldexp_f64 v[28:29], v[34:35], -2
	v_add_f64_e64 v[24:25], v[24:25], -v[32:33]
	v_add_f64_e32 v[32:33], v[36:37], v[20:21]
	s_delay_alu instid0(VALU_DEP_3) | instskip(NEXT) | instid1(VALU_DEP_3)
	v_cmp_neq_f64_e64 vcc_lo, 0x7ff00000, |v[28:29]|
	v_add_f64_e32 v[18:19], v[18:19], v[24:25]
	v_fract_f64_e32 v[24:25], v[28:29]
	s_delay_alu instid0(VALU_DEP_1) | instskip(NEXT) | instid1(VALU_DEP_1)
	v_ldexp_f64 v[24:25], v[24:25], 2
	v_dual_add_f64 v[22:23], v[34:35], -v[22:23] :: v_dual_cndmask_b32 v24, 0, v24, vcc_lo
	s_delay_alu instid0(VALU_DEP_1) | instskip(SKIP_1) | instid1(VALU_DEP_1)
	v_dual_add_f64 v[22:23], v[26:27], -v[22:23] :: v_dual_cndmask_b32 v25, 0, v25, vcc_lo
	v_add_f64_e32 v[26:27], v[32:33], v[18:19]
	v_add_f64_e32 v[28:29], v[22:23], v[26:27]
	v_add_f64_e64 v[40:41], v[26:27], -v[32:33]
	s_delay_alu instid0(VALU_DEP_2) | instskip(NEXT) | instid1(VALU_DEP_2)
	v_add_f64_e32 v[34:35], v[28:29], v[24:25]
	v_add_f64_e64 v[46:47], v[26:27], -v[40:41]
	v_add_f64_e64 v[18:19], v[18:19], -v[40:41]
	v_add_f64_e64 v[22:23], v[28:29], -v[22:23]
	s_delay_alu instid0(VALU_DEP_4) | instskip(SKIP_1) | instid1(VALU_DEP_3)
	v_cmp_gt_f64_e32 vcc_lo, 0, v[34:35]
	v_add_f64_e64 v[34:35], v[32:33], -v[36:37]
	v_add_f64_e64 v[22:23], v[26:27], -v[22:23]
	v_cndmask_b32_e64 v39, 0, 0x40100000, vcc_lo
	s_delay_alu instid0(VALU_DEP_3) | instskip(SKIP_2) | instid1(VALU_DEP_4)
	v_add_f64_e64 v[44:45], v[32:33], -v[34:35]
	v_add_f64_e64 v[20:21], v[20:21], -v[34:35]
	;; [unrolled: 1-line block ×3, first 2 shown]
	v_add_f64_e32 v[24:25], v[24:25], v[38:39]
	s_delay_alu instid0(VALU_DEP_4) | instskip(NEXT) | instid1(VALU_DEP_3)
	v_add_f64_e64 v[34:35], v[36:37], -v[44:45]
	v_add_f64_e32 v[18:19], v[18:19], v[32:33]
	s_delay_alu instid0(VALU_DEP_3) | instskip(NEXT) | instid1(VALU_DEP_3)
	v_add_f64_e32 v[42:43], v[28:29], v[24:25]
	v_add_f64_e32 v[20:21], v[20:21], v[34:35]
	s_delay_alu instid0(VALU_DEP_2) | instskip(NEXT) | instid1(VALU_DEP_2)
	v_cvt_i32_f64_e32 v1, v[42:43]
	v_add_f64_e32 v[18:19], v[20:21], v[18:19]
	s_delay_alu instid0(VALU_DEP_2) | instskip(NEXT) | instid1(VALU_DEP_2)
	v_cvt_f64_i32_e32 v[40:41], v1
	v_add_f64_e32 v[16:17], v[16:17], v[18:19]
	s_delay_alu instid0(VALU_DEP_2) | instskip(NEXT) | instid1(VALU_DEP_2)
	v_add_f64_e64 v[24:25], v[24:25], -v[40:41]
	v_add_f64_e32 v[16:17], v[22:23], v[16:17]
	s_delay_alu instid0(VALU_DEP_2) | instskip(NEXT) | instid1(VALU_DEP_1)
	v_add_f64_e32 v[20:21], v[28:29], v[24:25]
	v_add_f64_e64 v[18:19], v[20:21], -v[24:25]
	v_cmp_le_f64_e32 vcc_lo, 0.5, v[20:21]
	s_delay_alu instid0(VALU_DEP_2) | instskip(SKIP_2) | instid1(VALU_DEP_3)
	v_add_f64_e64 v[18:19], v[28:29], -v[18:19]
	v_cndmask_b32_e64 v39, 0, 0x3ff00000, vcc_lo
	v_add_co_ci_u32_e64 v5, null, 0, v1, vcc_lo
	v_add_f64_e32 v[16:17], v[16:17], v[18:19]
	s_delay_alu instid0(VALU_DEP_3) | instskip(NEXT) | instid1(VALU_DEP_1)
	v_add_f64_e64 v[18:19], v[20:21], -v[38:39]
	v_add_f64_e32 v[20:21], v[18:19], v[16:17]
	s_delay_alu instid0(VALU_DEP_1) | instskip(SKIP_1) | instid1(VALU_DEP_2)
	v_mul_f64_e32 v[22:23], 0x3ff921fb54442d18, v[20:21]
	v_add_f64_e64 v[18:19], v[20:21], -v[18:19]
	v_fma_f64 v[24:25], v[20:21], s[12:13], -v[22:23]
	s_delay_alu instid0(VALU_DEP_2) | instskip(NEXT) | instid1(VALU_DEP_2)
	v_add_f64_e64 v[16:17], v[16:17], -v[18:19]
	v_fmamk_f64 v[18:19], v[20:21], 0x3c91a62633145c07, v[24:25]
	s_delay_alu instid0(VALU_DEP_1) | instskip(NEXT) | instid1(VALU_DEP_1)
	v_fmac_f64_e32 v[18:19], 0x3ff921fb54442d18, v[16:17]
	v_add_f64_e32 v[16:17], v[22:23], v[18:19]
	s_delay_alu instid0(VALU_DEP_1) | instskip(NEXT) | instid1(VALU_DEP_1)
	v_add_f64_e64 v[20:21], v[16:17], -v[22:23]
	v_add_f64_e64 v[18:19], v[18:19], -v[20:21]
.LBB7_1297:
	s_and_not1_saveexec_b32 s10, s10
	s_cbranch_execz .LBB7_1299
; %bb.1298:
	s_mov_b64 s[12:13], 0x3fe45f306dc9c883
	s_delay_alu instid0(SALU_CYCLE_1) | instskip(SKIP_1) | instid1(VALU_DEP_1)
	v_mul_f64_e64 v[16:17], |v[2:3]|, s[12:13]
	s_mov_b64 s[12:13], 0xbff921fb54442d18
	v_rndne_f64_e32 v[20:21], v[16:17]
	s_delay_alu instid0(VALU_DEP_1) | instskip(SKIP_2) | instid1(VALU_DEP_3)
	v_fma_f64 v[16:17], v[20:21], s[12:13], |v[2:3]|
	v_mul_f64_e32 v[18:19], 0xbc91a62633145c00, v[20:21]
	v_cvt_i32_f64_e32 v5, v[20:21]
	v_fmamk_f64 v[26:27], v[20:21], 0xbc91a62633145c00, v[16:17]
	s_delay_alu instid0(VALU_DEP_3) | instskip(NEXT) | instid1(VALU_DEP_1)
	v_add_f64_e32 v[22:23], v[16:17], v[18:19]
	v_add_f64_e64 v[24:25], v[16:17], -v[22:23]
	s_delay_alu instid0(VALU_DEP_3) | instskip(NEXT) | instid1(VALU_DEP_2)
	v_add_f64_e64 v[16:17], v[22:23], -v[26:27]
	v_add_f64_e32 v[22:23], v[24:25], v[18:19]
	v_fmamk_f64 v[18:19], v[20:21], 0x3c91a62633145c00, v[18:19]
	s_delay_alu instid0(VALU_DEP_2) | instskip(NEXT) | instid1(VALU_DEP_1)
	v_add_f64_e32 v[16:17], v[16:17], v[22:23]
	v_add_f64_e64 v[16:17], v[16:17], -v[18:19]
	s_delay_alu instid0(VALU_DEP_1) | instskip(NEXT) | instid1(VALU_DEP_1)
	v_fmamk_f64 v[18:19], v[20:21], 0xb97b839a252049c0, v[16:17]
	v_add_f64_e32 v[16:17], v[26:27], v[18:19]
	s_delay_alu instid0(VALU_DEP_1) | instskip(NEXT) | instid1(VALU_DEP_1)
	v_add_f64_e64 v[22:23], v[16:17], -v[26:27]
	v_add_f64_e64 v[18:19], v[18:19], -v[22:23]
.LBB7_1299:
	s_or_b32 exec_lo, exec_lo, s10
	v_mov_b32_e32 v11, 0
	s_and_b32 s0, 0xffff, s0
	s_delay_alu instid0(SALU_CYCLE_1) | instskip(NEXT) | instid1(VALU_DEP_1)
	s_cmp_lt_i32 s0, 11
	v_add_nc_u64_e32 v[20:21], s[6:7], v[10:11]
	s_cbranch_scc1 .LBB7_1306
; %bb.1300:
	s_cmp_gt_i32 s0, 25
	s_mov_b32 s11, 0
	s_cbranch_scc0 .LBB7_1308
; %bb.1301:
	s_cmp_gt_i32 s0, 28
	s_cbranch_scc0 .LBB7_1309
; %bb.1302:
	s_cmp_gt_i32 s0, 43
	;; [unrolled: 3-line block ×3, first 2 shown]
	s_cbranch_scc0 .LBB7_1312
; %bb.1304:
	s_cmp_eq_u32 s0, 46
	s_mov_b32 s13, 0
	s_cbranch_scc0 .LBB7_1315
; %bb.1305:
	global_load_b32 v1, v[20:21], off
	s_mov_b32 s10, 0
	s_mov_b32 s12, -1
	s_wait_loadcnt 0x0
	v_lshlrev_b32_e32 v1, 16, v1
	s_delay_alu instid0(VALU_DEP_1)
	v_cvt_f64_f32_e32 v[10:11], v1
	s_branch .LBB7_1317
.LBB7_1306:
	s_mov_b32 s12, 0
                                        ; implicit-def: $vgpr10_vgpr11
	s_cbranch_execnz .LBB7_1382
.LBB7_1307:
	s_and_not1_b32 vcc_lo, exec_lo, s12
	s_cbranch_vccz .LBB7_1429
	s_branch .LBB7_2132
.LBB7_1308:
	s_mov_b32 s12, 0
	s_mov_b32 s10, 0
                                        ; implicit-def: $vgpr10_vgpr11
	s_cbranch_execnz .LBB7_1346
	s_branch .LBB7_1378
.LBB7_1309:
	s_mov_b32 s13, -1
	s_mov_b32 s12, 0
	s_mov_b32 s10, 0
                                        ; implicit-def: $vgpr10_vgpr11
	s_branch .LBB7_1327
.LBB7_1310:
	s_mov_b32 s13, -1
	s_mov_b32 s12, 0
	s_mov_b32 s10, 0
                                        ; implicit-def: $vgpr10_vgpr11
	s_branch .LBB7_1322
.LBB7_1311:
	s_or_b32 s1, s8, exec_lo
	s_trap 2
	s_cbranch_execz .LBB7_1248
	s_branch .LBB7_1249
.LBB7_1312:
	s_mov_b32 s13, -1
	s_mov_b32 s12, 0
	s_mov_b32 s10, 0
	s_branch .LBB7_1316
.LBB7_1313:
	s_and_not1_saveexec_b32 s10, s10
	s_cbranch_execz .LBB7_1031
.LBB7_1314:
	v_add_f32_e64 v3, 0x42800000, |v2|
	s_and_not1_b32 s9, s9, exec_lo
	s_delay_alu instid0(VALU_DEP_1) | instskip(NEXT) | instid1(VALU_DEP_1)
	v_and_b32_e32 v3, 0xff, v3
	v_cmp_ne_u32_e32 vcc_lo, 0, v3
	s_and_b32 s11, vcc_lo, exec_lo
	s_delay_alu instid0(SALU_CYCLE_1)
	s_or_b32 s9, s9, s11
	s_or_b32 exec_lo, exec_lo, s10
	v_mov_b32_e32 v6, 0
	s_and_saveexec_b32 s10, s9
	s_cbranch_execnz .LBB7_1032
	s_branch .LBB7_1033
.LBB7_1315:
	s_mov_b32 s10, -1
	s_mov_b32 s12, 0
.LBB7_1316:
                                        ; implicit-def: $vgpr10_vgpr11
.LBB7_1317:
	s_and_b32 vcc_lo, exec_lo, s13
	s_cbranch_vccz .LBB7_1321
; %bb.1318:
	s_cmp_eq_u32 s0, 44
	s_cbranch_scc0 .LBB7_1320
; %bb.1319:
	global_load_u8 v1, v[20:21], off
	s_mov_b32 s10, 0
	s_mov_b32 s12, -1
	s_wait_loadcnt 0x0
	v_lshlrev_b32_e32 v7, 23, v1
	v_cmp_ne_u32_e32 vcc_lo, 0xff, v1
	s_delay_alu instid0(VALU_DEP_2) | instskip(NEXT) | instid1(VALU_DEP_1)
	v_cvt_f64_f32_e32 v[10:11], v7
	v_cndmask_b32_e32 v7, 0x20000000, v10, vcc_lo
	s_delay_alu instid0(VALU_DEP_2) | instskip(SKIP_1) | instid1(VALU_DEP_2)
	v_cndmask_b32_e32 v9, 0x7ff80000, v11, vcc_lo
	v_cmp_ne_u32_e32 vcc_lo, 0, v1
	v_cndmask_b32_e32 v11, 0x38000000, v9, vcc_lo
	s_delay_alu instid0(VALU_DEP_4)
	v_cndmask_b32_e32 v10, 0, v7, vcc_lo
	s_branch .LBB7_1321
.LBB7_1320:
	s_mov_b32 s10, -1
                                        ; implicit-def: $vgpr10_vgpr11
.LBB7_1321:
	s_mov_b32 s13, 0
.LBB7_1322:
	s_delay_alu instid0(SALU_CYCLE_1)
	s_and_b32 vcc_lo, exec_lo, s13
	s_cbranch_vccz .LBB7_1326
; %bb.1323:
	s_cmp_eq_u32 s0, 29
	s_cbranch_scc0 .LBB7_1325
; %bb.1324:
	global_load_b64 v[10:11], v[20:21], off
	s_mov_b32 s10, 0
	s_mov_b32 s12, -1
	s_mov_b32 s13, 0
	s_wait_loadcnt 0x0
	v_cvt_f64_u32_e32 v[22:23], v11
	v_cvt_f64_u32_e32 v[10:11], v10
	s_delay_alu instid0(VALU_DEP_2) | instskip(NEXT) | instid1(VALU_DEP_1)
	v_ldexp_f64 v[22:23], v[22:23], 32
	v_add_f64_e32 v[10:11], v[22:23], v[10:11]
	s_branch .LBB7_1327
.LBB7_1325:
	s_mov_b32 s10, -1
                                        ; implicit-def: $vgpr10_vgpr11
.LBB7_1326:
	s_mov_b32 s13, 0
.LBB7_1327:
	s_delay_alu instid0(SALU_CYCLE_1)
	s_and_b32 vcc_lo, exec_lo, s13
	s_cbranch_vccz .LBB7_1345
; %bb.1328:
	s_cmp_lt_i32 s0, 27
	s_cbranch_scc1 .LBB7_1331
; %bb.1329:
	s_cmp_gt_i32 s0, 27
	s_cbranch_scc0 .LBB7_1332
; %bb.1330:
	global_load_b32 v1, v[20:21], off
	s_mov_b32 s12, 0
	s_wait_loadcnt 0x0
	v_cvt_f64_u32_e32 v[10:11], v1
	s_branch .LBB7_1333
.LBB7_1331:
	s_mov_b32 s12, -1
                                        ; implicit-def: $vgpr10_vgpr11
	s_branch .LBB7_1336
.LBB7_1332:
	s_mov_b32 s12, -1
                                        ; implicit-def: $vgpr10_vgpr11
.LBB7_1333:
	s_delay_alu instid0(SALU_CYCLE_1)
	s_and_not1_b32 vcc_lo, exec_lo, s12
	s_cbranch_vccnz .LBB7_1335
; %bb.1334:
	global_load_u16 v1, v[20:21], off
	s_wait_loadcnt 0x0
	v_cvt_f64_u32_e32 v[10:11], v1
.LBB7_1335:
	s_mov_b32 s12, 0
.LBB7_1336:
	s_delay_alu instid0(SALU_CYCLE_1)
	s_and_not1_b32 vcc_lo, exec_lo, s12
	s_cbranch_vccnz .LBB7_1344
; %bb.1337:
	global_load_u8 v1, v[20:21], off
	s_mov_b32 s12, 0
	s_mov_b32 s13, exec_lo
	s_wait_loadcnt 0x0
	v_cmpx_lt_i16_e32 0x7f, v1
	s_xor_b32 s13, exec_lo, s13
	s_cbranch_execz .LBB7_1357
; %bb.1338:
	s_mov_b32 s12, -1
	s_mov_b32 s14, exec_lo
	v_cmpx_eq_u16_e32 0x80, v1
; %bb.1339:
	s_xor_b32 s12, exec_lo, -1
; %bb.1340:
	s_or_b32 exec_lo, exec_lo, s14
	s_delay_alu instid0(SALU_CYCLE_1)
	s_and_b32 s12, s12, exec_lo
	s_or_saveexec_b32 s13, s13
	v_mov_b64_e32 v[10:11], 0x7ff8000020000000
	s_xor_b32 exec_lo, exec_lo, s13
	s_cbranch_execnz .LBB7_1358
.LBB7_1341:
	s_or_b32 exec_lo, exec_lo, s13
	s_and_saveexec_b32 s13, s12
	s_cbranch_execz .LBB7_1343
.LBB7_1342:
	v_and_b32_e32 v7, 0xffff, v1
	s_delay_alu instid0(VALU_DEP_1) | instskip(SKIP_1) | instid1(VALU_DEP_2)
	v_and_b32_e32 v9, 7, v7
	v_bfe_u32 v13, v7, 3, 4
	v_clz_i32_u32_e32 v10, v9
	s_delay_alu instid0(VALU_DEP_2) | instskip(NEXT) | instid1(VALU_DEP_2)
	v_cmp_eq_u32_e32 vcc_lo, 0, v13
	v_min_u32_e32 v10, 32, v10
	s_delay_alu instid0(VALU_DEP_1) | instskip(NEXT) | instid1(VALU_DEP_1)
	v_subrev_nc_u32_e32 v11, 28, v10
	v_dual_lshlrev_b32 v7, v11, v7 :: v_dual_sub_nc_u32 v10, 29, v10
	s_delay_alu instid0(VALU_DEP_1) | instskip(NEXT) | instid1(VALU_DEP_2)
	v_dual_lshlrev_b32 v1, 24, v1 :: v_dual_bitop2_b32 v7, 7, v7 bitop3:0x40
	v_cndmask_b32_e32 v10, v13, v10, vcc_lo
	s_delay_alu instid0(VALU_DEP_2) | instskip(NEXT) | instid1(VALU_DEP_3)
	v_cndmask_b32_e32 v7, v9, v7, vcc_lo
	v_and_b32_e32 v1, 0x80000000, v1
	s_delay_alu instid0(VALU_DEP_3) | instskip(NEXT) | instid1(VALU_DEP_3)
	v_lshl_add_u32 v9, v10, 23, 0x3b800000
	v_lshlrev_b32_e32 v7, 20, v7
	s_delay_alu instid0(VALU_DEP_1) | instskip(NEXT) | instid1(VALU_DEP_1)
	v_or3_b32 v1, v1, v9, v7
	v_cvt_f64_f32_e32 v[10:11], v1
.LBB7_1343:
	s_or_b32 exec_lo, exec_lo, s13
.LBB7_1344:
	s_mov_b32 s12, -1
.LBB7_1345:
	s_branch .LBB7_1378
.LBB7_1346:
	s_cmp_gt_i32 s0, 22
	s_cbranch_scc0 .LBB7_1356
; %bb.1347:
	s_cmp_lt_i32 s0, 24
	s_cbranch_scc1 .LBB7_1359
; %bb.1348:
	s_cmp_gt_i32 s0, 24
	s_cbranch_scc0 .LBB7_1360
; %bb.1349:
	global_load_u8 v1, v[20:21], off
	s_mov_b32 s12, exec_lo
	s_wait_loadcnt 0x0
	v_cmpx_lt_i16_e32 0x7f, v1
	s_xor_b32 s12, exec_lo, s12
	s_cbranch_execz .LBB7_1372
; %bb.1350:
	s_mov_b32 s11, -1
	s_mov_b32 s13, exec_lo
	v_cmpx_eq_u16_e32 0x80, v1
; %bb.1351:
	s_xor_b32 s11, exec_lo, -1
; %bb.1352:
	s_or_b32 exec_lo, exec_lo, s13
	s_delay_alu instid0(SALU_CYCLE_1)
	s_and_b32 s11, s11, exec_lo
	s_or_saveexec_b32 s12, s12
	v_mov_b64_e32 v[10:11], 0x7ff8000020000000
	s_xor_b32 exec_lo, exec_lo, s12
	s_cbranch_execnz .LBB7_1373
.LBB7_1353:
	s_or_b32 exec_lo, exec_lo, s12
	s_and_saveexec_b32 s12, s11
	s_cbranch_execz .LBB7_1355
.LBB7_1354:
	v_and_b32_e32 v7, 0xffff, v1
	s_delay_alu instid0(VALU_DEP_1) | instskip(SKIP_1) | instid1(VALU_DEP_2)
	v_and_b32_e32 v9, 3, v7
	v_bfe_u32 v13, v7, 2, 5
	v_clz_i32_u32_e32 v10, v9
	s_delay_alu instid0(VALU_DEP_2) | instskip(NEXT) | instid1(VALU_DEP_2)
	v_cmp_eq_u32_e32 vcc_lo, 0, v13
	v_min_u32_e32 v10, 32, v10
	s_delay_alu instid0(VALU_DEP_1) | instskip(NEXT) | instid1(VALU_DEP_1)
	v_subrev_nc_u32_e32 v11, 29, v10
	v_dual_lshlrev_b32 v7, v11, v7 :: v_dual_sub_nc_u32 v10, 30, v10
	s_delay_alu instid0(VALU_DEP_1) | instskip(NEXT) | instid1(VALU_DEP_2)
	v_dual_lshlrev_b32 v1, 24, v1 :: v_dual_bitop2_b32 v7, 3, v7 bitop3:0x40
	v_cndmask_b32_e32 v10, v13, v10, vcc_lo
	s_delay_alu instid0(VALU_DEP_2) | instskip(NEXT) | instid1(VALU_DEP_3)
	v_cndmask_b32_e32 v7, v9, v7, vcc_lo
	v_and_b32_e32 v1, 0x80000000, v1
	s_delay_alu instid0(VALU_DEP_3) | instskip(NEXT) | instid1(VALU_DEP_3)
	v_lshl_add_u32 v9, v10, 23, 0x37800000
	v_lshlrev_b32_e32 v7, 21, v7
	s_delay_alu instid0(VALU_DEP_1) | instskip(NEXT) | instid1(VALU_DEP_1)
	v_or3_b32 v1, v1, v9, v7
	v_cvt_f64_f32_e32 v[10:11], v1
.LBB7_1355:
	s_or_b32 exec_lo, exec_lo, s12
	s_mov_b32 s11, 0
	s_branch .LBB7_1361
.LBB7_1356:
	s_mov_b32 s11, -1
                                        ; implicit-def: $vgpr10_vgpr11
	s_branch .LBB7_1367
.LBB7_1357:
	s_or_saveexec_b32 s13, s13
	v_mov_b64_e32 v[10:11], 0x7ff8000020000000
	s_xor_b32 exec_lo, exec_lo, s13
	s_cbranch_execz .LBB7_1341
.LBB7_1358:
	v_cmp_ne_u16_e32 vcc_lo, 0, v1
	v_mov_b64_e32 v[10:11], 0
	s_and_not1_b32 s12, s12, exec_lo
	s_and_b32 s14, vcc_lo, exec_lo
	s_delay_alu instid0(SALU_CYCLE_1)
	s_or_b32 s12, s12, s14
	s_or_b32 exec_lo, exec_lo, s13
	s_and_saveexec_b32 s13, s12
	s_cbranch_execnz .LBB7_1342
	s_branch .LBB7_1343
.LBB7_1359:
	s_mov_b32 s11, -1
                                        ; implicit-def: $vgpr10_vgpr11
	s_branch .LBB7_1364
.LBB7_1360:
	s_mov_b32 s11, -1
                                        ; implicit-def: $vgpr10_vgpr11
.LBB7_1361:
	s_delay_alu instid0(SALU_CYCLE_1)
	s_and_b32 vcc_lo, exec_lo, s11
	s_cbranch_vccz .LBB7_1363
; %bb.1362:
	global_load_u8 v1, v[20:21], off
	s_wait_loadcnt 0x0
	v_lshlrev_b32_e32 v1, 24, v1
	s_delay_alu instid0(VALU_DEP_1) | instskip(NEXT) | instid1(VALU_DEP_1)
	v_and_b32_e32 v7, 0x7f000000, v1
	v_clz_i32_u32_e32 v9, v7
	v_add_nc_u32_e32 v11, 0x1000000, v7
	v_cmp_ne_u32_e32 vcc_lo, 0, v7
	s_delay_alu instid0(VALU_DEP_3) | instskip(NEXT) | instid1(VALU_DEP_1)
	v_min_u32_e32 v9, 32, v9
	v_sub_nc_u32_e64 v9, v9, 4 clamp
	s_delay_alu instid0(VALU_DEP_1) | instskip(NEXT) | instid1(VALU_DEP_1)
	v_dual_lshlrev_b32 v10, v9, v7 :: v_dual_lshlrev_b32 v9, 23, v9
	v_lshrrev_b32_e32 v10, 4, v10
	s_delay_alu instid0(VALU_DEP_1) | instskip(NEXT) | instid1(VALU_DEP_1)
	v_dual_sub_nc_u32 v9, v10, v9 :: v_dual_ashrrev_i32 v10, 8, v11
	v_add_nc_u32_e32 v9, 0x3c000000, v9
	s_delay_alu instid0(VALU_DEP_1) | instskip(NEXT) | instid1(VALU_DEP_1)
	v_and_or_b32 v9, 0x7f800000, v10, v9
	v_cndmask_b32_e32 v7, 0, v9, vcc_lo
	s_delay_alu instid0(VALU_DEP_1) | instskip(NEXT) | instid1(VALU_DEP_1)
	v_and_or_b32 v1, 0x80000000, v1, v7
	v_cvt_f64_f32_e32 v[10:11], v1
.LBB7_1363:
	s_mov_b32 s11, 0
.LBB7_1364:
	s_delay_alu instid0(SALU_CYCLE_1)
	s_and_not1_b32 vcc_lo, exec_lo, s11
	s_cbranch_vccnz .LBB7_1366
; %bb.1365:
	global_load_u8 v1, v[20:21], off
	s_wait_loadcnt 0x0
	v_lshlrev_b32_e32 v7, 25, v1
	v_lshlrev_b16 v1, 8, v1
	s_delay_alu instid0(VALU_DEP_1) | instskip(SKIP_1) | instid1(VALU_DEP_2)
	v_and_or_b32 v10, 0x7f00, v1, 0.5
	v_bfe_i32 v1, v1, 0, 16
	v_dual_add_f32 v10, -0.5, v10 :: v_dual_lshrrev_b32 v9, 4, v7
	v_cmp_gt_u32_e32 vcc_lo, 0x8000000, v7
	s_delay_alu instid0(VALU_DEP_2) | instskip(NEXT) | instid1(VALU_DEP_1)
	v_or_b32_e32 v9, 0x70000000, v9
	v_mul_f32_e32 v9, 0x7800000, v9
	s_delay_alu instid0(VALU_DEP_1) | instskip(NEXT) | instid1(VALU_DEP_1)
	v_cndmask_b32_e32 v7, v9, v10, vcc_lo
	v_and_or_b32 v1, 0x80000000, v1, v7
	s_delay_alu instid0(VALU_DEP_1)
	v_cvt_f64_f32_e32 v[10:11], v1
.LBB7_1366:
	s_mov_b32 s11, 0
	s_mov_b32 s12, -1
.LBB7_1367:
	s_and_not1_b32 vcc_lo, exec_lo, s11
	s_mov_b32 s11, 0
	s_cbranch_vccnz .LBB7_1378
; %bb.1368:
	s_cmp_gt_i32 s0, 14
	s_cbranch_scc0 .LBB7_1371
; %bb.1369:
	s_cmp_eq_u32 s0, 15
	s_cbranch_scc0 .LBB7_1374
; %bb.1370:
	global_load_u16 v1, v[20:21], off
	s_mov_b32 s10, 0
	s_mov_b32 s12, -1
	s_wait_loadcnt 0x0
	v_lshlrev_b32_e32 v1, 16, v1
	s_delay_alu instid0(VALU_DEP_1)
	v_cvt_f64_f32_e32 v[10:11], v1
	s_branch .LBB7_1376
.LBB7_1371:
	s_mov_b32 s11, -1
	s_branch .LBB7_1375
.LBB7_1372:
	s_or_saveexec_b32 s12, s12
	v_mov_b64_e32 v[10:11], 0x7ff8000020000000
	s_xor_b32 exec_lo, exec_lo, s12
	s_cbranch_execz .LBB7_1353
.LBB7_1373:
	v_cmp_ne_u16_e32 vcc_lo, 0, v1
	v_mov_b64_e32 v[10:11], 0
	s_and_not1_b32 s11, s11, exec_lo
	s_and_b32 s13, vcc_lo, exec_lo
	s_delay_alu instid0(SALU_CYCLE_1)
	s_or_b32 s11, s11, s13
	s_or_b32 exec_lo, exec_lo, s12
	s_and_saveexec_b32 s12, s11
	s_cbranch_execnz .LBB7_1354
	s_branch .LBB7_1355
.LBB7_1374:
	s_mov_b32 s10, -1
.LBB7_1375:
                                        ; implicit-def: $vgpr10_vgpr11
.LBB7_1376:
	s_and_b32 vcc_lo, exec_lo, s11
	s_mov_b32 s11, 0
	s_cbranch_vccz .LBB7_1378
; %bb.1377:
	s_cmp_lg_u32 s0, 11
	s_mov_b32 s11, -1
	s_cselect_b32 s10, -1, 0
.LBB7_1378:
	s_delay_alu instid0(SALU_CYCLE_1)
	s_and_b32 vcc_lo, exec_lo, s10
	s_cbranch_vccnz .LBB7_1445
; %bb.1379:
	s_and_not1_b32 vcc_lo, exec_lo, s11
	s_cbranch_vccnz .LBB7_1381
.LBB7_1380:
	global_load_u8 v1, v[20:21], off
	v_mov_b32_e32 v10, 0
	s_mov_b32 s12, -1
	s_wait_loadcnt 0x0
	v_cmp_ne_u16_e32 vcc_lo, 0, v1
	v_cndmask_b32_e64 v11, 0, 0x3ff00000, vcc_lo
.LBB7_1381:
	s_branch .LBB7_1307
.LBB7_1382:
	s_cmp_lt_i32 s0, 5
	s_cbranch_scc1 .LBB7_1387
; %bb.1383:
	s_cmp_lt_i32 s0, 8
	s_cbranch_scc1 .LBB7_1388
; %bb.1384:
	;; [unrolled: 3-line block ×3, first 2 shown]
	s_cmp_gt_i32 s0, 9
	s_cbranch_scc0 .LBB7_1390
; %bb.1386:
	global_load_b64 v[10:11], v[20:21], off
	s_mov_b32 s10, 0
	s_branch .LBB7_1391
.LBB7_1387:
                                        ; implicit-def: $vgpr10_vgpr11
	s_branch .LBB7_1409
.LBB7_1388:
	s_mov_b32 s10, -1
                                        ; implicit-def: $vgpr10_vgpr11
	s_branch .LBB7_1397
.LBB7_1389:
	s_mov_b32 s10, -1
                                        ; implicit-def: $vgpr10_vgpr11
	s_branch .LBB7_1394
.LBB7_1390:
	s_mov_b32 s10, -1
                                        ; implicit-def: $vgpr10_vgpr11
.LBB7_1391:
	s_delay_alu instid0(SALU_CYCLE_1)
	s_and_not1_b32 vcc_lo, exec_lo, s10
	s_cbranch_vccnz .LBB7_1393
; %bb.1392:
	global_load_b32 v1, v[20:21], off
	s_wait_loadcnt 0x0
	v_cvt_f64_f32_e32 v[10:11], v1
.LBB7_1393:
	s_mov_b32 s10, 0
.LBB7_1394:
	s_delay_alu instid0(SALU_CYCLE_1)
	s_and_not1_b32 vcc_lo, exec_lo, s10
	s_cbranch_vccnz .LBB7_1396
; %bb.1395:
	global_load_b32 v1, v[20:21], off
	s_wait_loadcnt 0x0
	v_cvt_f32_f16_e32 v1, v1
	s_delay_alu instid0(VALU_DEP_1)
	v_cvt_f64_f32_e32 v[10:11], v1
.LBB7_1396:
	s_mov_b32 s10, 0
.LBB7_1397:
	s_delay_alu instid0(SALU_CYCLE_1)
	s_and_not1_b32 vcc_lo, exec_lo, s10
	s_cbranch_vccnz .LBB7_1408
; %bb.1398:
	s_cmp_lt_i32 s0, 6
	s_cbranch_scc1 .LBB7_1401
; %bb.1399:
	s_cmp_gt_i32 s0, 6
	s_cbranch_scc0 .LBB7_1402
; %bb.1400:
	s_wait_loadcnt 0x0
	global_load_b64 v[10:11], v[20:21], off
	s_mov_b32 s10, 0
	s_branch .LBB7_1403
.LBB7_1401:
	s_mov_b32 s10, -1
                                        ; implicit-def: $vgpr10_vgpr11
	s_branch .LBB7_1406
.LBB7_1402:
	s_mov_b32 s10, -1
                                        ; implicit-def: $vgpr10_vgpr11
.LBB7_1403:
	s_delay_alu instid0(SALU_CYCLE_1)
	s_and_not1_b32 vcc_lo, exec_lo, s10
	s_cbranch_vccnz .LBB7_1405
; %bb.1404:
	global_load_b32 v1, v[20:21], off
	s_wait_loadcnt 0x0
	v_cvt_f64_f32_e32 v[10:11], v1
.LBB7_1405:
	s_mov_b32 s10, 0
.LBB7_1406:
	s_delay_alu instid0(SALU_CYCLE_1)
	s_and_not1_b32 vcc_lo, exec_lo, s10
	s_cbranch_vccnz .LBB7_1408
; %bb.1407:
	global_load_u16 v1, v[20:21], off
	s_wait_loadcnt 0x0
	v_cvt_f32_f16_e32 v1, v1
	s_delay_alu instid0(VALU_DEP_1)
	v_cvt_f64_f32_e32 v[10:11], v1
.LBB7_1408:
	s_cbranch_execnz .LBB7_1428
.LBB7_1409:
	s_cmp_lt_i32 s0, 2
	s_cbranch_scc1 .LBB7_1413
; %bb.1410:
	s_cmp_lt_i32 s0, 3
	s_cbranch_scc1 .LBB7_1414
; %bb.1411:
	s_cmp_gt_i32 s0, 3
	s_cbranch_scc0 .LBB7_1415
; %bb.1412:
	s_wait_loadcnt 0x0
	global_load_b64 v[10:11], v[20:21], off
	s_mov_b32 s10, 0
	s_wait_loadcnt 0x0
	v_cvt_f64_i32_e32 v[22:23], v11
	v_cvt_f64_u32_e32 v[10:11], v10
	s_delay_alu instid0(VALU_DEP_2) | instskip(NEXT) | instid1(VALU_DEP_1)
	v_ldexp_f64 v[22:23], v[22:23], 32
	v_add_f64_e32 v[10:11], v[22:23], v[10:11]
	s_branch .LBB7_1416
.LBB7_1413:
	s_mov_b32 s10, -1
                                        ; implicit-def: $vgpr10_vgpr11
	s_branch .LBB7_1422
.LBB7_1414:
	s_mov_b32 s10, -1
                                        ; implicit-def: $vgpr10_vgpr11
	s_branch .LBB7_1419
.LBB7_1415:
	s_mov_b32 s10, -1
                                        ; implicit-def: $vgpr10_vgpr11
.LBB7_1416:
	s_delay_alu instid0(SALU_CYCLE_1)
	s_and_not1_b32 vcc_lo, exec_lo, s10
	s_cbranch_vccnz .LBB7_1418
; %bb.1417:
	global_load_b32 v1, v[20:21], off
	s_wait_loadcnt 0x0
	v_cvt_f64_i32_e32 v[10:11], v1
.LBB7_1418:
	s_mov_b32 s10, 0
.LBB7_1419:
	s_delay_alu instid0(SALU_CYCLE_1)
	s_and_not1_b32 vcc_lo, exec_lo, s10
	s_cbranch_vccnz .LBB7_1421
; %bb.1420:
	global_load_i16 v1, v[20:21], off
	s_wait_loadcnt 0x0
	v_cvt_f64_i32_e32 v[10:11], v1
.LBB7_1421:
	s_mov_b32 s10, 0
.LBB7_1422:
	s_delay_alu instid0(SALU_CYCLE_1)
	s_and_not1_b32 vcc_lo, exec_lo, s10
	s_cbranch_vccnz .LBB7_1428
; %bb.1423:
	s_cmp_gt_i32 s0, 0
	s_mov_b32 s10, 0
	s_cbranch_scc0 .LBB7_1425
; %bb.1424:
	global_load_i8 v1, v[20:21], off
	s_wait_loadcnt 0x0
	v_cvt_f64_i32_e32 v[10:11], v1
	s_branch .LBB7_1426
.LBB7_1425:
	s_mov_b32 s10, -1
                                        ; implicit-def: $vgpr10_vgpr11
.LBB7_1426:
	s_delay_alu instid0(SALU_CYCLE_1)
	s_and_not1_b32 vcc_lo, exec_lo, s10
	s_cbranch_vccnz .LBB7_1428
; %bb.1427:
	global_load_u8 v1, v[20:21], off
	s_wait_loadcnt 0x0
	v_cvt_f64_u32_e32 v[10:11], v1
.LBB7_1428:
.LBB7_1429:
	s_wait_loadcnt 0x0
	s_delay_alu instid0(VALU_DEP_1) | instskip(SKIP_2) | instid1(SALU_CYCLE_1)
	v_cmp_ngt_f64_e64 s10, 0x41d00000, |v[10:11]|
                                        ; implicit-def: $vgpr7
                                        ; implicit-def: $vgpr20_vgpr21
                                        ; implicit-def: $vgpr22_vgpr23
	s_wait_xcnt 0x0
	s_and_saveexec_b32 s11, s10
	s_xor_b32 s10, exec_lo, s11
	s_cbranch_execz .LBB7_1431
; %bb.1430:
	v_ldexp_f64 v[20:21], |v[10:11]|, 0xffffff80
	v_cmp_le_f64_e64 vcc_lo, 0x7b000000, |v[10:11]|
	v_trig_preop_f64 v[22:23], |v[10:11]|, 0
	v_and_b32_e32 v1, 0x7fffffff, v11
	v_trig_preop_f64 v[24:25], |v[10:11]|, 1
	v_trig_preop_f64 v[34:35], |v[10:11]|, 2
	s_mov_b64 s[12:13], 0x3ff921fb54442d18
	s_delay_alu instid0(VALU_DEP_3) | instskip(SKIP_1) | instid1(VALU_DEP_1)
	v_dual_mov_b32 v42, 0 :: v_dual_cndmask_b32 v21, v1, v21
	v_cndmask_b32_e32 v20, v10, v20, vcc_lo
	v_mul_f64_e32 v[26:27], v[22:23], v[20:21]
	v_mul_f64_e32 v[28:29], v[24:25], v[20:21]
	;; [unrolled: 1-line block ×3, first 2 shown]
	s_delay_alu instid0(VALU_DEP_3) | instskip(NEXT) | instid1(VALU_DEP_3)
	v_fma_f64 v[22:23], v[22:23], v[20:21], -v[26:27]
	v_fma_f64 v[24:25], v[24:25], v[20:21], -v[28:29]
	s_delay_alu instid0(VALU_DEP_3) | instskip(NEXT) | instid1(VALU_DEP_3)
	v_fma_f64 v[20:21], v[34:35], v[20:21], -v[40:41]
	v_add_f64_e32 v[30:31], v[28:29], v[22:23]
	s_delay_alu instid0(VALU_DEP_1) | instskip(SKIP_1) | instid1(VALU_DEP_2)
	v_add_f64_e64 v[32:33], v[30:31], -v[28:29]
	v_add_f64_e32 v[38:39], v[26:27], v[30:31]
	v_add_f64_e64 v[36:37], v[30:31], -v[32:33]
	v_add_f64_e64 v[22:23], v[22:23], -v[32:33]
	s_delay_alu instid0(VALU_DEP_3) | instskip(NEXT) | instid1(VALU_DEP_3)
	v_ldexp_f64 v[32:33], v[38:39], -2
	v_add_f64_e64 v[28:29], v[28:29], -v[36:37]
	v_add_f64_e32 v[36:37], v[40:41], v[24:25]
	s_delay_alu instid0(VALU_DEP_3) | instskip(NEXT) | instid1(VALU_DEP_3)
	v_cmp_neq_f64_e64 vcc_lo, 0x7ff00000, |v[32:33]|
	v_add_f64_e32 v[22:23], v[22:23], v[28:29]
	v_fract_f64_e32 v[28:29], v[32:33]
	s_delay_alu instid0(VALU_DEP_1) | instskip(NEXT) | instid1(VALU_DEP_1)
	v_ldexp_f64 v[28:29], v[28:29], 2
	v_dual_add_f64 v[26:27], v[38:39], -v[26:27] :: v_dual_cndmask_b32 v28, 0, v28, vcc_lo
	s_delay_alu instid0(VALU_DEP_1) | instskip(SKIP_1) | instid1(VALU_DEP_1)
	v_dual_add_f64 v[26:27], v[30:31], -v[26:27] :: v_dual_cndmask_b32 v29, 0, v29, vcc_lo
	v_add_f64_e32 v[30:31], v[36:37], v[22:23]
	v_add_f64_e32 v[32:33], v[26:27], v[30:31]
	v_add_f64_e64 v[44:45], v[30:31], -v[36:37]
	s_delay_alu instid0(VALU_DEP_2) | instskip(NEXT) | instid1(VALU_DEP_2)
	v_add_f64_e32 v[38:39], v[32:33], v[28:29]
	v_add_f64_e64 v[50:51], v[30:31], -v[44:45]
	v_add_f64_e64 v[22:23], v[22:23], -v[44:45]
	;; [unrolled: 1-line block ×3, first 2 shown]
	s_delay_alu instid0(VALU_DEP_4) | instskip(SKIP_1) | instid1(VALU_DEP_3)
	v_cmp_gt_f64_e32 vcc_lo, 0, v[38:39]
	v_add_f64_e64 v[38:39], v[36:37], -v[40:41]
	v_add_f64_e64 v[26:27], v[30:31], -v[26:27]
	v_cndmask_b32_e64 v43, 0, 0x40100000, vcc_lo
	s_delay_alu instid0(VALU_DEP_3) | instskip(SKIP_2) | instid1(VALU_DEP_4)
	v_add_f64_e64 v[48:49], v[36:37], -v[38:39]
	v_add_f64_e64 v[24:25], v[24:25], -v[38:39]
	;; [unrolled: 1-line block ×3, first 2 shown]
	v_add_f64_e32 v[28:29], v[28:29], v[42:43]
	s_delay_alu instid0(VALU_DEP_4) | instskip(NEXT) | instid1(VALU_DEP_3)
	v_add_f64_e64 v[38:39], v[40:41], -v[48:49]
	v_add_f64_e32 v[22:23], v[22:23], v[36:37]
	s_delay_alu instid0(VALU_DEP_3) | instskip(NEXT) | instid1(VALU_DEP_3)
	v_add_f64_e32 v[46:47], v[32:33], v[28:29]
	v_add_f64_e32 v[24:25], v[24:25], v[38:39]
	s_delay_alu instid0(VALU_DEP_2) | instskip(NEXT) | instid1(VALU_DEP_2)
	v_cvt_i32_f64_e32 v1, v[46:47]
	v_add_f64_e32 v[22:23], v[24:25], v[22:23]
	s_delay_alu instid0(VALU_DEP_2) | instskip(NEXT) | instid1(VALU_DEP_2)
	v_cvt_f64_i32_e32 v[44:45], v1
	v_add_f64_e32 v[20:21], v[20:21], v[22:23]
	s_delay_alu instid0(VALU_DEP_2) | instskip(NEXT) | instid1(VALU_DEP_2)
	v_add_f64_e64 v[28:29], v[28:29], -v[44:45]
	v_add_f64_e32 v[20:21], v[26:27], v[20:21]
	s_delay_alu instid0(VALU_DEP_2) | instskip(NEXT) | instid1(VALU_DEP_1)
	v_add_f64_e32 v[24:25], v[32:33], v[28:29]
	v_add_f64_e64 v[22:23], v[24:25], -v[28:29]
	v_cmp_le_f64_e32 vcc_lo, 0.5, v[24:25]
	s_delay_alu instid0(VALU_DEP_2) | instskip(SKIP_2) | instid1(VALU_DEP_3)
	v_add_f64_e64 v[22:23], v[32:33], -v[22:23]
	v_cndmask_b32_e64 v43, 0, 0x3ff00000, vcc_lo
	v_add_co_ci_u32_e64 v7, null, 0, v1, vcc_lo
	v_add_f64_e32 v[20:21], v[20:21], v[22:23]
	s_delay_alu instid0(VALU_DEP_3) | instskip(NEXT) | instid1(VALU_DEP_1)
	v_add_f64_e64 v[22:23], v[24:25], -v[42:43]
	v_add_f64_e32 v[24:25], v[22:23], v[20:21]
	s_delay_alu instid0(VALU_DEP_1) | instskip(SKIP_1) | instid1(VALU_DEP_2)
	v_mul_f64_e32 v[26:27], 0x3ff921fb54442d18, v[24:25]
	v_add_f64_e64 v[22:23], v[24:25], -v[22:23]
	v_fma_f64 v[28:29], v[24:25], s[12:13], -v[26:27]
	s_delay_alu instid0(VALU_DEP_2) | instskip(NEXT) | instid1(VALU_DEP_2)
	v_add_f64_e64 v[20:21], v[20:21], -v[22:23]
	v_fmamk_f64 v[22:23], v[24:25], 0x3c91a62633145c07, v[28:29]
	s_delay_alu instid0(VALU_DEP_1) | instskip(NEXT) | instid1(VALU_DEP_1)
	v_fmac_f64_e32 v[22:23], 0x3ff921fb54442d18, v[20:21]
	v_add_f64_e32 v[20:21], v[26:27], v[22:23]
	s_delay_alu instid0(VALU_DEP_1) | instskip(NEXT) | instid1(VALU_DEP_1)
	v_add_f64_e64 v[24:25], v[20:21], -v[26:27]
	v_add_f64_e64 v[22:23], v[22:23], -v[24:25]
.LBB7_1431:
	s_and_not1_saveexec_b32 s10, s10
	s_cbranch_execz .LBB7_1433
; %bb.1432:
	s_mov_b64 s[12:13], 0x3fe45f306dc9c883
	s_delay_alu instid0(SALU_CYCLE_1) | instskip(SKIP_1) | instid1(VALU_DEP_1)
	v_mul_f64_e64 v[20:21], |v[10:11]|, s[12:13]
	s_mov_b64 s[12:13], 0xbff921fb54442d18
	v_rndne_f64_e32 v[24:25], v[20:21]
	s_delay_alu instid0(VALU_DEP_1) | instskip(SKIP_2) | instid1(VALU_DEP_3)
	v_fma_f64 v[20:21], v[24:25], s[12:13], |v[10:11]|
	v_mul_f64_e32 v[22:23], 0xbc91a62633145c00, v[24:25]
	v_cvt_i32_f64_e32 v7, v[24:25]
	v_fmamk_f64 v[30:31], v[24:25], 0xbc91a62633145c00, v[20:21]
	s_delay_alu instid0(VALU_DEP_3) | instskip(NEXT) | instid1(VALU_DEP_1)
	v_add_f64_e32 v[26:27], v[20:21], v[22:23]
	v_add_f64_e64 v[28:29], v[20:21], -v[26:27]
	s_delay_alu instid0(VALU_DEP_3) | instskip(NEXT) | instid1(VALU_DEP_2)
	v_add_f64_e64 v[20:21], v[26:27], -v[30:31]
	v_add_f64_e32 v[26:27], v[28:29], v[22:23]
	v_fmamk_f64 v[22:23], v[24:25], 0x3c91a62633145c00, v[22:23]
	s_delay_alu instid0(VALU_DEP_2) | instskip(NEXT) | instid1(VALU_DEP_1)
	v_add_f64_e32 v[20:21], v[20:21], v[26:27]
	v_add_f64_e64 v[20:21], v[20:21], -v[22:23]
	s_delay_alu instid0(VALU_DEP_1) | instskip(NEXT) | instid1(VALU_DEP_1)
	v_fmamk_f64 v[22:23], v[24:25], 0xb97b839a252049c0, v[20:21]
	v_add_f64_e32 v[20:21], v[30:31], v[22:23]
	s_delay_alu instid0(VALU_DEP_1) | instskip(NEXT) | instid1(VALU_DEP_1)
	v_add_f64_e64 v[26:27], v[20:21], -v[30:31]
	v_add_f64_e64 v[22:23], v[22:23], -v[26:27]
.LBB7_1433:
	s_or_b32 exec_lo, exec_lo, s10
	v_mov_b32_e32 v13, 0
	s_cmp_lt_i32 s0, 11
	s_delay_alu instid0(VALU_DEP_1)
	v_add_nc_u64_e32 v[24:25], s[6:7], v[12:13]
	s_cbranch_scc1 .LBB7_1440
; %bb.1434:
	s_cmp_gt_i32 s0, 25
	s_mov_b32 s11, 0
	s_cbranch_scc0 .LBB7_1442
; %bb.1435:
	s_cmp_gt_i32 s0, 28
	s_cbranch_scc0 .LBB7_1443
; %bb.1436:
	s_cmp_gt_i32 s0, 43
	;; [unrolled: 3-line block ×3, first 2 shown]
	s_cbranch_scc0 .LBB7_1446
; %bb.1438:
	s_cmp_eq_u32 s0, 46
	s_mov_b32 s13, 0
	s_cbranch_scc0 .LBB7_1447
; %bb.1439:
	global_load_b32 v1, v[24:25], off
	s_mov_b32 s10, 0
	s_mov_b32 s12, -1
	s_wait_loadcnt 0x0
	v_lshlrev_b32_e32 v1, 16, v1
	s_delay_alu instid0(VALU_DEP_1)
	v_cvt_f64_f32_e32 v[12:13], v1
	s_branch .LBB7_1449
.LBB7_1440:
	s_mov_b32 s12, 0
                                        ; implicit-def: $vgpr12_vgpr13
	s_cbranch_execnz .LBB7_1515
.LBB7_1441:
	s_and_not1_b32 vcc_lo, exec_lo, s12
	s_cbranch_vccz .LBB7_1563
	s_branch .LBB7_2132
.LBB7_1442:
	s_mov_b32 s13, -1
	s_mov_b32 s12, 0
	s_mov_b32 s10, 0
                                        ; implicit-def: $vgpr12_vgpr13
	s_branch .LBB7_1478
.LBB7_1443:
	s_mov_b32 s13, -1
	s_mov_b32 s12, 0
	s_mov_b32 s10, 0
                                        ; implicit-def: $vgpr12_vgpr13
	s_branch .LBB7_1459
.LBB7_1444:
	s_mov_b32 s13, -1
	s_mov_b32 s12, 0
	s_mov_b32 s10, 0
                                        ; implicit-def: $vgpr12_vgpr13
	s_branch .LBB7_1454
.LBB7_1445:
	s_or_b32 s1, s1, exec_lo
	s_trap 2
	s_cbranch_execz .LBB7_1380
	s_branch .LBB7_1381
.LBB7_1446:
	s_mov_b32 s13, -1
	s_mov_b32 s12, 0
	s_mov_b32 s10, 0
	s_branch .LBB7_1448
.LBB7_1447:
	s_mov_b32 s10, -1
	s_mov_b32 s12, 0
.LBB7_1448:
                                        ; implicit-def: $vgpr12_vgpr13
.LBB7_1449:
	s_and_b32 vcc_lo, exec_lo, s13
	s_cbranch_vccz .LBB7_1453
; %bb.1450:
	s_cmp_eq_u32 s0, 44
	s_cbranch_scc0 .LBB7_1452
; %bb.1451:
	global_load_u8 v1, v[24:25], off
	s_mov_b32 s10, 0
	s_mov_b32 s12, -1
	s_wait_loadcnt 0x0
	v_lshlrev_b32_e32 v9, 23, v1
	v_cmp_ne_u32_e32 vcc_lo, 0xff, v1
	s_delay_alu instid0(VALU_DEP_2) | instskip(NEXT) | instid1(VALU_DEP_1)
	v_cvt_f64_f32_e32 v[12:13], v9
	v_cndmask_b32_e32 v9, 0x20000000, v12, vcc_lo
	s_delay_alu instid0(VALU_DEP_2) | instskip(SKIP_1) | instid1(VALU_DEP_2)
	v_cndmask_b32_e32 v12, 0x7ff80000, v13, vcc_lo
	v_cmp_ne_u32_e32 vcc_lo, 0, v1
	v_cndmask_b32_e32 v13, 0x38000000, v12, vcc_lo
	s_delay_alu instid0(VALU_DEP_4)
	v_cndmask_b32_e32 v12, 0, v9, vcc_lo
	s_branch .LBB7_1453
.LBB7_1452:
	s_mov_b32 s10, -1
                                        ; implicit-def: $vgpr12_vgpr13
.LBB7_1453:
	s_mov_b32 s13, 0
.LBB7_1454:
	s_delay_alu instid0(SALU_CYCLE_1)
	s_and_b32 vcc_lo, exec_lo, s13
	s_cbranch_vccz .LBB7_1458
; %bb.1455:
	s_cmp_eq_u32 s0, 29
	s_cbranch_scc0 .LBB7_1457
; %bb.1456:
	global_load_b64 v[12:13], v[24:25], off
	s_mov_b32 s10, 0
	s_mov_b32 s12, -1
	s_mov_b32 s13, 0
	s_wait_loadcnt 0x0
	v_cvt_f64_u32_e32 v[26:27], v13
	v_cvt_f64_u32_e32 v[12:13], v12
	s_delay_alu instid0(VALU_DEP_2) | instskip(NEXT) | instid1(VALU_DEP_1)
	v_ldexp_f64 v[26:27], v[26:27], 32
	v_add_f64_e32 v[12:13], v[26:27], v[12:13]
	s_branch .LBB7_1459
.LBB7_1457:
	s_mov_b32 s10, -1
                                        ; implicit-def: $vgpr12_vgpr13
.LBB7_1458:
	s_mov_b32 s13, 0
.LBB7_1459:
	s_delay_alu instid0(SALU_CYCLE_1)
	s_and_b32 vcc_lo, exec_lo, s13
	s_cbranch_vccz .LBB7_1477
; %bb.1460:
	s_cmp_lt_i32 s0, 27
	s_cbranch_scc1 .LBB7_1463
; %bb.1461:
	s_cmp_gt_i32 s0, 27
	s_cbranch_scc0 .LBB7_1464
; %bb.1462:
	global_load_b32 v1, v[24:25], off
	s_mov_b32 s12, 0
	s_wait_loadcnt 0x0
	v_cvt_f64_u32_e32 v[12:13], v1
	s_branch .LBB7_1465
.LBB7_1463:
	s_mov_b32 s12, -1
                                        ; implicit-def: $vgpr12_vgpr13
	s_branch .LBB7_1468
.LBB7_1464:
	s_mov_b32 s12, -1
                                        ; implicit-def: $vgpr12_vgpr13
.LBB7_1465:
	s_delay_alu instid0(SALU_CYCLE_1)
	s_and_not1_b32 vcc_lo, exec_lo, s12
	s_cbranch_vccnz .LBB7_1467
; %bb.1466:
	global_load_u16 v1, v[24:25], off
	s_wait_loadcnt 0x0
	v_cvt_f64_u32_e32 v[12:13], v1
.LBB7_1467:
	s_mov_b32 s12, 0
.LBB7_1468:
	s_delay_alu instid0(SALU_CYCLE_1)
	s_and_not1_b32 vcc_lo, exec_lo, s12
	s_cbranch_vccnz .LBB7_1476
; %bb.1469:
	global_load_u8 v1, v[24:25], off
	s_mov_b32 s12, 0
	s_mov_b32 s13, exec_lo
	s_wait_loadcnt 0x0
	v_cmpx_lt_i16_e32 0x7f, v1
	s_xor_b32 s13, exec_lo, s13
	s_cbranch_execz .LBB7_1490
; %bb.1470:
	s_mov_b32 s12, -1
	s_mov_b32 s14, exec_lo
	v_cmpx_eq_u16_e32 0x80, v1
; %bb.1471:
	s_xor_b32 s12, exec_lo, -1
; %bb.1472:
	s_or_b32 exec_lo, exec_lo, s14
	s_delay_alu instid0(SALU_CYCLE_1)
	s_and_b32 s12, s12, exec_lo
	s_or_saveexec_b32 s13, s13
	v_mov_b64_e32 v[12:13], 0x7ff8000020000000
	s_xor_b32 exec_lo, exec_lo, s13
	s_cbranch_execnz .LBB7_1491
.LBB7_1473:
	s_or_b32 exec_lo, exec_lo, s13
	s_and_saveexec_b32 s13, s12
	s_cbranch_execz .LBB7_1475
.LBB7_1474:
	v_and_b32_e32 v9, 0xffff, v1
	v_lshlrev_b32_e32 v1, 24, v1
	s_delay_alu instid0(VALU_DEP_2) | instskip(SKIP_1) | instid1(VALU_DEP_3)
	v_and_b32_e32 v12, 7, v9
	v_bfe_u32 v26, v9, 3, 4
	v_and_b32_e32 v1, 0x80000000, v1
	s_delay_alu instid0(VALU_DEP_3) | instskip(NEXT) | instid1(VALU_DEP_3)
	v_clz_i32_u32_e32 v13, v12
	v_cmp_eq_u32_e32 vcc_lo, 0, v26
	s_delay_alu instid0(VALU_DEP_2) | instskip(NEXT) | instid1(VALU_DEP_1)
	v_min_u32_e32 v13, 32, v13
	v_subrev_nc_u32_e32 v15, 28, v13
	v_sub_nc_u32_e32 v13, 29, v13
	s_delay_alu instid0(VALU_DEP_2) | instskip(NEXT) | instid1(VALU_DEP_2)
	v_lshlrev_b32_e32 v9, v15, v9
	v_cndmask_b32_e32 v13, v26, v13, vcc_lo
	s_delay_alu instid0(VALU_DEP_2) | instskip(NEXT) | instid1(VALU_DEP_1)
	v_and_b32_e32 v9, 7, v9
	v_cndmask_b32_e32 v9, v12, v9, vcc_lo
	s_delay_alu instid0(VALU_DEP_3) | instskip(NEXT) | instid1(VALU_DEP_2)
	v_lshl_add_u32 v12, v13, 23, 0x3b800000
	v_lshlrev_b32_e32 v9, 20, v9
	s_delay_alu instid0(VALU_DEP_1) | instskip(NEXT) | instid1(VALU_DEP_1)
	v_or3_b32 v1, v1, v12, v9
	v_cvt_f64_f32_e32 v[12:13], v1
.LBB7_1475:
	s_or_b32 exec_lo, exec_lo, s13
.LBB7_1476:
	s_mov_b32 s12, -1
.LBB7_1477:
	s_mov_b32 s13, 0
.LBB7_1478:
	s_delay_alu instid0(SALU_CYCLE_1)
	s_and_b32 vcc_lo, exec_lo, s13
	s_cbranch_vccz .LBB7_1511
; %bb.1479:
	s_cmp_gt_i32 s0, 22
	s_cbranch_scc0 .LBB7_1489
; %bb.1480:
	s_cmp_lt_i32 s0, 24
	s_cbranch_scc1 .LBB7_1492
; %bb.1481:
	s_cmp_gt_i32 s0, 24
	s_cbranch_scc0 .LBB7_1493
; %bb.1482:
	global_load_u8 v1, v[24:25], off
	s_mov_b32 s12, exec_lo
	s_wait_loadcnt 0x0
	v_cmpx_lt_i16_e32 0x7f, v1
	s_xor_b32 s12, exec_lo, s12
	s_cbranch_execz .LBB7_1505
; %bb.1483:
	s_mov_b32 s11, -1
	s_mov_b32 s13, exec_lo
	v_cmpx_eq_u16_e32 0x80, v1
; %bb.1484:
	s_xor_b32 s11, exec_lo, -1
; %bb.1485:
	s_or_b32 exec_lo, exec_lo, s13
	s_delay_alu instid0(SALU_CYCLE_1)
	s_and_b32 s11, s11, exec_lo
	s_or_saveexec_b32 s12, s12
	v_mov_b64_e32 v[12:13], 0x7ff8000020000000
	s_xor_b32 exec_lo, exec_lo, s12
	s_cbranch_execnz .LBB7_1506
.LBB7_1486:
	s_or_b32 exec_lo, exec_lo, s12
	s_and_saveexec_b32 s12, s11
	s_cbranch_execz .LBB7_1488
.LBB7_1487:
	v_and_b32_e32 v9, 0xffff, v1
	v_lshlrev_b32_e32 v1, 24, v1
	s_delay_alu instid0(VALU_DEP_2) | instskip(SKIP_1) | instid1(VALU_DEP_3)
	v_and_b32_e32 v12, 3, v9
	v_bfe_u32 v26, v9, 2, 5
	v_and_b32_e32 v1, 0x80000000, v1
	s_delay_alu instid0(VALU_DEP_3) | instskip(NEXT) | instid1(VALU_DEP_3)
	v_clz_i32_u32_e32 v13, v12
	v_cmp_eq_u32_e32 vcc_lo, 0, v26
	s_delay_alu instid0(VALU_DEP_2) | instskip(NEXT) | instid1(VALU_DEP_1)
	v_min_u32_e32 v13, 32, v13
	v_subrev_nc_u32_e32 v15, 29, v13
	v_sub_nc_u32_e32 v13, 30, v13
	s_delay_alu instid0(VALU_DEP_2) | instskip(NEXT) | instid1(VALU_DEP_2)
	v_lshlrev_b32_e32 v9, v15, v9
	v_cndmask_b32_e32 v13, v26, v13, vcc_lo
	s_delay_alu instid0(VALU_DEP_2) | instskip(NEXT) | instid1(VALU_DEP_1)
	v_and_b32_e32 v9, 3, v9
	v_cndmask_b32_e32 v9, v12, v9, vcc_lo
	s_delay_alu instid0(VALU_DEP_3) | instskip(NEXT) | instid1(VALU_DEP_2)
	v_lshl_add_u32 v12, v13, 23, 0x37800000
	v_lshlrev_b32_e32 v9, 21, v9
	s_delay_alu instid0(VALU_DEP_1) | instskip(NEXT) | instid1(VALU_DEP_1)
	v_or3_b32 v1, v1, v12, v9
	v_cvt_f64_f32_e32 v[12:13], v1
.LBB7_1488:
	s_or_b32 exec_lo, exec_lo, s12
	s_mov_b32 s11, 0
	s_branch .LBB7_1494
.LBB7_1489:
	s_mov_b32 s11, -1
                                        ; implicit-def: $vgpr12_vgpr13
	s_branch .LBB7_1500
.LBB7_1490:
	s_or_saveexec_b32 s13, s13
	v_mov_b64_e32 v[12:13], 0x7ff8000020000000
	s_xor_b32 exec_lo, exec_lo, s13
	s_cbranch_execz .LBB7_1473
.LBB7_1491:
	v_cmp_ne_u16_e32 vcc_lo, 0, v1
	v_mov_b64_e32 v[12:13], 0
	s_and_not1_b32 s12, s12, exec_lo
	s_and_b32 s14, vcc_lo, exec_lo
	s_delay_alu instid0(SALU_CYCLE_1)
	s_or_b32 s12, s12, s14
	s_or_b32 exec_lo, exec_lo, s13
	s_and_saveexec_b32 s13, s12
	s_cbranch_execnz .LBB7_1474
	s_branch .LBB7_1475
.LBB7_1492:
	s_mov_b32 s11, -1
                                        ; implicit-def: $vgpr12_vgpr13
	s_branch .LBB7_1497
.LBB7_1493:
	s_mov_b32 s11, -1
                                        ; implicit-def: $vgpr12_vgpr13
.LBB7_1494:
	s_delay_alu instid0(SALU_CYCLE_1)
	s_and_b32 vcc_lo, exec_lo, s11
	s_cbranch_vccz .LBB7_1496
; %bb.1495:
	global_load_u8 v1, v[24:25], off
	s_wait_loadcnt 0x0
	v_lshlrev_b32_e32 v1, 24, v1
	s_delay_alu instid0(VALU_DEP_1) | instskip(NEXT) | instid1(VALU_DEP_1)
	v_and_b32_e32 v9, 0x7f000000, v1
	v_clz_i32_u32_e32 v12, v9
	v_cmp_ne_u32_e32 vcc_lo, 0, v9
	v_add_nc_u32_e32 v15, 0x1000000, v9
	s_delay_alu instid0(VALU_DEP_3) | instskip(NEXT) | instid1(VALU_DEP_1)
	v_min_u32_e32 v12, 32, v12
	v_sub_nc_u32_e64 v12, v12, 4 clamp
	s_delay_alu instid0(VALU_DEP_1) | instskip(NEXT) | instid1(VALU_DEP_1)
	v_dual_lshlrev_b32 v13, v12, v9 :: v_dual_lshlrev_b32 v12, 23, v12
	v_lshrrev_b32_e32 v13, 4, v13
	s_delay_alu instid0(VALU_DEP_1) | instskip(NEXT) | instid1(VALU_DEP_1)
	v_dual_sub_nc_u32 v12, v13, v12 :: v_dual_ashrrev_i32 v13, 8, v15
	v_add_nc_u32_e32 v12, 0x3c000000, v12
	s_delay_alu instid0(VALU_DEP_1) | instskip(NEXT) | instid1(VALU_DEP_1)
	v_and_or_b32 v12, 0x7f800000, v13, v12
	v_cndmask_b32_e32 v9, 0, v12, vcc_lo
	s_delay_alu instid0(VALU_DEP_1) | instskip(NEXT) | instid1(VALU_DEP_1)
	v_and_or_b32 v1, 0x80000000, v1, v9
	v_cvt_f64_f32_e32 v[12:13], v1
.LBB7_1496:
	s_mov_b32 s11, 0
.LBB7_1497:
	s_delay_alu instid0(SALU_CYCLE_1)
	s_and_not1_b32 vcc_lo, exec_lo, s11
	s_cbranch_vccnz .LBB7_1499
; %bb.1498:
	global_load_u8 v1, v[24:25], off
	s_wait_loadcnt 0x0
	v_lshlrev_b32_e32 v9, 25, v1
	v_lshlrev_b16 v1, 8, v1
	s_delay_alu instid0(VALU_DEP_2) | instskip(NEXT) | instid1(VALU_DEP_2)
	v_lshrrev_b32_e32 v12, 4, v9
	v_and_or_b32 v13, 0x7f00, v1, 0.5
	v_bfe_i32 v1, v1, 0, 16
	s_delay_alu instid0(VALU_DEP_3) | instskip(NEXT) | instid1(VALU_DEP_1)
	v_or_b32_e32 v12, 0x70000000, v12
	v_dual_add_f32 v13, -0.5, v13 :: v_dual_mul_f32 v12, 0x7800000, v12
	v_cmp_gt_u32_e32 vcc_lo, 0x8000000, v9
	s_delay_alu instid0(VALU_DEP_2) | instskip(NEXT) | instid1(VALU_DEP_1)
	v_cndmask_b32_e32 v9, v12, v13, vcc_lo
	v_and_or_b32 v1, 0x80000000, v1, v9
	s_delay_alu instid0(VALU_DEP_1)
	v_cvt_f64_f32_e32 v[12:13], v1
.LBB7_1499:
	s_mov_b32 s11, 0
	s_mov_b32 s12, -1
.LBB7_1500:
	s_and_not1_b32 vcc_lo, exec_lo, s11
	s_mov_b32 s11, 0
	s_cbranch_vccnz .LBB7_1511
; %bb.1501:
	s_cmp_gt_i32 s0, 14
	s_cbranch_scc0 .LBB7_1504
; %bb.1502:
	s_cmp_eq_u32 s0, 15
	s_cbranch_scc0 .LBB7_1507
; %bb.1503:
	global_load_u16 v1, v[24:25], off
	s_mov_b32 s10, 0
	s_mov_b32 s12, -1
	s_wait_loadcnt 0x0
	v_lshlrev_b32_e32 v1, 16, v1
	s_delay_alu instid0(VALU_DEP_1)
	v_cvt_f64_f32_e32 v[12:13], v1
	s_branch .LBB7_1509
.LBB7_1504:
	s_mov_b32 s11, -1
	s_branch .LBB7_1508
.LBB7_1505:
	s_or_saveexec_b32 s12, s12
	v_mov_b64_e32 v[12:13], 0x7ff8000020000000
	s_xor_b32 exec_lo, exec_lo, s12
	s_cbranch_execz .LBB7_1486
.LBB7_1506:
	v_cmp_ne_u16_e32 vcc_lo, 0, v1
	v_mov_b64_e32 v[12:13], 0
	s_and_not1_b32 s11, s11, exec_lo
	s_and_b32 s13, vcc_lo, exec_lo
	s_delay_alu instid0(SALU_CYCLE_1)
	s_or_b32 s11, s11, s13
	s_or_b32 exec_lo, exec_lo, s12
	s_and_saveexec_b32 s12, s11
	s_cbranch_execnz .LBB7_1487
	s_branch .LBB7_1488
.LBB7_1507:
	s_mov_b32 s10, -1
.LBB7_1508:
                                        ; implicit-def: $vgpr12_vgpr13
.LBB7_1509:
	s_and_b32 vcc_lo, exec_lo, s11
	s_mov_b32 s11, 0
	s_cbranch_vccz .LBB7_1511
; %bb.1510:
	s_cmp_lg_u32 s0, 11
	s_mov_b32 s11, -1
	s_cselect_b32 s10, -1, 0
.LBB7_1511:
	s_delay_alu instid0(SALU_CYCLE_1)
	s_and_b32 vcc_lo, exec_lo, s10
	s_cbranch_vccnz .LBB7_1578
; %bb.1512:
	s_and_not1_b32 vcc_lo, exec_lo, s11
	s_cbranch_vccnz .LBB7_1514
.LBB7_1513:
	global_load_u8 v1, v[24:25], off
	v_mov_b32_e32 v12, 0
	s_mov_b32 s12, -1
	s_wait_loadcnt 0x0
	v_cmp_ne_u16_e32 vcc_lo, 0, v1
	v_cndmask_b32_e64 v13, 0, 0x3ff00000, vcc_lo
.LBB7_1514:
	s_branch .LBB7_1441
.LBB7_1515:
	s_cmp_lt_i32 s0, 5
	s_cbranch_scc1 .LBB7_1520
; %bb.1516:
	s_cmp_lt_i32 s0, 8
	s_cbranch_scc1 .LBB7_1521
; %bb.1517:
	;; [unrolled: 3-line block ×3, first 2 shown]
	s_cmp_gt_i32 s0, 9
	s_cbranch_scc0 .LBB7_1523
; %bb.1519:
	global_load_b64 v[12:13], v[24:25], off
	s_mov_b32 s10, 0
	s_branch .LBB7_1524
.LBB7_1520:
	s_mov_b32 s10, -1
                                        ; implicit-def: $vgpr12_vgpr13
	s_branch .LBB7_1542
.LBB7_1521:
	s_mov_b32 s10, -1
                                        ; implicit-def: $vgpr12_vgpr13
	s_branch .LBB7_1530
.LBB7_1522:
	s_mov_b32 s10, -1
                                        ; implicit-def: $vgpr12_vgpr13
	s_branch .LBB7_1527
.LBB7_1523:
	s_mov_b32 s10, -1
                                        ; implicit-def: $vgpr12_vgpr13
.LBB7_1524:
	s_delay_alu instid0(SALU_CYCLE_1)
	s_and_not1_b32 vcc_lo, exec_lo, s10
	s_cbranch_vccnz .LBB7_1526
; %bb.1525:
	global_load_b32 v1, v[24:25], off
	s_wait_loadcnt 0x0
	v_cvt_f64_f32_e32 v[12:13], v1
.LBB7_1526:
	s_mov_b32 s10, 0
.LBB7_1527:
	s_delay_alu instid0(SALU_CYCLE_1)
	s_and_not1_b32 vcc_lo, exec_lo, s10
	s_cbranch_vccnz .LBB7_1529
; %bb.1528:
	global_load_b32 v1, v[24:25], off
	s_wait_loadcnt 0x0
	v_cvt_f32_f16_e32 v1, v1
	s_delay_alu instid0(VALU_DEP_1)
	v_cvt_f64_f32_e32 v[12:13], v1
.LBB7_1529:
	s_mov_b32 s10, 0
.LBB7_1530:
	s_delay_alu instid0(SALU_CYCLE_1)
	s_and_not1_b32 vcc_lo, exec_lo, s10
	s_cbranch_vccnz .LBB7_1541
; %bb.1531:
	s_cmp_lt_i32 s0, 6
	s_cbranch_scc1 .LBB7_1534
; %bb.1532:
	s_cmp_gt_i32 s0, 6
	s_cbranch_scc0 .LBB7_1535
; %bb.1533:
	s_wait_loadcnt 0x0
	global_load_b64 v[12:13], v[24:25], off
	s_mov_b32 s10, 0
	s_branch .LBB7_1536
.LBB7_1534:
	s_mov_b32 s10, -1
                                        ; implicit-def: $vgpr12_vgpr13
	s_branch .LBB7_1539
.LBB7_1535:
	s_mov_b32 s10, -1
                                        ; implicit-def: $vgpr12_vgpr13
.LBB7_1536:
	s_delay_alu instid0(SALU_CYCLE_1)
	s_and_not1_b32 vcc_lo, exec_lo, s10
	s_cbranch_vccnz .LBB7_1538
; %bb.1537:
	global_load_b32 v1, v[24:25], off
	s_wait_loadcnt 0x0
	v_cvt_f64_f32_e32 v[12:13], v1
.LBB7_1538:
	s_mov_b32 s10, 0
.LBB7_1539:
	s_delay_alu instid0(SALU_CYCLE_1)
	s_and_not1_b32 vcc_lo, exec_lo, s10
	s_cbranch_vccnz .LBB7_1541
; %bb.1540:
	global_load_u16 v1, v[24:25], off
	s_wait_loadcnt 0x0
	v_cvt_f32_f16_e32 v1, v1
	s_delay_alu instid0(VALU_DEP_1)
	v_cvt_f64_f32_e32 v[12:13], v1
.LBB7_1541:
	s_mov_b32 s10, 0
.LBB7_1542:
	s_delay_alu instid0(SALU_CYCLE_1)
	s_and_not1_b32 vcc_lo, exec_lo, s10
	s_cbranch_vccnz .LBB7_1562
; %bb.1543:
	s_cmp_lt_i32 s0, 2
	s_cbranch_scc1 .LBB7_1547
; %bb.1544:
	s_cmp_lt_i32 s0, 3
	s_cbranch_scc1 .LBB7_1548
; %bb.1545:
	s_cmp_gt_i32 s0, 3
	s_cbranch_scc0 .LBB7_1549
; %bb.1546:
	s_wait_loadcnt 0x0
	global_load_b64 v[12:13], v[24:25], off
	s_mov_b32 s10, 0
	s_wait_loadcnt 0x0
	v_cvt_f64_i32_e32 v[26:27], v13
	v_cvt_f64_u32_e32 v[12:13], v12
	s_delay_alu instid0(VALU_DEP_2) | instskip(NEXT) | instid1(VALU_DEP_1)
	v_ldexp_f64 v[26:27], v[26:27], 32
	v_add_f64_e32 v[12:13], v[26:27], v[12:13]
	s_branch .LBB7_1550
.LBB7_1547:
	s_mov_b32 s10, -1
                                        ; implicit-def: $vgpr12_vgpr13
	s_branch .LBB7_1556
.LBB7_1548:
	s_mov_b32 s10, -1
                                        ; implicit-def: $vgpr12_vgpr13
	s_branch .LBB7_1553
.LBB7_1549:
	s_mov_b32 s10, -1
                                        ; implicit-def: $vgpr12_vgpr13
.LBB7_1550:
	s_delay_alu instid0(SALU_CYCLE_1)
	s_and_not1_b32 vcc_lo, exec_lo, s10
	s_cbranch_vccnz .LBB7_1552
; %bb.1551:
	global_load_b32 v1, v[24:25], off
	s_wait_loadcnt 0x0
	v_cvt_f64_i32_e32 v[12:13], v1
.LBB7_1552:
	s_mov_b32 s10, 0
.LBB7_1553:
	s_delay_alu instid0(SALU_CYCLE_1)
	s_and_not1_b32 vcc_lo, exec_lo, s10
	s_cbranch_vccnz .LBB7_1555
; %bb.1554:
	global_load_i16 v1, v[24:25], off
	s_wait_loadcnt 0x0
	v_cvt_f64_i32_e32 v[12:13], v1
.LBB7_1555:
	s_mov_b32 s10, 0
.LBB7_1556:
	s_delay_alu instid0(SALU_CYCLE_1)
	s_and_not1_b32 vcc_lo, exec_lo, s10
	s_cbranch_vccnz .LBB7_1562
; %bb.1557:
	s_cmp_gt_i32 s0, 0
	s_mov_b32 s10, 0
	s_cbranch_scc0 .LBB7_1559
; %bb.1558:
	global_load_i8 v1, v[24:25], off
	s_wait_loadcnt 0x0
	v_cvt_f64_i32_e32 v[12:13], v1
	s_branch .LBB7_1560
.LBB7_1559:
	s_mov_b32 s10, -1
                                        ; implicit-def: $vgpr12_vgpr13
.LBB7_1560:
	s_delay_alu instid0(SALU_CYCLE_1)
	s_and_not1_b32 vcc_lo, exec_lo, s10
	s_cbranch_vccnz .LBB7_1562
; %bb.1561:
	global_load_u8 v1, v[24:25], off
	s_wait_loadcnt 0x0
	v_cvt_f64_u32_e32 v[12:13], v1
.LBB7_1562:
.LBB7_1563:
	s_wait_loadcnt 0x0
	s_delay_alu instid0(VALU_DEP_1) | instskip(SKIP_2) | instid1(SALU_CYCLE_1)
	v_cmp_ngt_f64_e64 s10, 0x41d00000, |v[12:13]|
                                        ; implicit-def: $vgpr32
                                        ; implicit-def: $vgpr24_vgpr25
                                        ; implicit-def: $vgpr26_vgpr27
	s_wait_xcnt 0x0
	s_and_saveexec_b32 s11, s10
	s_xor_b32 s10, exec_lo, s11
	s_cbranch_execz .LBB7_1565
; %bb.1564:
	v_ldexp_f64 v[24:25], |v[12:13]|, 0xffffff80
	v_cmp_le_f64_e64 vcc_lo, 0x7b000000, |v[12:13]|
	v_trig_preop_f64 v[26:27], |v[12:13]|, 0
	v_and_b32_e32 v1, 0x7fffffff, v13
	v_trig_preop_f64 v[28:29], |v[12:13]|, 1
	v_trig_preop_f64 v[38:39], |v[12:13]|, 2
	s_mov_b64 s[12:13], 0x3ff921fb54442d18
	s_delay_alu instid0(VALU_DEP_3) | instskip(SKIP_1) | instid1(VALU_DEP_1)
	v_dual_mov_b32 v46, 0 :: v_dual_cndmask_b32 v25, v1, v25
	v_cndmask_b32_e32 v24, v12, v24, vcc_lo
	v_mul_f64_e32 v[30:31], v[26:27], v[24:25]
	v_mul_f64_e32 v[32:33], v[28:29], v[24:25]
	v_mul_f64_e32 v[44:45], v[38:39], v[24:25]
	s_delay_alu instid0(VALU_DEP_3) | instskip(NEXT) | instid1(VALU_DEP_3)
	v_fma_f64 v[26:27], v[26:27], v[24:25], -v[30:31]
	v_fma_f64 v[28:29], v[28:29], v[24:25], -v[32:33]
	s_delay_alu instid0(VALU_DEP_3) | instskip(NEXT) | instid1(VALU_DEP_3)
	v_fma_f64 v[24:25], v[38:39], v[24:25], -v[44:45]
	v_add_f64_e32 v[34:35], v[32:33], v[26:27]
	s_delay_alu instid0(VALU_DEP_1) | instskip(SKIP_1) | instid1(VALU_DEP_2)
	v_add_f64_e64 v[36:37], v[34:35], -v[32:33]
	v_add_f64_e32 v[42:43], v[30:31], v[34:35]
	v_add_f64_e64 v[40:41], v[34:35], -v[36:37]
	v_add_f64_e64 v[26:27], v[26:27], -v[36:37]
	s_delay_alu instid0(VALU_DEP_3) | instskip(NEXT) | instid1(VALU_DEP_3)
	v_ldexp_f64 v[36:37], v[42:43], -2
	v_add_f64_e64 v[32:33], v[32:33], -v[40:41]
	v_add_f64_e32 v[40:41], v[44:45], v[28:29]
	s_delay_alu instid0(VALU_DEP_3) | instskip(NEXT) | instid1(VALU_DEP_3)
	v_cmp_neq_f64_e64 vcc_lo, 0x7ff00000, |v[36:37]|
	v_add_f64_e32 v[26:27], v[26:27], v[32:33]
	v_fract_f64_e32 v[32:33], v[36:37]
	s_delay_alu instid0(VALU_DEP_1) | instskip(NEXT) | instid1(VALU_DEP_1)
	v_ldexp_f64 v[32:33], v[32:33], 2
	v_dual_add_f64 v[30:31], v[42:43], -v[30:31] :: v_dual_cndmask_b32 v32, 0, v32, vcc_lo
	s_delay_alu instid0(VALU_DEP_1) | instskip(SKIP_1) | instid1(VALU_DEP_1)
	v_dual_add_f64 v[30:31], v[34:35], -v[30:31] :: v_dual_cndmask_b32 v33, 0, v33, vcc_lo
	v_add_f64_e32 v[34:35], v[40:41], v[26:27]
	v_add_f64_e32 v[36:37], v[30:31], v[34:35]
	v_add_f64_e64 v[48:49], v[34:35], -v[40:41]
	s_delay_alu instid0(VALU_DEP_2) | instskip(NEXT) | instid1(VALU_DEP_2)
	v_add_f64_e32 v[42:43], v[36:37], v[32:33]
	v_add_f64_e64 v[54:55], v[34:35], -v[48:49]
	v_add_f64_e64 v[26:27], v[26:27], -v[48:49]
	;; [unrolled: 1-line block ×3, first 2 shown]
	s_delay_alu instid0(VALU_DEP_4) | instskip(SKIP_1) | instid1(VALU_DEP_3)
	v_cmp_gt_f64_e32 vcc_lo, 0, v[42:43]
	v_add_f64_e64 v[42:43], v[40:41], -v[44:45]
	v_add_f64_e64 v[30:31], v[34:35], -v[30:31]
	v_cndmask_b32_e64 v47, 0, 0x40100000, vcc_lo
	s_delay_alu instid0(VALU_DEP_3) | instskip(SKIP_2) | instid1(VALU_DEP_4)
	v_add_f64_e64 v[52:53], v[40:41], -v[42:43]
	v_add_f64_e64 v[28:29], v[28:29], -v[42:43]
	;; [unrolled: 1-line block ×3, first 2 shown]
	v_add_f64_e32 v[32:33], v[32:33], v[46:47]
	s_delay_alu instid0(VALU_DEP_4) | instskip(NEXT) | instid1(VALU_DEP_3)
	v_add_f64_e64 v[42:43], v[44:45], -v[52:53]
	v_add_f64_e32 v[26:27], v[26:27], v[40:41]
	s_delay_alu instid0(VALU_DEP_3) | instskip(NEXT) | instid1(VALU_DEP_3)
	v_add_f64_e32 v[50:51], v[36:37], v[32:33]
	v_add_f64_e32 v[28:29], v[28:29], v[42:43]
	s_delay_alu instid0(VALU_DEP_2) | instskip(NEXT) | instid1(VALU_DEP_2)
	v_cvt_i32_f64_e32 v1, v[50:51]
	v_add_f64_e32 v[26:27], v[28:29], v[26:27]
	s_delay_alu instid0(VALU_DEP_2) | instskip(NEXT) | instid1(VALU_DEP_2)
	v_cvt_f64_i32_e32 v[48:49], v1
	v_add_f64_e32 v[24:25], v[24:25], v[26:27]
	s_delay_alu instid0(VALU_DEP_2) | instskip(NEXT) | instid1(VALU_DEP_2)
	v_add_f64_e64 v[32:33], v[32:33], -v[48:49]
	v_add_f64_e32 v[24:25], v[30:31], v[24:25]
	s_delay_alu instid0(VALU_DEP_2) | instskip(NEXT) | instid1(VALU_DEP_1)
	v_add_f64_e32 v[28:29], v[36:37], v[32:33]
	v_add_f64_e64 v[26:27], v[28:29], -v[32:33]
	v_cmp_le_f64_e32 vcc_lo, 0.5, v[28:29]
	s_delay_alu instid0(VALU_DEP_2) | instskip(SKIP_2) | instid1(VALU_DEP_3)
	v_add_f64_e64 v[26:27], v[36:37], -v[26:27]
	v_cndmask_b32_e64 v47, 0, 0x3ff00000, vcc_lo
	v_add_co_ci_u32_e64 v32, null, 0, v1, vcc_lo
	v_add_f64_e32 v[24:25], v[24:25], v[26:27]
	s_delay_alu instid0(VALU_DEP_3) | instskip(NEXT) | instid1(VALU_DEP_1)
	v_add_f64_e64 v[26:27], v[28:29], -v[46:47]
	v_add_f64_e32 v[28:29], v[26:27], v[24:25]
	s_delay_alu instid0(VALU_DEP_1) | instskip(SKIP_1) | instid1(VALU_DEP_2)
	v_mul_f64_e32 v[30:31], 0x3ff921fb54442d18, v[28:29]
	v_add_f64_e64 v[26:27], v[28:29], -v[26:27]
	v_fma_f64 v[34:35], v[28:29], s[12:13], -v[30:31]
	s_delay_alu instid0(VALU_DEP_2) | instskip(NEXT) | instid1(VALU_DEP_2)
	v_add_f64_e64 v[24:25], v[24:25], -v[26:27]
	v_fmamk_f64 v[26:27], v[28:29], 0x3c91a62633145c07, v[34:35]
	s_delay_alu instid0(VALU_DEP_1) | instskip(NEXT) | instid1(VALU_DEP_1)
	v_fmac_f64_e32 v[26:27], 0x3ff921fb54442d18, v[24:25]
	v_add_f64_e32 v[24:25], v[30:31], v[26:27]
	s_delay_alu instid0(VALU_DEP_1) | instskip(NEXT) | instid1(VALU_DEP_1)
	v_add_f64_e64 v[28:29], v[24:25], -v[30:31]
	v_add_f64_e64 v[26:27], v[26:27], -v[28:29]
.LBB7_1565:
	s_and_not1_saveexec_b32 s10, s10
	s_cbranch_execz .LBB7_1567
; %bb.1566:
	s_mov_b64 s[12:13], 0x3fe45f306dc9c883
	s_delay_alu instid0(SALU_CYCLE_1) | instskip(SKIP_1) | instid1(VALU_DEP_1)
	v_mul_f64_e64 v[24:25], |v[12:13]|, s[12:13]
	s_mov_b64 s[12:13], 0xbff921fb54442d18
	v_rndne_f64_e32 v[28:29], v[24:25]
	s_delay_alu instid0(VALU_DEP_1) | instskip(SKIP_1) | instid1(VALU_DEP_2)
	v_fma_f64 v[24:25], v[28:29], s[12:13], |v[12:13]|
	v_mul_f64_e32 v[26:27], 0xbc91a62633145c00, v[28:29]
	v_fmamk_f64 v[34:35], v[28:29], 0xbc91a62633145c00, v[24:25]
	s_delay_alu instid0(VALU_DEP_2) | instskip(NEXT) | instid1(VALU_DEP_1)
	v_add_f64_e32 v[30:31], v[24:25], v[26:27]
	v_add_f64_e64 v[32:33], v[24:25], -v[30:31]
	s_delay_alu instid0(VALU_DEP_3) | instskip(NEXT) | instid1(VALU_DEP_2)
	v_add_f64_e64 v[24:25], v[30:31], -v[34:35]
	v_add_f64_e32 v[30:31], v[32:33], v[26:27]
	v_fmamk_f64 v[26:27], v[28:29], 0x3c91a62633145c00, v[26:27]
	v_cvt_i32_f64_e32 v32, v[28:29]
	s_delay_alu instid0(VALU_DEP_3) | instskip(NEXT) | instid1(VALU_DEP_1)
	v_add_f64_e32 v[24:25], v[24:25], v[30:31]
	v_add_f64_e64 v[24:25], v[24:25], -v[26:27]
	s_delay_alu instid0(VALU_DEP_1) | instskip(NEXT) | instid1(VALU_DEP_1)
	v_fmamk_f64 v[26:27], v[28:29], 0xb97b839a252049c0, v[24:25]
	v_add_f64_e32 v[24:25], v[34:35], v[26:27]
	s_delay_alu instid0(VALU_DEP_1) | instskip(NEXT) | instid1(VALU_DEP_1)
	v_add_f64_e64 v[30:31], v[24:25], -v[34:35]
	v_add_f64_e64 v[26:27], v[26:27], -v[30:31]
.LBB7_1567:
	s_or_b32 exec_lo, exec_lo, s10
	v_mov_b32_e32 v15, 0
	s_cmp_lt_i32 s0, 11
	s_delay_alu instid0(VALU_DEP_1)
	v_add_nc_u64_e32 v[28:29], s[6:7], v[14:15]
	s_cbranch_scc1 .LBB7_1574
; %bb.1568:
	s_cmp_gt_i32 s0, 25
	s_mov_b32 s7, 0
	s_cbranch_scc0 .LBB7_1575
; %bb.1569:
	s_cmp_gt_i32 s0, 28
	s_cbranch_scc0 .LBB7_1576
; %bb.1570:
	s_cmp_gt_i32 s0, 43
	;; [unrolled: 3-line block ×3, first 2 shown]
	s_cbranch_scc0 .LBB7_1579
; %bb.1572:
	s_cmp_eq_u32 s0, 46
	s_mov_b32 s11, 0
	s_cbranch_scc0 .LBB7_1580
; %bb.1573:
	global_load_b32 v1, v[28:29], off
	s_mov_b32 s6, 0
	s_mov_b32 s10, -1
	s_wait_loadcnt 0x0
	v_lshlrev_b32_e32 v1, 16, v1
	s_delay_alu instid0(VALU_DEP_1)
	v_cvt_f64_f32_e32 v[14:15], v1
	s_branch .LBB7_1582
.LBB7_1574:
	s_mov_b32 s6, -1
	s_mov_b32 s10, 0
                                        ; implicit-def: $vgpr14_vgpr15
	s_branch .LBB7_1648
.LBB7_1575:
	s_mov_b32 s11, -1
	s_mov_b32 s10, 0
	s_mov_b32 s6, 0
                                        ; implicit-def: $vgpr14_vgpr15
	s_branch .LBB7_1611
.LBB7_1576:
	s_mov_b32 s11, -1
	s_mov_b32 s10, 0
	s_mov_b32 s6, 0
                                        ; implicit-def: $vgpr14_vgpr15
	s_branch .LBB7_1592
.LBB7_1577:
	s_mov_b32 s11, -1
	s_mov_b32 s10, 0
	s_mov_b32 s6, 0
                                        ; implicit-def: $vgpr14_vgpr15
	s_branch .LBB7_1587
.LBB7_1578:
	s_or_b32 s1, s1, exec_lo
	s_trap 2
	s_cbranch_execz .LBB7_1513
	s_branch .LBB7_1514
.LBB7_1579:
	s_mov_b32 s11, -1
	s_mov_b32 s10, 0
	s_mov_b32 s6, 0
	s_branch .LBB7_1581
.LBB7_1580:
	s_mov_b32 s6, -1
	s_mov_b32 s10, 0
.LBB7_1581:
                                        ; implicit-def: $vgpr14_vgpr15
.LBB7_1582:
	s_and_b32 vcc_lo, exec_lo, s11
	s_cbranch_vccz .LBB7_1586
; %bb.1583:
	s_cmp_eq_u32 s0, 44
	s_cbranch_scc0 .LBB7_1585
; %bb.1584:
	global_load_u8 v1, v[28:29], off
	s_mov_b32 s6, 0
	s_mov_b32 s10, -1
	s_wait_loadcnt 0x0
	v_cmp_ne_u32_e32 vcc_lo, 0xff, v1
	v_lshlrev_b32_e32 v9, 23, v1
	s_delay_alu instid0(VALU_DEP_1) | instskip(NEXT) | instid1(VALU_DEP_1)
	v_cvt_f64_f32_e32 v[14:15], v9
	v_cndmask_b32_e32 v9, 0x20000000, v14, vcc_lo
	s_delay_alu instid0(VALU_DEP_2) | instskip(SKIP_1) | instid1(VALU_DEP_2)
	v_cndmask_b32_e32 v14, 0x7ff80000, v15, vcc_lo
	v_cmp_ne_u32_e32 vcc_lo, 0, v1
	v_cndmask_b32_e32 v15, 0x38000000, v14, vcc_lo
	s_delay_alu instid0(VALU_DEP_4)
	v_cndmask_b32_e32 v14, 0, v9, vcc_lo
	s_branch .LBB7_1586
.LBB7_1585:
	s_mov_b32 s6, -1
                                        ; implicit-def: $vgpr14_vgpr15
.LBB7_1586:
	s_mov_b32 s11, 0
.LBB7_1587:
	s_delay_alu instid0(SALU_CYCLE_1)
	s_and_b32 vcc_lo, exec_lo, s11
	s_cbranch_vccz .LBB7_1591
; %bb.1588:
	s_cmp_eq_u32 s0, 29
	s_cbranch_scc0 .LBB7_1590
; %bb.1589:
	global_load_b64 v[14:15], v[28:29], off
	s_mov_b32 s6, 0
	s_mov_b32 s10, -1
	s_mov_b32 s11, 0
	s_wait_loadcnt 0x0
	v_cvt_f64_u32_e32 v[30:31], v15
	v_cvt_f64_u32_e32 v[14:15], v14
	s_delay_alu instid0(VALU_DEP_2) | instskip(NEXT) | instid1(VALU_DEP_1)
	v_ldexp_f64 v[30:31], v[30:31], 32
	v_add_f64_e32 v[14:15], v[30:31], v[14:15]
	s_branch .LBB7_1592
.LBB7_1590:
	s_mov_b32 s6, -1
                                        ; implicit-def: $vgpr14_vgpr15
.LBB7_1591:
	s_mov_b32 s11, 0
.LBB7_1592:
	s_delay_alu instid0(SALU_CYCLE_1)
	s_and_b32 vcc_lo, exec_lo, s11
	s_cbranch_vccz .LBB7_1610
; %bb.1593:
	s_cmp_lt_i32 s0, 27
	s_cbranch_scc1 .LBB7_1596
; %bb.1594:
	s_cmp_gt_i32 s0, 27
	s_cbranch_scc0 .LBB7_1597
; %bb.1595:
	global_load_b32 v1, v[28:29], off
	s_mov_b32 s10, 0
	s_wait_loadcnt 0x0
	v_cvt_f64_u32_e32 v[14:15], v1
	s_branch .LBB7_1598
.LBB7_1596:
	s_mov_b32 s10, -1
                                        ; implicit-def: $vgpr14_vgpr15
	s_branch .LBB7_1601
.LBB7_1597:
	s_mov_b32 s10, -1
                                        ; implicit-def: $vgpr14_vgpr15
.LBB7_1598:
	s_delay_alu instid0(SALU_CYCLE_1)
	s_and_not1_b32 vcc_lo, exec_lo, s10
	s_cbranch_vccnz .LBB7_1600
; %bb.1599:
	global_load_u16 v1, v[28:29], off
	s_wait_loadcnt 0x0
	v_cvt_f64_u32_e32 v[14:15], v1
.LBB7_1600:
	s_mov_b32 s10, 0
.LBB7_1601:
	s_delay_alu instid0(SALU_CYCLE_1)
	s_and_not1_b32 vcc_lo, exec_lo, s10
	s_cbranch_vccnz .LBB7_1609
; %bb.1602:
	global_load_u8 v1, v[28:29], off
	s_mov_b32 s10, 0
	s_mov_b32 s11, exec_lo
	s_wait_loadcnt 0x0
	v_cmpx_lt_i16_e32 0x7f, v1
	s_xor_b32 s11, exec_lo, s11
	s_cbranch_execz .LBB7_1623
; %bb.1603:
	s_mov_b32 s10, -1
	s_mov_b32 s12, exec_lo
	v_cmpx_eq_u16_e32 0x80, v1
; %bb.1604:
	s_xor_b32 s10, exec_lo, -1
; %bb.1605:
	s_or_b32 exec_lo, exec_lo, s12
	s_delay_alu instid0(SALU_CYCLE_1)
	s_and_b32 s10, s10, exec_lo
	s_or_saveexec_b32 s11, s11
	v_mov_b64_e32 v[14:15], 0x7ff8000020000000
	s_xor_b32 exec_lo, exec_lo, s11
	s_cbranch_execnz .LBB7_1624
.LBB7_1606:
	s_or_b32 exec_lo, exec_lo, s11
	s_and_saveexec_b32 s11, s10
	s_cbranch_execz .LBB7_1608
.LBB7_1607:
	v_and_b32_e32 v9, 0xffff, v1
	s_delay_alu instid0(VALU_DEP_1) | instskip(SKIP_1) | instid1(VALU_DEP_2)
	v_and_b32_e32 v14, 7, v9
	v_bfe_u32 v31, v9, 3, 4
	v_clz_i32_u32_e32 v15, v14
	s_delay_alu instid0(VALU_DEP_2) | instskip(NEXT) | instid1(VALU_DEP_2)
	v_cmp_eq_u32_e32 vcc_lo, 0, v31
	v_min_u32_e32 v15, 32, v15
	s_delay_alu instid0(VALU_DEP_1) | instskip(NEXT) | instid1(VALU_DEP_1)
	v_subrev_nc_u32_e32 v30, 28, v15
	v_dual_lshlrev_b32 v9, v30, v9 :: v_dual_sub_nc_u32 v15, 29, v15
	s_delay_alu instid0(VALU_DEP_1) | instskip(NEXT) | instid1(VALU_DEP_2)
	v_and_b32_e32 v9, 7, v9
	v_dual_lshlrev_b32 v1, 24, v1 :: v_dual_cndmask_b32 v15, v31, v15, vcc_lo
	s_delay_alu instid0(VALU_DEP_2) | instskip(NEXT) | instid1(VALU_DEP_2)
	v_cndmask_b32_e32 v9, v14, v9, vcc_lo
	v_and_b32_e32 v1, 0x80000000, v1
	s_delay_alu instid0(VALU_DEP_3) | instskip(NEXT) | instid1(VALU_DEP_3)
	v_lshl_add_u32 v14, v15, 23, 0x3b800000
	v_lshlrev_b32_e32 v9, 20, v9
	s_delay_alu instid0(VALU_DEP_1) | instskip(NEXT) | instid1(VALU_DEP_1)
	v_or3_b32 v1, v1, v14, v9
	v_cvt_f64_f32_e32 v[14:15], v1
.LBB7_1608:
	s_or_b32 exec_lo, exec_lo, s11
.LBB7_1609:
	s_mov_b32 s10, -1
.LBB7_1610:
	s_mov_b32 s11, 0
.LBB7_1611:
	s_delay_alu instid0(SALU_CYCLE_1)
	s_and_b32 vcc_lo, exec_lo, s11
	s_cbranch_vccz .LBB7_1644
; %bb.1612:
	s_cmp_gt_i32 s0, 22
	s_cbranch_scc0 .LBB7_1622
; %bb.1613:
	s_cmp_lt_i32 s0, 24
	s_cbranch_scc1 .LBB7_1625
; %bb.1614:
	s_cmp_gt_i32 s0, 24
	s_cbranch_scc0 .LBB7_1626
; %bb.1615:
	global_load_u8 v1, v[28:29], off
	s_mov_b32 s10, exec_lo
	s_wait_loadcnt 0x0
	v_cmpx_lt_i16_e32 0x7f, v1
	s_xor_b32 s10, exec_lo, s10
	s_cbranch_execz .LBB7_1638
; %bb.1616:
	s_mov_b32 s7, -1
	s_mov_b32 s11, exec_lo
	v_cmpx_eq_u16_e32 0x80, v1
; %bb.1617:
	s_xor_b32 s7, exec_lo, -1
; %bb.1618:
	s_or_b32 exec_lo, exec_lo, s11
	s_delay_alu instid0(SALU_CYCLE_1)
	s_and_b32 s7, s7, exec_lo
	s_or_saveexec_b32 s10, s10
	v_mov_b64_e32 v[14:15], 0x7ff8000020000000
	s_xor_b32 exec_lo, exec_lo, s10
	s_cbranch_execnz .LBB7_1639
.LBB7_1619:
	s_or_b32 exec_lo, exec_lo, s10
	s_and_saveexec_b32 s10, s7
	s_cbranch_execz .LBB7_1621
.LBB7_1620:
	v_and_b32_e32 v9, 0xffff, v1
	s_delay_alu instid0(VALU_DEP_1) | instskip(SKIP_1) | instid1(VALU_DEP_2)
	v_and_b32_e32 v14, 3, v9
	v_bfe_u32 v31, v9, 2, 5
	v_clz_i32_u32_e32 v15, v14
	s_delay_alu instid0(VALU_DEP_2) | instskip(NEXT) | instid1(VALU_DEP_2)
	v_cmp_eq_u32_e32 vcc_lo, 0, v31
	v_min_u32_e32 v15, 32, v15
	s_delay_alu instid0(VALU_DEP_1) | instskip(NEXT) | instid1(VALU_DEP_1)
	v_subrev_nc_u32_e32 v30, 29, v15
	v_dual_lshlrev_b32 v9, v30, v9 :: v_dual_sub_nc_u32 v15, 30, v15
	s_delay_alu instid0(VALU_DEP_1) | instskip(NEXT) | instid1(VALU_DEP_2)
	v_and_b32_e32 v9, 3, v9
	v_dual_lshlrev_b32 v1, 24, v1 :: v_dual_cndmask_b32 v15, v31, v15, vcc_lo
	s_delay_alu instid0(VALU_DEP_2) | instskip(NEXT) | instid1(VALU_DEP_2)
	v_cndmask_b32_e32 v9, v14, v9, vcc_lo
	v_and_b32_e32 v1, 0x80000000, v1
	s_delay_alu instid0(VALU_DEP_3) | instskip(NEXT) | instid1(VALU_DEP_3)
	v_lshl_add_u32 v14, v15, 23, 0x37800000
	v_lshlrev_b32_e32 v9, 21, v9
	s_delay_alu instid0(VALU_DEP_1) | instskip(NEXT) | instid1(VALU_DEP_1)
	v_or3_b32 v1, v1, v14, v9
	v_cvt_f64_f32_e32 v[14:15], v1
.LBB7_1621:
	s_or_b32 exec_lo, exec_lo, s10
	s_mov_b32 s7, 0
	s_branch .LBB7_1627
.LBB7_1622:
	s_mov_b32 s7, -1
                                        ; implicit-def: $vgpr14_vgpr15
	s_branch .LBB7_1633
.LBB7_1623:
	s_or_saveexec_b32 s11, s11
	v_mov_b64_e32 v[14:15], 0x7ff8000020000000
	s_xor_b32 exec_lo, exec_lo, s11
	s_cbranch_execz .LBB7_1606
.LBB7_1624:
	v_cmp_ne_u16_e32 vcc_lo, 0, v1
	v_mov_b64_e32 v[14:15], 0
	s_and_not1_b32 s10, s10, exec_lo
	s_and_b32 s12, vcc_lo, exec_lo
	s_delay_alu instid0(SALU_CYCLE_1)
	s_or_b32 s10, s10, s12
	s_or_b32 exec_lo, exec_lo, s11
	s_and_saveexec_b32 s11, s10
	s_cbranch_execnz .LBB7_1607
	s_branch .LBB7_1608
.LBB7_1625:
	s_mov_b32 s7, -1
                                        ; implicit-def: $vgpr14_vgpr15
	s_branch .LBB7_1630
.LBB7_1626:
	s_mov_b32 s7, -1
                                        ; implicit-def: $vgpr14_vgpr15
.LBB7_1627:
	s_delay_alu instid0(SALU_CYCLE_1)
	s_and_b32 vcc_lo, exec_lo, s7
	s_cbranch_vccz .LBB7_1629
; %bb.1628:
	global_load_u8 v1, v[28:29], off
	s_wait_loadcnt 0x0
	v_lshlrev_b32_e32 v1, 24, v1
	s_delay_alu instid0(VALU_DEP_1) | instskip(NEXT) | instid1(VALU_DEP_1)
	v_and_b32_e32 v9, 0x7f000000, v1
	v_clz_i32_u32_e32 v14, v9
	v_cmp_ne_u32_e32 vcc_lo, 0, v9
	v_add_nc_u32_e32 v30, 0x1000000, v9
	s_delay_alu instid0(VALU_DEP_3) | instskip(NEXT) | instid1(VALU_DEP_1)
	v_min_u32_e32 v14, 32, v14
	v_sub_nc_u32_e64 v14, v14, 4 clamp
	s_delay_alu instid0(VALU_DEP_1) | instskip(NEXT) | instid1(VALU_DEP_1)
	v_dual_lshlrev_b32 v15, v14, v9 :: v_dual_lshlrev_b32 v14, 23, v14
	v_lshrrev_b32_e32 v15, 4, v15
	s_delay_alu instid0(VALU_DEP_1) | instskip(SKIP_1) | instid1(VALU_DEP_2)
	v_sub_nc_u32_e32 v14, v15, v14
	v_ashrrev_i32_e32 v15, 8, v30
	v_add_nc_u32_e32 v14, 0x3c000000, v14
	s_delay_alu instid0(VALU_DEP_1) | instskip(NEXT) | instid1(VALU_DEP_1)
	v_and_or_b32 v14, 0x7f800000, v15, v14
	v_cndmask_b32_e32 v9, 0, v14, vcc_lo
	s_delay_alu instid0(VALU_DEP_1) | instskip(NEXT) | instid1(VALU_DEP_1)
	v_and_or_b32 v1, 0x80000000, v1, v9
	v_cvt_f64_f32_e32 v[14:15], v1
.LBB7_1629:
	s_mov_b32 s7, 0
.LBB7_1630:
	s_delay_alu instid0(SALU_CYCLE_1)
	s_and_not1_b32 vcc_lo, exec_lo, s7
	s_cbranch_vccnz .LBB7_1632
; %bb.1631:
	global_load_u8 v1, v[28:29], off
	s_wait_loadcnt 0x0
	v_lshlrev_b32_e32 v9, 25, v1
	v_lshlrev_b16 v1, 8, v1
	s_delay_alu instid0(VALU_DEP_1) | instskip(SKIP_1) | instid1(VALU_DEP_2)
	v_and_or_b32 v15, 0x7f00, v1, 0.5
	v_bfe_i32 v1, v1, 0, 16
	v_dual_add_f32 v15, -0.5, v15 :: v_dual_lshrrev_b32 v14, 4, v9
	v_cmp_gt_u32_e32 vcc_lo, 0x8000000, v9
	s_delay_alu instid0(VALU_DEP_2) | instskip(NEXT) | instid1(VALU_DEP_1)
	v_or_b32_e32 v14, 0x70000000, v14
	v_mul_f32_e32 v14, 0x7800000, v14
	s_delay_alu instid0(VALU_DEP_1) | instskip(NEXT) | instid1(VALU_DEP_1)
	v_cndmask_b32_e32 v9, v14, v15, vcc_lo
	v_and_or_b32 v1, 0x80000000, v1, v9
	s_delay_alu instid0(VALU_DEP_1)
	v_cvt_f64_f32_e32 v[14:15], v1
.LBB7_1632:
	s_mov_b32 s7, 0
	s_mov_b32 s10, -1
.LBB7_1633:
	s_and_not1_b32 vcc_lo, exec_lo, s7
	s_mov_b32 s7, 0
	s_cbranch_vccnz .LBB7_1644
; %bb.1634:
	s_cmp_gt_i32 s0, 14
	s_cbranch_scc0 .LBB7_1637
; %bb.1635:
	s_cmp_eq_u32 s0, 15
	s_cbranch_scc0 .LBB7_1640
; %bb.1636:
	global_load_u16 v1, v[28:29], off
	s_mov_b32 s6, 0
	s_mov_b32 s10, -1
	s_wait_loadcnt 0x0
	v_lshlrev_b32_e32 v1, 16, v1
	s_delay_alu instid0(VALU_DEP_1)
	v_cvt_f64_f32_e32 v[14:15], v1
	s_branch .LBB7_1642
.LBB7_1637:
	s_mov_b32 s7, -1
	s_branch .LBB7_1641
.LBB7_1638:
	s_or_saveexec_b32 s10, s10
	v_mov_b64_e32 v[14:15], 0x7ff8000020000000
	s_xor_b32 exec_lo, exec_lo, s10
	s_cbranch_execz .LBB7_1619
.LBB7_1639:
	v_cmp_ne_u16_e32 vcc_lo, 0, v1
	v_mov_b64_e32 v[14:15], 0
	s_and_not1_b32 s7, s7, exec_lo
	s_and_b32 s11, vcc_lo, exec_lo
	s_delay_alu instid0(SALU_CYCLE_1)
	s_or_b32 s7, s7, s11
	s_or_b32 exec_lo, exec_lo, s10
	s_and_saveexec_b32 s10, s7
	s_cbranch_execnz .LBB7_1620
	s_branch .LBB7_1621
.LBB7_1640:
	s_mov_b32 s6, -1
.LBB7_1641:
                                        ; implicit-def: $vgpr14_vgpr15
.LBB7_1642:
	s_and_b32 vcc_lo, exec_lo, s7
	s_mov_b32 s7, 0
	s_cbranch_vccz .LBB7_1644
; %bb.1643:
	s_cmp_lg_u32 s0, 11
	s_mov_b32 s7, -1
	s_cselect_b32 s6, -1, 0
.LBB7_1644:
	s_delay_alu instid0(SALU_CYCLE_1)
	s_and_b32 vcc_lo, exec_lo, s6
	s_cbranch_vccnz .LBB7_2177
; %bb.1645:
	s_and_not1_b32 vcc_lo, exec_lo, s7
	s_cbranch_vccnz .LBB7_1647
.LBB7_1646:
	global_load_u8 v1, v[28:29], off
	v_mov_b32_e32 v14, 0
	s_mov_b32 s10, -1
	s_wait_loadcnt 0x0
	v_cmp_ne_u16_e32 vcc_lo, 0, v1
	v_cndmask_b32_e64 v15, 0, 0x3ff00000, vcc_lo
.LBB7_1647:
	s_mov_b32 s6, 0
.LBB7_1648:
	s_delay_alu instid0(SALU_CYCLE_1)
	s_and_b32 vcc_lo, exec_lo, s6
	s_cbranch_vccz .LBB7_1697
; %bb.1649:
	s_cmp_lt_i32 s0, 5
	s_cbranch_scc1 .LBB7_1654
; %bb.1650:
	s_cmp_lt_i32 s0, 8
	s_cbranch_scc1 .LBB7_1655
	;; [unrolled: 3-line block ×3, first 2 shown]
; %bb.1652:
	s_cmp_gt_i32 s0, 9
	s_cbranch_scc0 .LBB7_1657
; %bb.1653:
	global_load_b64 v[14:15], v[28:29], off
	s_mov_b32 s6, 0
	s_branch .LBB7_1658
.LBB7_1654:
	s_mov_b32 s6, -1
                                        ; implicit-def: $vgpr14_vgpr15
	s_branch .LBB7_1676
.LBB7_1655:
	s_mov_b32 s6, -1
                                        ; implicit-def: $vgpr14_vgpr15
	s_branch .LBB7_1664
.LBB7_1656:
	s_mov_b32 s6, -1
                                        ; implicit-def: $vgpr14_vgpr15
	s_branch .LBB7_1661
.LBB7_1657:
	s_mov_b32 s6, -1
                                        ; implicit-def: $vgpr14_vgpr15
.LBB7_1658:
	s_delay_alu instid0(SALU_CYCLE_1)
	s_and_not1_b32 vcc_lo, exec_lo, s6
	s_cbranch_vccnz .LBB7_1660
; %bb.1659:
	global_load_b32 v1, v[28:29], off
	s_wait_loadcnt 0x0
	v_cvt_f64_f32_e32 v[14:15], v1
.LBB7_1660:
	s_mov_b32 s6, 0
.LBB7_1661:
	s_delay_alu instid0(SALU_CYCLE_1)
	s_and_not1_b32 vcc_lo, exec_lo, s6
	s_cbranch_vccnz .LBB7_1663
; %bb.1662:
	global_load_b32 v1, v[28:29], off
	s_wait_loadcnt 0x0
	v_cvt_f32_f16_e32 v1, v1
	s_delay_alu instid0(VALU_DEP_1)
	v_cvt_f64_f32_e32 v[14:15], v1
.LBB7_1663:
	s_mov_b32 s6, 0
.LBB7_1664:
	s_delay_alu instid0(SALU_CYCLE_1)
	s_and_not1_b32 vcc_lo, exec_lo, s6
	s_cbranch_vccnz .LBB7_1675
; %bb.1665:
	s_cmp_lt_i32 s0, 6
	s_cbranch_scc1 .LBB7_1668
; %bb.1666:
	s_cmp_gt_i32 s0, 6
	s_cbranch_scc0 .LBB7_1669
; %bb.1667:
	s_wait_loadcnt 0x0
	global_load_b64 v[14:15], v[28:29], off
	s_mov_b32 s6, 0
	s_branch .LBB7_1670
.LBB7_1668:
	s_mov_b32 s6, -1
                                        ; implicit-def: $vgpr14_vgpr15
	s_branch .LBB7_1673
.LBB7_1669:
	s_mov_b32 s6, -1
                                        ; implicit-def: $vgpr14_vgpr15
.LBB7_1670:
	s_delay_alu instid0(SALU_CYCLE_1)
	s_and_not1_b32 vcc_lo, exec_lo, s6
	s_cbranch_vccnz .LBB7_1672
; %bb.1671:
	global_load_b32 v1, v[28:29], off
	s_wait_loadcnt 0x0
	v_cvt_f64_f32_e32 v[14:15], v1
.LBB7_1672:
	s_mov_b32 s6, 0
.LBB7_1673:
	s_delay_alu instid0(SALU_CYCLE_1)
	s_and_not1_b32 vcc_lo, exec_lo, s6
	s_cbranch_vccnz .LBB7_1675
; %bb.1674:
	global_load_u16 v1, v[28:29], off
	s_wait_loadcnt 0x0
	v_cvt_f32_f16_e32 v1, v1
	s_delay_alu instid0(VALU_DEP_1)
	v_cvt_f64_f32_e32 v[14:15], v1
.LBB7_1675:
	s_mov_b32 s6, 0
.LBB7_1676:
	s_delay_alu instid0(SALU_CYCLE_1)
	s_and_not1_b32 vcc_lo, exec_lo, s6
	s_cbranch_vccnz .LBB7_1696
; %bb.1677:
	s_cmp_lt_i32 s0, 2
	s_cbranch_scc1 .LBB7_1681
; %bb.1678:
	s_cmp_lt_i32 s0, 3
	s_cbranch_scc1 .LBB7_1682
; %bb.1679:
	s_cmp_gt_i32 s0, 3
	s_cbranch_scc0 .LBB7_1683
; %bb.1680:
	s_wait_loadcnt 0x0
	global_load_b64 v[14:15], v[28:29], off
	s_mov_b32 s6, 0
	s_wait_loadcnt 0x0
	v_cvt_f64_i32_e32 v[30:31], v15
	v_cvt_f64_u32_e32 v[14:15], v14
	s_delay_alu instid0(VALU_DEP_2) | instskip(NEXT) | instid1(VALU_DEP_1)
	v_ldexp_f64 v[30:31], v[30:31], 32
	v_add_f64_e32 v[14:15], v[30:31], v[14:15]
	s_branch .LBB7_1684
.LBB7_1681:
	s_mov_b32 s6, -1
                                        ; implicit-def: $vgpr14_vgpr15
	s_branch .LBB7_1690
.LBB7_1682:
	s_mov_b32 s6, -1
                                        ; implicit-def: $vgpr14_vgpr15
	s_branch .LBB7_1687
.LBB7_1683:
	s_mov_b32 s6, -1
                                        ; implicit-def: $vgpr14_vgpr15
.LBB7_1684:
	s_delay_alu instid0(SALU_CYCLE_1)
	s_and_not1_b32 vcc_lo, exec_lo, s6
	s_cbranch_vccnz .LBB7_1686
; %bb.1685:
	global_load_b32 v1, v[28:29], off
	s_wait_loadcnt 0x0
	v_cvt_f64_i32_e32 v[14:15], v1
.LBB7_1686:
	s_mov_b32 s6, 0
.LBB7_1687:
	s_delay_alu instid0(SALU_CYCLE_1)
	s_and_not1_b32 vcc_lo, exec_lo, s6
	s_cbranch_vccnz .LBB7_1689
; %bb.1688:
	global_load_i16 v1, v[28:29], off
	s_wait_loadcnt 0x0
	v_cvt_f64_i32_e32 v[14:15], v1
.LBB7_1689:
	s_mov_b32 s6, 0
.LBB7_1690:
	s_delay_alu instid0(SALU_CYCLE_1)
	s_and_not1_b32 vcc_lo, exec_lo, s6
	s_cbranch_vccnz .LBB7_1696
; %bb.1691:
	s_cmp_gt_i32 s0, 0
	s_mov_b32 s0, 0
	s_cbranch_scc0 .LBB7_1693
; %bb.1692:
	global_load_i8 v1, v[28:29], off
	s_wait_loadcnt 0x0
	v_cvt_f64_i32_e32 v[14:15], v1
	s_branch .LBB7_1694
.LBB7_1693:
	s_mov_b32 s0, -1
                                        ; implicit-def: $vgpr14_vgpr15
.LBB7_1694:
	s_delay_alu instid0(SALU_CYCLE_1)
	s_and_not1_b32 vcc_lo, exec_lo, s0
	s_cbranch_vccnz .LBB7_1696
; %bb.1695:
	global_load_u8 v1, v[28:29], off
	s_wait_loadcnt 0x0
	v_cvt_f64_u32_e32 v[14:15], v1
.LBB7_1696:
	s_mov_b32 s10, -1
.LBB7_1697:
	s_delay_alu instid0(SALU_CYCLE_1)
	s_and_not1_b32 vcc_lo, exec_lo, s10
	s_cbranch_vccnz .LBB7_2132
; %bb.1698:
	s_wait_loadcnt 0x0
	s_delay_alu instid0(VALU_DEP_1) | instskip(SKIP_2) | instid1(SALU_CYCLE_1)
	v_cmp_ngt_f64_e64 s0, 0x41d00000, |v[14:15]|
                                        ; implicit-def: $vgpr33
                                        ; implicit-def: $vgpr28_vgpr29
                                        ; implicit-def: $vgpr30_vgpr31
	s_wait_xcnt 0x0
	s_and_saveexec_b32 s6, s0
	s_xor_b32 s0, exec_lo, s6
	s_cbranch_execz .LBB7_1700
; %bb.1699:
	v_ldexp_f64 v[28:29], |v[14:15]|, 0xffffff80
	v_cmp_le_f64_e64 vcc_lo, 0x7b000000, |v[14:15]|
	v_trig_preop_f64 v[30:31], |v[14:15]|, 0
	v_and_b32_e32 v1, 0x7fffffff, v15
	v_trig_preop_f64 v[34:35], |v[14:15]|, 1
	v_trig_preop_f64 v[44:45], |v[14:15]|, 2
	s_mov_b64 s[6:7], 0x3ff921fb54442d18
	s_delay_alu instid0(VALU_DEP_3) | instskip(SKIP_1) | instid1(VALU_DEP_1)
	v_dual_mov_b32 v52, 0 :: v_dual_cndmask_b32 v29, v1, v29
	v_cndmask_b32_e32 v28, v14, v28, vcc_lo
	v_mul_f64_e32 v[36:37], v[30:31], v[28:29]
	v_mul_f64_e32 v[38:39], v[34:35], v[28:29]
	;; [unrolled: 1-line block ×3, first 2 shown]
	s_delay_alu instid0(VALU_DEP_3) | instskip(NEXT) | instid1(VALU_DEP_3)
	v_fma_f64 v[30:31], v[30:31], v[28:29], -v[36:37]
	v_fma_f64 v[34:35], v[34:35], v[28:29], -v[38:39]
	s_delay_alu instid0(VALU_DEP_3) | instskip(NEXT) | instid1(VALU_DEP_3)
	v_fma_f64 v[28:29], v[44:45], v[28:29], -v[50:51]
	v_add_f64_e32 v[40:41], v[38:39], v[30:31]
	s_delay_alu instid0(VALU_DEP_1) | instskip(SKIP_1) | instid1(VALU_DEP_2)
	v_add_f64_e64 v[42:43], v[40:41], -v[38:39]
	v_add_f64_e32 v[48:49], v[36:37], v[40:41]
	v_add_f64_e64 v[46:47], v[40:41], -v[42:43]
	v_add_f64_e64 v[30:31], v[30:31], -v[42:43]
	s_delay_alu instid0(VALU_DEP_3) | instskip(NEXT) | instid1(VALU_DEP_3)
	v_ldexp_f64 v[42:43], v[48:49], -2
	v_add_f64_e64 v[38:39], v[38:39], -v[46:47]
	v_add_f64_e32 v[46:47], v[50:51], v[34:35]
	s_delay_alu instid0(VALU_DEP_3) | instskip(NEXT) | instid1(VALU_DEP_3)
	v_cmp_neq_f64_e64 vcc_lo, 0x7ff00000, |v[42:43]|
	v_add_f64_e32 v[30:31], v[30:31], v[38:39]
	v_fract_f64_e32 v[38:39], v[42:43]
	s_delay_alu instid0(VALU_DEP_1) | instskip(NEXT) | instid1(VALU_DEP_1)
	v_ldexp_f64 v[38:39], v[38:39], 2
	v_dual_add_f64 v[36:37], v[48:49], -v[36:37] :: v_dual_cndmask_b32 v39, 0, v39, vcc_lo
	s_delay_alu instid0(VALU_DEP_1) | instskip(SKIP_1) | instid1(VALU_DEP_1)
	v_dual_add_f64 v[36:37], v[40:41], -v[36:37] :: v_dual_cndmask_b32 v38, 0, v38, vcc_lo
	v_add_f64_e32 v[40:41], v[46:47], v[30:31]
	v_add_f64_e32 v[42:43], v[36:37], v[40:41]
	v_add_f64_e64 v[54:55], v[40:41], -v[46:47]
	s_delay_alu instid0(VALU_DEP_2) | instskip(NEXT) | instid1(VALU_DEP_2)
	v_add_f64_e32 v[48:49], v[42:43], v[38:39]
	v_add_f64_e64 v[60:61], v[40:41], -v[54:55]
	v_add_f64_e64 v[30:31], v[30:31], -v[54:55]
	;; [unrolled: 1-line block ×3, first 2 shown]
	s_delay_alu instid0(VALU_DEP_4) | instskip(SKIP_1) | instid1(VALU_DEP_3)
	v_cmp_gt_f64_e32 vcc_lo, 0, v[48:49]
	v_add_f64_e64 v[48:49], v[46:47], -v[50:51]
	v_add_f64_e64 v[36:37], v[40:41], -v[36:37]
	v_cndmask_b32_e64 v53, 0, 0x40100000, vcc_lo
	s_delay_alu instid0(VALU_DEP_3) | instskip(SKIP_2) | instid1(VALU_DEP_4)
	v_add_f64_e64 v[58:59], v[46:47], -v[48:49]
	v_add_f64_e64 v[34:35], v[34:35], -v[48:49]
	;; [unrolled: 1-line block ×3, first 2 shown]
	v_add_f64_e32 v[38:39], v[38:39], v[52:53]
	s_delay_alu instid0(VALU_DEP_4) | instskip(NEXT) | instid1(VALU_DEP_3)
	v_add_f64_e64 v[48:49], v[50:51], -v[58:59]
	v_add_f64_e32 v[30:31], v[30:31], v[46:47]
	s_delay_alu instid0(VALU_DEP_3) | instskip(NEXT) | instid1(VALU_DEP_3)
	v_add_f64_e32 v[56:57], v[42:43], v[38:39]
	v_add_f64_e32 v[34:35], v[34:35], v[48:49]
	s_delay_alu instid0(VALU_DEP_2) | instskip(NEXT) | instid1(VALU_DEP_2)
	v_cvt_i32_f64_e32 v1, v[56:57]
	v_add_f64_e32 v[30:31], v[34:35], v[30:31]
	s_delay_alu instid0(VALU_DEP_2) | instskip(NEXT) | instid1(VALU_DEP_2)
	v_cvt_f64_i32_e32 v[54:55], v1
	v_add_f64_e32 v[28:29], v[28:29], v[30:31]
	s_delay_alu instid0(VALU_DEP_2) | instskip(NEXT) | instid1(VALU_DEP_2)
	v_add_f64_e64 v[38:39], v[38:39], -v[54:55]
	v_add_f64_e32 v[28:29], v[36:37], v[28:29]
	s_delay_alu instid0(VALU_DEP_2) | instskip(NEXT) | instid1(VALU_DEP_1)
	v_add_f64_e32 v[34:35], v[42:43], v[38:39]
	v_add_f64_e64 v[30:31], v[34:35], -v[38:39]
	v_cmp_le_f64_e32 vcc_lo, 0.5, v[34:35]
	s_delay_alu instid0(VALU_DEP_2) | instskip(SKIP_2) | instid1(VALU_DEP_3)
	v_add_f64_e64 v[30:31], v[42:43], -v[30:31]
	v_cndmask_b32_e64 v53, 0, 0x3ff00000, vcc_lo
	v_add_co_ci_u32_e64 v33, null, 0, v1, vcc_lo
	v_add_f64_e32 v[28:29], v[28:29], v[30:31]
	s_delay_alu instid0(VALU_DEP_3) | instskip(NEXT) | instid1(VALU_DEP_1)
	v_add_f64_e64 v[30:31], v[34:35], -v[52:53]
	v_add_f64_e32 v[34:35], v[30:31], v[28:29]
	s_delay_alu instid0(VALU_DEP_1) | instskip(SKIP_1) | instid1(VALU_DEP_2)
	v_mul_f64_e32 v[36:37], 0x3ff921fb54442d18, v[34:35]
	v_add_f64_e64 v[30:31], v[34:35], -v[30:31]
	v_fma_f64 v[38:39], v[34:35], s[6:7], -v[36:37]
	s_delay_alu instid0(VALU_DEP_2) | instskip(NEXT) | instid1(VALU_DEP_2)
	v_add_f64_e64 v[28:29], v[28:29], -v[30:31]
	v_fmamk_f64 v[30:31], v[34:35], 0x3c91a62633145c07, v[38:39]
	s_delay_alu instid0(VALU_DEP_1) | instskip(NEXT) | instid1(VALU_DEP_1)
	v_fmac_f64_e32 v[30:31], 0x3ff921fb54442d18, v[28:29]
	v_add_f64_e32 v[28:29], v[36:37], v[30:31]
	s_delay_alu instid0(VALU_DEP_1) | instskip(NEXT) | instid1(VALU_DEP_1)
	v_add_f64_e64 v[34:35], v[28:29], -v[36:37]
	v_add_f64_e64 v[30:31], v[30:31], -v[34:35]
.LBB7_1700:
	s_and_not1_saveexec_b32 s0, s0
	s_cbranch_execz .LBB7_1702
; %bb.1701:
	s_mov_b64 s[6:7], 0x3fe45f306dc9c883
	s_delay_alu instid0(SALU_CYCLE_1) | instskip(SKIP_1) | instid1(VALU_DEP_1)
	v_mul_f64_e64 v[28:29], |v[14:15]|, s[6:7]
	s_mov_b64 s[6:7], 0xbff921fb54442d18
	v_rndne_f64_e32 v[34:35], v[28:29]
	s_delay_alu instid0(VALU_DEP_1) | instskip(SKIP_2) | instid1(VALU_DEP_3)
	v_fma_f64 v[28:29], v[34:35], s[6:7], |v[14:15]|
	v_mul_f64_e32 v[30:31], 0xbc91a62633145c00, v[34:35]
	v_cvt_i32_f64_e32 v33, v[34:35]
	v_fmamk_f64 v[40:41], v[34:35], 0xbc91a62633145c00, v[28:29]
	s_delay_alu instid0(VALU_DEP_3) | instskip(NEXT) | instid1(VALU_DEP_1)
	v_add_f64_e32 v[36:37], v[28:29], v[30:31]
	v_add_f64_e64 v[38:39], v[28:29], -v[36:37]
	s_delay_alu instid0(VALU_DEP_3) | instskip(NEXT) | instid1(VALU_DEP_2)
	v_add_f64_e64 v[28:29], v[36:37], -v[40:41]
	v_add_f64_e32 v[36:37], v[38:39], v[30:31]
	v_fmamk_f64 v[30:31], v[34:35], 0x3c91a62633145c00, v[30:31]
	s_delay_alu instid0(VALU_DEP_2) | instskip(NEXT) | instid1(VALU_DEP_1)
	v_add_f64_e32 v[28:29], v[28:29], v[36:37]
	v_add_f64_e64 v[28:29], v[28:29], -v[30:31]
	s_delay_alu instid0(VALU_DEP_1) | instskip(NEXT) | instid1(VALU_DEP_1)
	v_fmamk_f64 v[30:31], v[34:35], 0xb97b839a252049c0, v[28:29]
	v_add_f64_e32 v[28:29], v[40:41], v[30:31]
	s_delay_alu instid0(VALU_DEP_1) | instskip(NEXT) | instid1(VALU_DEP_1)
	v_add_f64_e64 v[36:37], v[28:29], -v[40:41]
	v_add_f64_e64 v[30:31], v[30:31], -v[36:37]
.LBB7_1702:
	s_or_b32 exec_lo, exec_lo, s0
	v_dual_mul_f64 v[34:35], v[16:17], v[16:17] :: v_dual_mov_b32 v1, 0
	v_mul_f64_e32 v[44:45], 0.5, v[18:19]
	v_cmp_class_f64_e64 s0, v[2:3], 0x1f8
	v_lshlrev_b32_e32 v2, 30, v5
	global_load_u8 v9, v1, s[2:3] offset:345
	s_wait_xcnt 0x0
	s_mov_b64 s[2:3], 0x3de5e0b2f9a43bb8
	s_mov_b32 s7, 0
	v_xor_b32_e32 v2, v2, v3
	v_mul_f64_e32 v[36:37], 0.5, v[34:35]
	v_mul_f64_e64 v[42:43], v[16:17], -v[34:35]
	v_fmaak_f64 v[46:47], s[2:3], v[34:35], 0xbe5ae600b42fdfa7
	s_mov_b64 s[2:3], 0xbda907db46cc5e42
	s_delay_alu instid0(VALU_DEP_3) | instskip(NEXT) | instid1(VALU_DEP_1)
	v_add_f64_e64 v[38:39], -v[36:37], 1.0
	v_add_f64_e64 v[40:41], -v[38:39], 1.0
	s_delay_alu instid0(VALU_DEP_1) | instskip(NEXT) | instid1(VALU_DEP_4)
	v_add_f64_e64 v[36:37], v[40:41], -v[36:37]
	v_fmaak_f64 v[40:41], v[34:35], v[46:47], 0x3ec71de3796cde01
	v_mul_f64_e32 v[46:47], v[34:35], v[34:35]
	s_delay_alu instid0(VALU_DEP_2) | instskip(NEXT) | instid1(VALU_DEP_1)
	v_fmaak_f64 v[40:41], v[34:35], v[40:41], 0xbf2a01a019e83e5c
	v_fmaak_f64 v[40:41], v[34:35], v[40:41], 0x3f81111111110bb3
	s_delay_alu instid0(VALU_DEP_1) | instskip(SKIP_1) | instid1(VALU_DEP_1)
	v_fmac_f64_e32 v[44:45], v[42:43], v[40:41]
	v_fmaak_f64 v[40:41], s[2:3], v[34:35], 0x3e21eeb69037ab78
	v_fmaak_f64 v[40:41], v[34:35], v[40:41], 0xbe927e4fa17f65f6
	v_fma_f64 v[36:37], v[16:17], -v[18:19], v[36:37]
	s_delay_alu instid0(VALU_DEP_2) | instskip(NEXT) | instid1(VALU_DEP_1)
	v_fmaak_f64 v[40:41], v[34:35], v[40:41], 0x3efa01a019f4ec90
	v_fmaak_f64 v[40:41], v[34:35], v[40:41], 0xbf56c16c16c16967
	s_delay_alu instid0(VALU_DEP_1) | instskip(SKIP_1) | instid1(VALU_DEP_2)
	v_fmaak_f64 v[40:41], v[34:35], v[40:41], 0x3fa5555555555555
	v_fma_f64 v[18:19], v[34:35], v[44:45], -v[18:19]
	v_fmac_f64_e32 v[36:37], v[46:47], v[40:41]
	s_delay_alu instid0(VALU_DEP_2) | instskip(NEXT) | instid1(VALU_DEP_1)
	v_fmamk_f64 v[18:19], v[42:43], 0xbfc5555555555555, v[18:19]
	v_dual_add_f64 v[16:17], v[16:17], -v[18:19] :: v_dual_bitop2_b32 v18, 1, v5 bitop3:0x40
	s_delay_alu instid0(VALU_DEP_3) | instskip(NEXT) | instid1(VALU_DEP_2)
	v_add_f64_e32 v[34:35], v[38:39], v[36:37]
	v_cmp_eq_u32_e32 vcc_lo, 0, v18
	s_delay_alu instid0(VALU_DEP_2) | instskip(SKIP_1) | instid1(VALU_DEP_2)
	v_dual_cndmask_b32 v5, v35, v17 :: v_dual_cndmask_b32 v18, v34, v16
	v_add_nc_u64_e32 v[16:17], s[4:5], v[0:1]
	v_bitop3_b32 v2, v5, v2, 0x80000000 bitop3:0x78
	s_delay_alu instid0(VALU_DEP_3) | instskip(NEXT) | instid1(VALU_DEP_2)
	v_cndmask_b32_e64 v0, 0, v18, s0
	v_cndmask_b32_e64 v1, 0x7ff80000, v2, s0
	s_mov_b32 s0, -1
	s_wait_loadcnt 0x0
	v_and_b32_e32 v3, 0xffff, v9
	v_readfirstlane_b32 s6, v9
	s_delay_alu instid0(VALU_DEP_2)
	v_cmp_gt_i32_e32 vcc_lo, 11, v3
	s_cbranch_vccnz .LBB7_1781
; %bb.1703:
	s_and_b32 s2, 0xffff, s6
	s_mov_b32 s10, -1
	s_mov_b32 s3, 0
	s_cmp_gt_i32 s2, 25
	s_mov_b32 s0, 0
	s_cbranch_scc0 .LBB7_1736
; %bb.1704:
	s_cmp_gt_i32 s2, 28
	s_cbranch_scc0 .LBB7_1719
; %bb.1705:
	s_cmp_gt_i32 s2, 43
	;; [unrolled: 3-line block ×3, first 2 shown]
	s_cbranch_scc0 .LBB7_1709
; %bb.1707:
	s_mov_b32 s0, -1
	s_mov_b32 s10, 0
	s_cmp_eq_u32 s2, 46
	s_cbranch_scc0 .LBB7_1709
; %bb.1708:
	v_cvt_f32_f64_e32 v2, v[0:1]
	s_mov_b32 s0, 0
	s_mov_b32 s7, -1
	s_delay_alu instid0(VALU_DEP_1) | instskip(SKIP_1) | instid1(VALU_DEP_2)
	v_bfe_u32 v3, v2, 16, 1
	v_cmp_o_f32_e32 vcc_lo, v2, v2
	v_add3_u32 v3, v2, v3, 0x7fff
	s_delay_alu instid0(VALU_DEP_1) | instskip(NEXT) | instid1(VALU_DEP_1)
	v_lshrrev_b32_e32 v3, 16, v3
	v_cndmask_b32_e32 v2, 0x7fc0, v3, vcc_lo
	global_store_b32 v[16:17], v2, off
.LBB7_1709:
	s_and_b32 vcc_lo, exec_lo, s10
	s_cbranch_vccz .LBB7_1714
; %bb.1710:
	s_cmp_eq_u32 s2, 44
	s_mov_b32 s0, -1
	s_cbranch_scc0 .LBB7_1714
; %bb.1711:
	s_wait_xcnt 0x0
	v_cvt_f32_f64_e32 v2, v[0:1]
	v_mov_b32_e32 v3, 0xff
	s_mov_b32 s7, exec_lo
	s_delay_alu instid0(VALU_DEP_2) | instskip(NEXT) | instid1(VALU_DEP_1)
	v_bfe_u32 v5, v2, 23, 8
	v_cmpx_ne_u32_e32 0xff, v5
	s_cbranch_execz .LBB7_1713
; %bb.1712:
	v_and_b32_e32 v3, 0x400000, v2
	v_and_or_b32 v5, 0x3fffff, v2, v5
	v_lshrrev_b32_e32 v2, 23, v2
	s_delay_alu instid0(VALU_DEP_3) | instskip(NEXT) | instid1(VALU_DEP_3)
	v_cmp_ne_u32_e32 vcc_lo, 0, v3
	v_cmp_ne_u32_e64 s0, 0, v5
	s_and_b32 s0, vcc_lo, s0
	s_delay_alu instid0(SALU_CYCLE_1) | instskip(NEXT) | instid1(VALU_DEP_1)
	v_cndmask_b32_e64 v3, 0, 1, s0
	v_add_nc_u32_e32 v3, v2, v3
.LBB7_1713:
	s_or_b32 exec_lo, exec_lo, s7
	s_mov_b32 s0, 0
	s_mov_b32 s7, -1
	global_store_b8 v[16:17], v3, off
.LBB7_1714:
	s_mov_b32 s10, 0
.LBB7_1715:
	s_delay_alu instid0(SALU_CYCLE_1)
	s_and_b32 vcc_lo, exec_lo, s10
	s_cbranch_vccz .LBB7_1718
; %bb.1716:
	s_cmp_eq_u32 s2, 29
	s_mov_b32 s0, -1
	s_cbranch_scc0 .LBB7_1718
; %bb.1717:
	s_wait_xcnt 0x0
	v_trunc_f64_e32 v[2:3], v[0:1]
	s_mov_b32 s0, 0
	s_mov_b32 s7, -1
	s_delay_alu instid0(VALU_DEP_1) | instskip(NEXT) | instid1(VALU_DEP_1)
	v_ldexp_f64 v[18:19], v[2:3], 0xffffffe0
	v_floor_f64_e32 v[18:19], v[18:19]
	s_delay_alu instid0(VALU_DEP_1) | instskip(SKIP_1) | instid1(VALU_DEP_2)
	v_fmamk_f64 v[2:3], v[18:19], 0xc1f00000, v[2:3]
	v_cvt_u32_f64_e32 v19, v[18:19]
	v_cvt_u32_f64_e32 v18, v[2:3]
	global_store_b64 v[16:17], v[18:19], off
.LBB7_1718:
	s_mov_b32 s10, 0
.LBB7_1719:
	s_delay_alu instid0(SALU_CYCLE_1)
	s_and_b32 vcc_lo, exec_lo, s10
	s_cbranch_vccz .LBB7_1735
; %bb.1720:
	s_cmp_lt_i32 s2, 27
	s_mov_b32 s7, -1
	s_cbranch_scc1 .LBB7_1726
; %bb.1721:
	s_wait_xcnt 0x0
	v_cvt_u32_f64_e32 v2, v[0:1]
	s_cmp_gt_i32 s2, 27
	s_cbranch_scc0 .LBB7_1723
; %bb.1722:
	s_mov_b32 s7, 0
	global_store_b32 v[16:17], v2, off
.LBB7_1723:
	s_and_not1_b32 vcc_lo, exec_lo, s7
	s_cbranch_vccnz .LBB7_1725
; %bb.1724:
	global_store_b16 v[16:17], v2, off
.LBB7_1725:
	s_mov_b32 s7, 0
.LBB7_1726:
	s_delay_alu instid0(SALU_CYCLE_1)
	s_and_not1_b32 vcc_lo, exec_lo, s7
	s_cbranch_vccnz .LBB7_1734
; %bb.1727:
	s_wait_xcnt 0x0
	v_cvt_f32_f64_e32 v2, v[0:1]
	v_mov_b32_e32 v5, 0x80
	s_mov_b32 s7, exec_lo
	s_delay_alu instid0(VALU_DEP_2) | instskip(NEXT) | instid1(VALU_DEP_1)
	v_and_b32_e32 v3, 0x7fffffff, v2
	v_cmpx_gt_u32_e32 0x43800000, v3
	s_cbranch_execz .LBB7_1733
; %bb.1728:
	v_cmp_lt_u32_e32 vcc_lo, 0x3bffffff, v3
	s_mov_b32 s10, 0
                                        ; implicit-def: $vgpr3
	s_and_saveexec_b32 s11, vcc_lo
	s_delay_alu instid0(SALU_CYCLE_1)
	s_xor_b32 s11, exec_lo, s11
	s_cbranch_execz .LBB7_2178
; %bb.1729:
	v_bfe_u32 v3, v2, 20, 1
	s_mov_b32 s10, exec_lo
	s_delay_alu instid0(VALU_DEP_1) | instskip(NEXT) | instid1(VALU_DEP_1)
	v_add3_u32 v3, v2, v3, 0x487ffff
	v_lshrrev_b32_e32 v3, 20, v3
	s_and_not1_saveexec_b32 s11, s11
	s_cbranch_execnz .LBB7_2179
.LBB7_1730:
	s_or_b32 exec_lo, exec_lo, s11
	v_mov_b32_e32 v5, 0
	s_and_saveexec_b32 s11, s10
.LBB7_1731:
	v_lshrrev_b32_e32 v2, 24, v2
	s_delay_alu instid0(VALU_DEP_1)
	v_and_or_b32 v5, 0x80, v2, v3
.LBB7_1732:
	s_or_b32 exec_lo, exec_lo, s11
.LBB7_1733:
	s_delay_alu instid0(SALU_CYCLE_1)
	s_or_b32 exec_lo, exec_lo, s7
	global_store_b8 v[16:17], v5, off
.LBB7_1734:
	s_mov_b32 s7, -1
.LBB7_1735:
	s_mov_b32 s10, 0
.LBB7_1736:
	s_delay_alu instid0(SALU_CYCLE_1)
	s_and_b32 vcc_lo, exec_lo, s10
	s_cbranch_vccz .LBB7_1776
; %bb.1737:
	s_cmp_gt_i32 s2, 22
	s_mov_b32 s3, -1
	s_cbranch_scc0 .LBB7_1769
; %bb.1738:
	s_cmp_lt_i32 s2, 24
	s_cbranch_scc1 .LBB7_1758
; %bb.1739:
	s_cmp_gt_i32 s2, 24
	s_cbranch_scc0 .LBB7_1747
; %bb.1740:
	s_wait_xcnt 0x0
	v_cvt_f32_f64_e32 v2, v[0:1]
	v_mov_b32_e32 v5, 0x80
	s_mov_b32 s3, exec_lo
	s_delay_alu instid0(VALU_DEP_2) | instskip(NEXT) | instid1(VALU_DEP_1)
	v_and_b32_e32 v3, 0x7fffffff, v2
	v_cmpx_gt_u32_e32 0x47800000, v3
	s_cbranch_execz .LBB7_1746
; %bb.1741:
	v_cmp_lt_u32_e32 vcc_lo, 0x37ffffff, v3
	s_mov_b32 s7, 0
                                        ; implicit-def: $vgpr3
	s_and_saveexec_b32 s10, vcc_lo
	s_delay_alu instid0(SALU_CYCLE_1)
	s_xor_b32 s10, exec_lo, s10
	s_cbranch_execz .LBB7_2181
; %bb.1742:
	v_bfe_u32 v3, v2, 21, 1
	s_mov_b32 s7, exec_lo
	s_delay_alu instid0(VALU_DEP_1) | instskip(NEXT) | instid1(VALU_DEP_1)
	v_add3_u32 v3, v2, v3, 0x88fffff
	v_lshrrev_b32_e32 v3, 21, v3
	s_and_not1_saveexec_b32 s10, s10
	s_cbranch_execnz .LBB7_2182
.LBB7_1743:
	s_or_b32 exec_lo, exec_lo, s10
	v_mov_b32_e32 v5, 0
	s_and_saveexec_b32 s10, s7
.LBB7_1744:
	v_lshrrev_b32_e32 v2, 24, v2
	s_delay_alu instid0(VALU_DEP_1)
	v_and_or_b32 v5, 0x80, v2, v3
.LBB7_1745:
	s_or_b32 exec_lo, exec_lo, s10
.LBB7_1746:
	s_delay_alu instid0(SALU_CYCLE_1)
	s_or_b32 exec_lo, exec_lo, s3
	s_mov_b32 s3, 0
	global_store_b8 v[16:17], v5, off
.LBB7_1747:
	s_and_b32 vcc_lo, exec_lo, s3
	s_cbranch_vccz .LBB7_1757
; %bb.1748:
	s_wait_xcnt 0x0
	v_cvt_f32_f64_e32 v2, v[0:1]
	s_mov_b32 s3, exec_lo
                                        ; implicit-def: $vgpr3
	s_delay_alu instid0(VALU_DEP_1) | instskip(NEXT) | instid1(VALU_DEP_1)
	v_and_b32_e32 v5, 0x7fffffff, v2
	v_cmpx_gt_u32_e32 0x43f00000, v5
	s_xor_b32 s3, exec_lo, s3
	s_cbranch_execz .LBB7_1754
; %bb.1749:
	s_mov_b32 s7, exec_lo
                                        ; implicit-def: $vgpr3
	v_cmpx_lt_u32_e32 0x3c7fffff, v5
	s_xor_b32 s7, exec_lo, s7
; %bb.1750:
	v_bfe_u32 v3, v2, 20, 1
	s_delay_alu instid0(VALU_DEP_1) | instskip(NEXT) | instid1(VALU_DEP_1)
	v_add3_u32 v3, v2, v3, 0x407ffff
	v_and_b32_e32 v5, 0xff00000, v3
	v_lshrrev_b32_e32 v3, 20, v3
	s_delay_alu instid0(VALU_DEP_2) | instskip(NEXT) | instid1(VALU_DEP_2)
	v_cmp_ne_u32_e32 vcc_lo, 0x7f00000, v5
	v_cndmask_b32_e32 v3, 0x7e, v3, vcc_lo
; %bb.1751:
	s_and_not1_saveexec_b32 s7, s7
; %bb.1752:
	v_add_f32_e64 v3, 0x46800000, |v2|
; %bb.1753:
	s_or_b32 exec_lo, exec_lo, s7
                                        ; implicit-def: $vgpr5
.LBB7_1754:
	s_and_not1_saveexec_b32 s3, s3
; %bb.1755:
	v_mov_b32_e32 v3, 0x7f
	v_cmp_lt_u32_e32 vcc_lo, 0x7f800000, v5
	s_delay_alu instid0(VALU_DEP_2)
	v_cndmask_b32_e32 v3, 0x7e, v3, vcc_lo
; %bb.1756:
	s_or_b32 exec_lo, exec_lo, s3
	v_lshrrev_b32_e32 v2, 24, v2
	s_delay_alu instid0(VALU_DEP_1)
	v_and_or_b32 v2, 0x80, v2, v3
	global_store_b8 v[16:17], v2, off
.LBB7_1757:
	s_mov_b32 s3, 0
.LBB7_1758:
	s_delay_alu instid0(SALU_CYCLE_1)
	s_and_not1_b32 vcc_lo, exec_lo, s3
	s_cbranch_vccnz .LBB7_1768
; %bb.1759:
	s_wait_xcnt 0x0
	v_cvt_f32_f64_e32 v2, v[0:1]
	s_mov_b32 s3, exec_lo
                                        ; implicit-def: $vgpr3
	s_delay_alu instid0(VALU_DEP_1) | instskip(NEXT) | instid1(VALU_DEP_1)
	v_and_b32_e32 v5, 0x7fffffff, v2
	v_cmpx_gt_u32_e32 0x47800000, v5
	s_xor_b32 s3, exec_lo, s3
	s_cbranch_execz .LBB7_1765
; %bb.1760:
	s_mov_b32 s7, exec_lo
                                        ; implicit-def: $vgpr3
	v_cmpx_lt_u32_e32 0x387fffff, v5
	s_xor_b32 s7, exec_lo, s7
; %bb.1761:
	v_bfe_u32 v3, v2, 21, 1
	s_delay_alu instid0(VALU_DEP_1) | instskip(NEXT) | instid1(VALU_DEP_1)
	v_add3_u32 v3, v2, v3, 0x80fffff
	v_lshrrev_b32_e32 v3, 21, v3
; %bb.1762:
	s_and_not1_saveexec_b32 s7, s7
; %bb.1763:
	v_add_f32_e64 v3, 0x43000000, |v2|
; %bb.1764:
	s_or_b32 exec_lo, exec_lo, s7
                                        ; implicit-def: $vgpr5
.LBB7_1765:
	s_and_not1_saveexec_b32 s3, s3
; %bb.1766:
	v_mov_b32_e32 v3, 0x7f
	v_cmp_lt_u32_e32 vcc_lo, 0x7f800000, v5
	s_delay_alu instid0(VALU_DEP_2)
	v_cndmask_b32_e32 v3, 0x7c, v3, vcc_lo
; %bb.1767:
	s_or_b32 exec_lo, exec_lo, s3
	v_lshrrev_b32_e32 v2, 24, v2
	s_delay_alu instid0(VALU_DEP_1)
	v_and_or_b32 v2, 0x80, v2, v3
	global_store_b8 v[16:17], v2, off
.LBB7_1768:
	s_mov_b32 s3, 0
	s_mov_b32 s7, -1
.LBB7_1769:
	s_and_not1_b32 vcc_lo, exec_lo, s3
	s_mov_b32 s3, 0
	s_cbranch_vccnz .LBB7_1776
; %bb.1770:
	s_cmp_gt_i32 s2, 14
	s_mov_b32 s3, -1
	s_cbranch_scc0 .LBB7_1774
; %bb.1771:
	s_cmp_eq_u32 s2, 15
	s_mov_b32 s0, -1
	s_cbranch_scc0 .LBB7_1773
; %bb.1772:
	s_wait_xcnt 0x0
	v_cvt_f32_f64_e32 v2, v[0:1]
	s_mov_b32 s0, 0
	s_mov_b32 s7, -1
	s_delay_alu instid0(VALU_DEP_1) | instskip(SKIP_1) | instid1(VALU_DEP_2)
	v_bfe_u32 v3, v2, 16, 1
	v_cmp_o_f32_e32 vcc_lo, v2, v2
	v_add3_u32 v3, v2, v3, 0x7fff
	s_delay_alu instid0(VALU_DEP_1) | instskip(NEXT) | instid1(VALU_DEP_1)
	v_lshrrev_b32_e32 v3, 16, v3
	v_cndmask_b32_e32 v2, 0x7fc0, v3, vcc_lo
	global_store_b16 v[16:17], v2, off
.LBB7_1773:
	s_mov_b32 s3, 0
.LBB7_1774:
	s_delay_alu instid0(SALU_CYCLE_1)
	s_and_b32 vcc_lo, exec_lo, s3
	s_mov_b32 s3, 0
	s_cbranch_vccz .LBB7_1776
; %bb.1775:
	s_cmp_lg_u32 s2, 11
	s_mov_b32 s3, -1
	s_cselect_b32 s0, -1, 0
.LBB7_1776:
	s_delay_alu instid0(SALU_CYCLE_1)
	s_and_b32 vcc_lo, exec_lo, s0
	s_cbranch_vccnz .LBB7_2180
; %bb.1777:
	s_and_not1_b32 vcc_lo, exec_lo, s3
	s_cbranch_vccnz .LBB7_1779
.LBB7_1778:
	v_cmp_neq_f64_e32 vcc_lo, 0, v[0:1]
	s_mov_b32 s7, -1
	s_wait_xcnt 0x0
	v_cndmask_b32_e64 v2, 0, 1, vcc_lo
	global_store_b8 v[16:17], v2, off
.LBB7_1779:
.LBB7_1780:
	s_and_not1_b32 vcc_lo, exec_lo, s7
	s_cbranch_vccz .LBB7_1820
	s_branch .LBB7_2132
.LBB7_1781:
	s_and_b32 vcc_lo, exec_lo, s0
	s_cbranch_vccz .LBB7_1780
; %bb.1782:
	s_and_b32 s0, 0xffff, s6
	s_mov_b32 s2, -1
	s_cmp_lt_i32 s0, 5
	s_cbranch_scc1 .LBB7_1803
; %bb.1783:
	s_cmp_lt_i32 s0, 8
	s_cbranch_scc1 .LBB7_1793
; %bb.1784:
	;; [unrolled: 3-line block ×3, first 2 shown]
	s_cmp_gt_i32 s0, 9
	s_cbranch_scc0 .LBB7_1787
; %bb.1786:
	s_wait_xcnt 0x0
	v_mov_b64_e32 v[2:3], 0
	s_mov_b32 s2, 0
	global_store_b128 v[16:17], v[0:3], off
.LBB7_1787:
	s_and_not1_b32 vcc_lo, exec_lo, s2
	s_cbranch_vccnz .LBB7_1789
; %bb.1788:
	s_wait_xcnt 0x0
	v_cvt_f32_f64_e32 v2, v[0:1]
	v_mov_b32_e32 v3, 0
	global_store_b64 v[16:17], v[2:3], off
.LBB7_1789:
	s_mov_b32 s2, 0
.LBB7_1790:
	s_delay_alu instid0(SALU_CYCLE_1)
	s_and_not1_b32 vcc_lo, exec_lo, s2
	s_cbranch_vccnz .LBB7_1792
; %bb.1791:
	s_wait_xcnt 0x0
	v_and_or_b32 v2, 0x1ff, v1, v0
	v_lshrrev_b32_e32 v3, 8, v1
	v_bfe_u32 v5, v1, 20, 11
	s_delay_alu instid0(VALU_DEP_3) | instskip(NEXT) | instid1(VALU_DEP_2)
	v_cmp_ne_u32_e32 vcc_lo, 0, v2
	v_sub_nc_u32_e32 v9, 0x3f1, v5
	v_add_nc_u32_e32 v5, 0xfffffc10, v5
	v_cndmask_b32_e64 v2, 0, 1, vcc_lo
	s_delay_alu instid0(VALU_DEP_1) | instskip(NEXT) | instid1(VALU_DEP_4)
	v_and_or_b32 v2, 0xffe, v3, v2
	v_med3_i32 v3, v9, 0, 13
	s_delay_alu instid0(VALU_DEP_2) | instskip(NEXT) | instid1(VALU_DEP_1)
	v_or_b32_e32 v9, 0x1000, v2
	v_lshrrev_b32_e32 v18, v3, v9
	s_delay_alu instid0(VALU_DEP_1) | instskip(NEXT) | instid1(VALU_DEP_1)
	v_lshlrev_b32_e32 v3, v3, v18
	v_cmp_ne_u32_e32 vcc_lo, v3, v9
	v_lshl_or_b32 v9, v5, 12, v2
	v_cndmask_b32_e64 v3, 0, 1, vcc_lo
	v_cmp_gt_i32_e32 vcc_lo, 1, v5
	s_delay_alu instid0(VALU_DEP_2) | instskip(NEXT) | instid1(VALU_DEP_1)
	v_or_b32_e32 v3, v18, v3
	v_cndmask_b32_e32 v3, v9, v3, vcc_lo
	s_delay_alu instid0(VALU_DEP_1) | instskip(NEXT) | instid1(VALU_DEP_1)
	v_dual_lshrrev_b32 v3, 2, v3 :: v_dual_bitop2_b32 v9, 7, v3 bitop3:0x40
	v_cmp_lt_i32_e32 vcc_lo, 5, v9
	v_cndmask_b32_e64 v18, 0, 1, vcc_lo
	v_cmp_eq_u32_e32 vcc_lo, 3, v9
	v_cndmask_b32_e64 v9, 0, 1, vcc_lo
	v_cmp_ne_u32_e32 vcc_lo, 0, v2
	s_delay_alu instid0(VALU_DEP_2) | instskip(NEXT) | instid1(VALU_DEP_1)
	v_or_b32_e32 v9, v9, v18
	v_dual_mov_b32 v18, 0x7e00 :: v_dual_add_nc_u32 v3, v3, v9
	s_delay_alu instid0(VALU_DEP_1) | instskip(SKIP_2) | instid1(VALU_DEP_4)
	v_cndmask_b32_e32 v2, 0x7c00, v18, vcc_lo
	v_cmp_gt_i32_e32 vcc_lo, 31, v5
	v_lshrrev_b32_e32 v9, 16, v1
	v_cndmask_b32_e32 v3, 0x7c00, v3, vcc_lo
	v_cmp_eq_u32_e32 vcc_lo, 0x40f, v5
	s_delay_alu instid0(VALU_DEP_2) | instskip(NEXT) | instid1(VALU_DEP_4)
	v_cndmask_b32_e32 v2, v3, v2, vcc_lo
	v_and_b32_e32 v3, 0x8000, v9
	s_delay_alu instid0(VALU_DEP_1)
	v_bitop3_b32 v2, v3, 0xffff, v2 bitop3:0xc8
	global_store_b32 v[16:17], v2, off
.LBB7_1792:
	s_mov_b32 s2, 0
.LBB7_1793:
	s_delay_alu instid0(SALU_CYCLE_1)
	s_and_not1_b32 vcc_lo, exec_lo, s2
	s_cbranch_vccnz .LBB7_1802
; %bb.1794:
	s_cmp_lt_i32 s0, 6
	s_mov_b32 s2, -1
	s_cbranch_scc1 .LBB7_1800
; %bb.1795:
	s_cmp_gt_i32 s0, 6
	s_cbranch_scc0 .LBB7_1797
; %bb.1796:
	s_mov_b32 s2, 0
	global_store_b64 v[16:17], v[0:1], off
.LBB7_1797:
	s_and_not1_b32 vcc_lo, exec_lo, s2
	s_cbranch_vccnz .LBB7_1799
; %bb.1798:
	s_wait_xcnt 0x0
	v_cvt_f32_f64_e32 v2, v[0:1]
	global_store_b32 v[16:17], v2, off
.LBB7_1799:
	s_mov_b32 s2, 0
.LBB7_1800:
	s_delay_alu instid0(SALU_CYCLE_1)
	s_and_not1_b32 vcc_lo, exec_lo, s2
	s_cbranch_vccnz .LBB7_1802
; %bb.1801:
	s_wait_xcnt 0x0
	v_and_or_b32 v2, 0x1ff, v1, v0
	v_lshrrev_b32_e32 v3, 8, v1
	v_bfe_u32 v5, v1, 20, 11
	s_delay_alu instid0(VALU_DEP_3) | instskip(NEXT) | instid1(VALU_DEP_2)
	v_cmp_ne_u32_e32 vcc_lo, 0, v2
	v_sub_nc_u32_e32 v9, 0x3f1, v5
	v_add_nc_u32_e32 v5, 0xfffffc10, v5
	v_cndmask_b32_e64 v2, 0, 1, vcc_lo
	s_delay_alu instid0(VALU_DEP_1) | instskip(NEXT) | instid1(VALU_DEP_4)
	v_and_or_b32 v2, 0xffe, v3, v2
	v_med3_i32 v3, v9, 0, 13
	s_delay_alu instid0(VALU_DEP_2) | instskip(NEXT) | instid1(VALU_DEP_1)
	v_or_b32_e32 v9, 0x1000, v2
	v_lshrrev_b32_e32 v18, v3, v9
	s_delay_alu instid0(VALU_DEP_1) | instskip(NEXT) | instid1(VALU_DEP_1)
	v_lshlrev_b32_e32 v3, v3, v18
	v_cmp_ne_u32_e32 vcc_lo, v3, v9
	v_lshl_or_b32 v9, v5, 12, v2
	v_cndmask_b32_e64 v3, 0, 1, vcc_lo
	v_cmp_gt_i32_e32 vcc_lo, 1, v5
	s_delay_alu instid0(VALU_DEP_2) | instskip(NEXT) | instid1(VALU_DEP_1)
	v_or_b32_e32 v3, v18, v3
	v_cndmask_b32_e32 v3, v9, v3, vcc_lo
	s_delay_alu instid0(VALU_DEP_1) | instskip(NEXT) | instid1(VALU_DEP_1)
	v_dual_lshrrev_b32 v3, 2, v3 :: v_dual_bitop2_b32 v9, 7, v3 bitop3:0x40
	v_cmp_lt_i32_e32 vcc_lo, 5, v9
	v_cndmask_b32_e64 v18, 0, 1, vcc_lo
	v_cmp_eq_u32_e32 vcc_lo, 3, v9
	v_cndmask_b32_e64 v9, 0, 1, vcc_lo
	v_cmp_ne_u32_e32 vcc_lo, 0, v2
	s_delay_alu instid0(VALU_DEP_2) | instskip(NEXT) | instid1(VALU_DEP_1)
	v_or_b32_e32 v9, v9, v18
	v_dual_mov_b32 v18, 0x7e00 :: v_dual_add_nc_u32 v3, v3, v9
	s_delay_alu instid0(VALU_DEP_1) | instskip(SKIP_1) | instid1(VALU_DEP_3)
	v_cndmask_b32_e32 v2, 0x7c00, v18, vcc_lo
	v_cmp_gt_i32_e32 vcc_lo, 31, v5
	v_cndmask_b32_e32 v3, 0x7c00, v3, vcc_lo
	v_cmp_eq_u32_e32 vcc_lo, 0x40f, v5
	s_delay_alu instid0(VALU_DEP_2) | instskip(NEXT) | instid1(VALU_DEP_1)
	v_dual_cndmask_b32 v2, v3, v2 :: v_dual_lshrrev_b32 v3, 16, v1
	v_and_or_b32 v2, 0x8000, v3, v2
	global_store_b16 v[16:17], v2, off
.LBB7_1802:
	s_mov_b32 s2, 0
.LBB7_1803:
	s_delay_alu instid0(SALU_CYCLE_1)
	s_and_not1_b32 vcc_lo, exec_lo, s2
	s_cbranch_vccnz .LBB7_1819
; %bb.1804:
	s_cmp_lt_i32 s0, 2
	s_mov_b32 s2, -1
	s_cbranch_scc1 .LBB7_1814
; %bb.1805:
	s_cmp_lt_i32 s0, 3
	s_cbranch_scc1 .LBB7_1811
; %bb.1806:
	s_cmp_gt_i32 s0, 3
	s_cbranch_scc0 .LBB7_1808
; %bb.1807:
	s_wait_xcnt 0x0
	v_trunc_f64_e32 v[2:3], v[0:1]
	s_mov_b32 s2, 0
	s_delay_alu instid0(VALU_DEP_1) | instskip(NEXT) | instid1(VALU_DEP_1)
	v_ldexp_f64 v[18:19], v[2:3], 0xffffffe0
	v_floor_f64_e32 v[18:19], v[18:19]
	s_delay_alu instid0(VALU_DEP_1) | instskip(SKIP_1) | instid1(VALU_DEP_2)
	v_fmamk_f64 v[2:3], v[18:19], 0xc1f00000, v[2:3]
	v_cvt_i32_f64_e32 v19, v[18:19]
	v_cvt_u32_f64_e32 v18, v[2:3]
	global_store_b64 v[16:17], v[18:19], off
.LBB7_1808:
	s_and_not1_b32 vcc_lo, exec_lo, s2
	s_cbranch_vccnz .LBB7_1810
; %bb.1809:
	s_wait_xcnt 0x0
	v_cvt_i32_f64_e32 v2, v[0:1]
	global_store_b32 v[16:17], v2, off
.LBB7_1810:
	s_mov_b32 s2, 0
.LBB7_1811:
	s_delay_alu instid0(SALU_CYCLE_1)
	s_and_not1_b32 vcc_lo, exec_lo, s2
	s_cbranch_vccnz .LBB7_1813
; %bb.1812:
	s_wait_xcnt 0x0
	v_cvt_i32_f64_e32 v2, v[0:1]
	global_store_b16 v[16:17], v2, off
.LBB7_1813:
	s_mov_b32 s2, 0
.LBB7_1814:
	s_delay_alu instid0(SALU_CYCLE_1)
	s_and_not1_b32 vcc_lo, exec_lo, s2
	s_cbranch_vccnz .LBB7_1819
; %bb.1815:
	s_cmp_gt_i32 s0, 0
	s_mov_b32 s0, -1
	s_cbranch_scc0 .LBB7_1817
; %bb.1816:
	s_wait_xcnt 0x0
	v_cvt_i32_f64_e32 v2, v[0:1]
	s_mov_b32 s0, 0
	global_store_b8 v[16:17], v2, off
.LBB7_1817:
	s_and_not1_b32 vcc_lo, exec_lo, s0
	s_cbranch_vccnz .LBB7_1819
; %bb.1818:
	s_wait_xcnt 0x0
	v_trunc_f64_e32 v[0:1], v[0:1]
	s_delay_alu instid0(VALU_DEP_1) | instskip(NEXT) | instid1(VALU_DEP_1)
	v_ldexp_f64 v[2:3], v[0:1], 0xffffffe0
	v_floor_f64_e32 v[2:3], v[2:3]
	s_delay_alu instid0(VALU_DEP_1) | instskip(NEXT) | instid1(VALU_DEP_1)
	v_fmamk_f64 v[0:1], v[2:3], 0xc1f00000, v[0:1]
	v_cvt_u32_f64_e32 v0, v[0:1]
	global_store_b8 v[16:17], v0, off
.LBB7_1819:
.LBB7_1820:
	s_wait_xcnt 0x0
	v_dual_mul_f64 v[0:1], v[20:21], v[20:21] :: v_dual_bitop2_b32 v5, 1, v7 bitop3:0x40
	s_mov_b64 s[2:3], 0x3de5e0b2f9a43bb8
	v_cmp_class_f64_e64 s0, v[10:11], 0x1f8
	s_mov_b32 s7, 0
	v_mov_b32_e32 v9, 0
	v_cmp_eq_u32_e32 vcc_lo, 0, v5
	v_mul_f64_e32 v[34:35], 0.5, v[22:23]
	s_delay_alu instid0(VALU_DEP_3) | instskip(SKIP_4) | instid1(VALU_DEP_3)
	v_add_nc_u64_e32 v[8:9], s[4:5], v[8:9]
	v_mul_f64_e32 v[2:3], 0.5, v[0:1]
	v_mul_f64_e64 v[36:37], v[20:21], -v[0:1]
	v_fmaak_f64 v[38:39], s[2:3], v[0:1], 0xbe5ae600b42fdfa7
	s_mov_b64 s[2:3], 0xbda907db46cc5e42
	v_add_f64_e64 v[16:17], -v[2:3], 1.0
	s_delay_alu instid0(VALU_DEP_1) | instskip(NEXT) | instid1(VALU_DEP_1)
	v_add_f64_e64 v[18:19], -v[16:17], 1.0
	v_add_f64_e64 v[2:3], v[18:19], -v[2:3]
	s_delay_alu instid0(VALU_DEP_4) | instskip(SKIP_1) | instid1(VALU_DEP_2)
	v_fmaak_f64 v[18:19], v[0:1], v[38:39], 0x3ec71de3796cde01
	v_mul_f64_e32 v[38:39], v[0:1], v[0:1]
	v_fmaak_f64 v[18:19], v[0:1], v[18:19], 0xbf2a01a019e83e5c
	s_delay_alu instid0(VALU_DEP_1) | instskip(NEXT) | instid1(VALU_DEP_1)
	v_fmaak_f64 v[18:19], v[0:1], v[18:19], 0x3f81111111110bb3
	v_fmac_f64_e32 v[34:35], v[36:37], v[18:19]
	v_fmaak_f64 v[18:19], s[2:3], v[0:1], 0x3e21eeb69037ab78
	s_and_b32 s2, 0xffff, s6
	s_delay_alu instid0(SALU_CYCLE_1) | instskip(NEXT) | instid1(VALU_DEP_1)
	s_cmp_lt_i32 s2, 11
	v_fmaak_f64 v[18:19], v[0:1], v[18:19], 0xbe927e4fa17f65f6
	v_fma_f64 v[2:3], v[20:21], -v[22:23], v[2:3]
	s_delay_alu instid0(VALU_DEP_2) | instskip(NEXT) | instid1(VALU_DEP_1)
	v_fmaak_f64 v[18:19], v[0:1], v[18:19], 0x3efa01a019f4ec90
	v_fmaak_f64 v[18:19], v[0:1], v[18:19], 0xbf56c16c16c16967
	v_fma_f64 v[22:23], v[0:1], v[34:35], -v[22:23]
	s_delay_alu instid0(VALU_DEP_2) | instskip(NEXT) | instid1(VALU_DEP_1)
	v_fmaak_f64 v[0:1], v[0:1], v[18:19], 0x3fa5555555555555
	v_fmac_f64_e32 v[2:3], v[38:39], v[0:1]
	s_delay_alu instid0(VALU_DEP_3) | instskip(NEXT) | instid1(VALU_DEP_1)
	v_fmamk_f64 v[0:1], v[36:37], 0xbfc5555555555555, v[22:23]
	v_add_f64_e64 v[0:1], v[20:21], -v[0:1]
	s_delay_alu instid0(VALU_DEP_3) | instskip(NEXT) | instid1(VALU_DEP_1)
	v_add_f64_e32 v[2:3], v[16:17], v[2:3]
	v_dual_cndmask_b32 v0, v2, v0, vcc_lo :: v_dual_lshlrev_b32 v2, 30, v7
	s_delay_alu instid0(VALU_DEP_1) | instskip(NEXT) | instid1(VALU_DEP_2)
	v_dual_cndmask_b32 v1, v3, v1, vcc_lo :: v_dual_cndmask_b32 v0, 0, v0, s0
	v_xor_b32_e32 v2, v2, v11
	s_delay_alu instid0(VALU_DEP_1) | instskip(NEXT) | instid1(VALU_DEP_1)
	v_bitop3_b32 v1, v1, v2, 0x80000000 bitop3:0x78
	v_cndmask_b32_e64 v1, 0x7ff80000, v1, s0
	s_mov_b32 s0, -1
	s_cbranch_scc1 .LBB7_1899
; %bb.1821:
	s_mov_b32 s10, -1
	s_mov_b32 s3, 0
	s_cmp_gt_i32 s2, 25
	s_mov_b32 s0, 0
	s_cbranch_scc0 .LBB7_1854
; %bb.1822:
	s_cmp_gt_i32 s2, 28
	s_cbranch_scc0 .LBB7_1837
; %bb.1823:
	s_cmp_gt_i32 s2, 43
	;; [unrolled: 3-line block ×3, first 2 shown]
	s_cbranch_scc0 .LBB7_1827
; %bb.1825:
	s_mov_b32 s0, -1
	s_mov_b32 s10, 0
	s_cmp_eq_u32 s2, 46
	s_cbranch_scc0 .LBB7_1827
; %bb.1826:
	v_cvt_f32_f64_e32 v2, v[0:1]
	s_mov_b32 s0, 0
	s_mov_b32 s7, -1
	s_delay_alu instid0(VALU_DEP_1) | instskip(SKIP_1) | instid1(VALU_DEP_2)
	v_bfe_u32 v3, v2, 16, 1
	v_cmp_o_f32_e32 vcc_lo, v2, v2
	v_add3_u32 v3, v2, v3, 0x7fff
	s_delay_alu instid0(VALU_DEP_1) | instskip(NEXT) | instid1(VALU_DEP_1)
	v_lshrrev_b32_e32 v3, 16, v3
	v_cndmask_b32_e32 v2, 0x7fc0, v3, vcc_lo
	global_store_b32 v[8:9], v2, off
.LBB7_1827:
	s_and_b32 vcc_lo, exec_lo, s10
	s_cbranch_vccz .LBB7_1832
; %bb.1828:
	s_cmp_eq_u32 s2, 44
	s_mov_b32 s0, -1
	s_cbranch_scc0 .LBB7_1832
; %bb.1829:
	s_wait_xcnt 0x0
	v_cvt_f32_f64_e32 v2, v[0:1]
	v_mov_b32_e32 v3, 0xff
	s_mov_b32 s7, exec_lo
	s_delay_alu instid0(VALU_DEP_2) | instskip(NEXT) | instid1(VALU_DEP_1)
	v_bfe_u32 v5, v2, 23, 8
	v_cmpx_ne_u32_e32 0xff, v5
	s_cbranch_execz .LBB7_1831
; %bb.1830:
	v_and_b32_e32 v3, 0x400000, v2
	v_and_or_b32 v5, 0x3fffff, v2, v5
	v_lshrrev_b32_e32 v2, 23, v2
	s_delay_alu instid0(VALU_DEP_3) | instskip(NEXT) | instid1(VALU_DEP_3)
	v_cmp_ne_u32_e32 vcc_lo, 0, v3
	v_cmp_ne_u32_e64 s0, 0, v5
	s_and_b32 s0, vcc_lo, s0
	s_delay_alu instid0(SALU_CYCLE_1) | instskip(NEXT) | instid1(VALU_DEP_1)
	v_cndmask_b32_e64 v3, 0, 1, s0
	v_add_nc_u32_e32 v3, v2, v3
.LBB7_1831:
	s_or_b32 exec_lo, exec_lo, s7
	s_mov_b32 s0, 0
	s_mov_b32 s7, -1
	global_store_b8 v[8:9], v3, off
.LBB7_1832:
	s_mov_b32 s10, 0
.LBB7_1833:
	s_delay_alu instid0(SALU_CYCLE_1)
	s_and_b32 vcc_lo, exec_lo, s10
	s_cbranch_vccz .LBB7_1836
; %bb.1834:
	s_cmp_eq_u32 s2, 29
	s_mov_b32 s0, -1
	s_cbranch_scc0 .LBB7_1836
; %bb.1835:
	s_wait_xcnt 0x0
	v_trunc_f64_e32 v[2:3], v[0:1]
	s_mov_b32 s0, 0
	s_mov_b32 s7, -1
	s_delay_alu instid0(VALU_DEP_1) | instskip(NEXT) | instid1(VALU_DEP_1)
	v_ldexp_f64 v[10:11], v[2:3], 0xffffffe0
	v_floor_f64_e32 v[10:11], v[10:11]
	s_delay_alu instid0(VALU_DEP_1) | instskip(SKIP_1) | instid1(VALU_DEP_2)
	v_fmamk_f64 v[2:3], v[10:11], 0xc1f00000, v[2:3]
	v_cvt_u32_f64_e32 v11, v[10:11]
	v_cvt_u32_f64_e32 v10, v[2:3]
	global_store_b64 v[8:9], v[10:11], off
.LBB7_1836:
	s_mov_b32 s10, 0
.LBB7_1837:
	s_delay_alu instid0(SALU_CYCLE_1)
	s_and_b32 vcc_lo, exec_lo, s10
	s_cbranch_vccz .LBB7_1853
; %bb.1838:
	s_cmp_lt_i32 s2, 27
	s_mov_b32 s7, -1
	s_cbranch_scc1 .LBB7_1844
; %bb.1839:
	s_cmp_gt_i32 s2, 27
	s_cbranch_scc0 .LBB7_1841
; %bb.1840:
	s_wait_xcnt 0x0
	v_cvt_u32_f64_e32 v2, v[0:1]
	s_mov_b32 s7, 0
	global_store_b32 v[8:9], v2, off
.LBB7_1841:
	s_and_not1_b32 vcc_lo, exec_lo, s7
	s_cbranch_vccnz .LBB7_1843
; %bb.1842:
	s_wait_xcnt 0x0
	v_cvt_u32_f64_e32 v2, v[0:1]
	global_store_b16 v[8:9], v2, off
.LBB7_1843:
	s_mov_b32 s7, 0
.LBB7_1844:
	s_delay_alu instid0(SALU_CYCLE_1)
	s_and_not1_b32 vcc_lo, exec_lo, s7
	s_cbranch_vccnz .LBB7_1852
; %bb.1845:
	s_wait_xcnt 0x0
	v_cvt_f32_f64_e32 v2, v[0:1]
	v_mov_b32_e32 v5, 0x80
	s_mov_b32 s7, exec_lo
	s_delay_alu instid0(VALU_DEP_2) | instskip(NEXT) | instid1(VALU_DEP_1)
	v_and_b32_e32 v3, 0x7fffffff, v2
	v_cmpx_gt_u32_e32 0x43800000, v3
	s_cbranch_execz .LBB7_1851
; %bb.1846:
	v_cmp_lt_u32_e32 vcc_lo, 0x3bffffff, v3
	s_mov_b32 s10, 0
                                        ; implicit-def: $vgpr3
	s_and_saveexec_b32 s11, vcc_lo
	s_delay_alu instid0(SALU_CYCLE_1)
	s_xor_b32 s11, exec_lo, s11
	s_cbranch_execz .LBB7_2183
; %bb.1847:
	v_bfe_u32 v3, v2, 20, 1
	s_mov_b32 s10, exec_lo
	s_delay_alu instid0(VALU_DEP_1) | instskip(NEXT) | instid1(VALU_DEP_1)
	v_add3_u32 v3, v2, v3, 0x487ffff
	v_lshrrev_b32_e32 v3, 20, v3
	s_and_not1_saveexec_b32 s11, s11
	s_cbranch_execnz .LBB7_2184
.LBB7_1848:
	s_or_b32 exec_lo, exec_lo, s11
	v_mov_b32_e32 v5, 0
	s_and_saveexec_b32 s11, s10
.LBB7_1849:
	v_lshrrev_b32_e32 v2, 24, v2
	s_delay_alu instid0(VALU_DEP_1)
	v_and_or_b32 v5, 0x80, v2, v3
.LBB7_1850:
	s_or_b32 exec_lo, exec_lo, s11
.LBB7_1851:
	s_delay_alu instid0(SALU_CYCLE_1)
	s_or_b32 exec_lo, exec_lo, s7
	global_store_b8 v[8:9], v5, off
.LBB7_1852:
	s_mov_b32 s7, -1
.LBB7_1853:
	s_mov_b32 s10, 0
.LBB7_1854:
	s_delay_alu instid0(SALU_CYCLE_1)
	s_and_b32 vcc_lo, exec_lo, s10
	s_cbranch_vccz .LBB7_1894
; %bb.1855:
	s_cmp_gt_i32 s2, 22
	s_mov_b32 s3, -1
	s_cbranch_scc0 .LBB7_1887
; %bb.1856:
	s_cmp_lt_i32 s2, 24
	s_cbranch_scc1 .LBB7_1876
; %bb.1857:
	s_cmp_gt_i32 s2, 24
	s_cbranch_scc0 .LBB7_1865
; %bb.1858:
	s_wait_xcnt 0x0
	v_cvt_f32_f64_e32 v2, v[0:1]
	v_mov_b32_e32 v5, 0x80
	s_mov_b32 s3, exec_lo
	s_delay_alu instid0(VALU_DEP_2) | instskip(NEXT) | instid1(VALU_DEP_1)
	v_and_b32_e32 v3, 0x7fffffff, v2
	v_cmpx_gt_u32_e32 0x47800000, v3
	s_cbranch_execz .LBB7_1864
; %bb.1859:
	v_cmp_lt_u32_e32 vcc_lo, 0x37ffffff, v3
	s_mov_b32 s7, 0
                                        ; implicit-def: $vgpr3
	s_and_saveexec_b32 s10, vcc_lo
	s_delay_alu instid0(SALU_CYCLE_1)
	s_xor_b32 s10, exec_lo, s10
	s_cbranch_execz .LBB7_2186
; %bb.1860:
	v_bfe_u32 v3, v2, 21, 1
	s_mov_b32 s7, exec_lo
	s_delay_alu instid0(VALU_DEP_1) | instskip(NEXT) | instid1(VALU_DEP_1)
	v_add3_u32 v3, v2, v3, 0x88fffff
	v_lshrrev_b32_e32 v3, 21, v3
	s_and_not1_saveexec_b32 s10, s10
	s_cbranch_execnz .LBB7_2187
.LBB7_1861:
	s_or_b32 exec_lo, exec_lo, s10
	v_mov_b32_e32 v5, 0
	s_and_saveexec_b32 s10, s7
.LBB7_1862:
	v_lshrrev_b32_e32 v2, 24, v2
	s_delay_alu instid0(VALU_DEP_1)
	v_and_or_b32 v5, 0x80, v2, v3
.LBB7_1863:
	s_or_b32 exec_lo, exec_lo, s10
.LBB7_1864:
	s_delay_alu instid0(SALU_CYCLE_1)
	s_or_b32 exec_lo, exec_lo, s3
	s_mov_b32 s3, 0
	global_store_b8 v[8:9], v5, off
.LBB7_1865:
	s_and_b32 vcc_lo, exec_lo, s3
	s_cbranch_vccz .LBB7_1875
; %bb.1866:
	s_wait_xcnt 0x0
	v_cvt_f32_f64_e32 v2, v[0:1]
	s_mov_b32 s3, exec_lo
                                        ; implicit-def: $vgpr3
	s_delay_alu instid0(VALU_DEP_1) | instskip(NEXT) | instid1(VALU_DEP_1)
	v_and_b32_e32 v5, 0x7fffffff, v2
	v_cmpx_gt_u32_e32 0x43f00000, v5
	s_xor_b32 s3, exec_lo, s3
	s_cbranch_execz .LBB7_1872
; %bb.1867:
	s_mov_b32 s7, exec_lo
                                        ; implicit-def: $vgpr3
	v_cmpx_lt_u32_e32 0x3c7fffff, v5
	s_xor_b32 s7, exec_lo, s7
; %bb.1868:
	v_bfe_u32 v3, v2, 20, 1
	s_delay_alu instid0(VALU_DEP_1) | instskip(NEXT) | instid1(VALU_DEP_1)
	v_add3_u32 v3, v2, v3, 0x407ffff
	v_and_b32_e32 v5, 0xff00000, v3
	v_lshrrev_b32_e32 v3, 20, v3
	s_delay_alu instid0(VALU_DEP_2) | instskip(NEXT) | instid1(VALU_DEP_2)
	v_cmp_ne_u32_e32 vcc_lo, 0x7f00000, v5
	v_cndmask_b32_e32 v3, 0x7e, v3, vcc_lo
; %bb.1869:
	s_and_not1_saveexec_b32 s7, s7
; %bb.1870:
	v_add_f32_e64 v3, 0x46800000, |v2|
; %bb.1871:
	s_or_b32 exec_lo, exec_lo, s7
                                        ; implicit-def: $vgpr5
.LBB7_1872:
	s_and_not1_saveexec_b32 s3, s3
; %bb.1873:
	v_mov_b32_e32 v3, 0x7f
	v_cmp_lt_u32_e32 vcc_lo, 0x7f800000, v5
	s_delay_alu instid0(VALU_DEP_2)
	v_cndmask_b32_e32 v3, 0x7e, v3, vcc_lo
; %bb.1874:
	s_or_b32 exec_lo, exec_lo, s3
	v_lshrrev_b32_e32 v2, 24, v2
	s_delay_alu instid0(VALU_DEP_1)
	v_and_or_b32 v2, 0x80, v2, v3
	global_store_b8 v[8:9], v2, off
.LBB7_1875:
	s_mov_b32 s3, 0
.LBB7_1876:
	s_delay_alu instid0(SALU_CYCLE_1)
	s_and_not1_b32 vcc_lo, exec_lo, s3
	s_cbranch_vccnz .LBB7_1886
; %bb.1877:
	s_wait_xcnt 0x0
	v_cvt_f32_f64_e32 v2, v[0:1]
	s_mov_b32 s3, exec_lo
                                        ; implicit-def: $vgpr3
	s_delay_alu instid0(VALU_DEP_1) | instskip(NEXT) | instid1(VALU_DEP_1)
	v_and_b32_e32 v5, 0x7fffffff, v2
	v_cmpx_gt_u32_e32 0x47800000, v5
	s_xor_b32 s3, exec_lo, s3
	s_cbranch_execz .LBB7_1883
; %bb.1878:
	s_mov_b32 s7, exec_lo
                                        ; implicit-def: $vgpr3
	v_cmpx_lt_u32_e32 0x387fffff, v5
	s_xor_b32 s7, exec_lo, s7
; %bb.1879:
	v_bfe_u32 v3, v2, 21, 1
	s_delay_alu instid0(VALU_DEP_1) | instskip(NEXT) | instid1(VALU_DEP_1)
	v_add3_u32 v3, v2, v3, 0x80fffff
	v_lshrrev_b32_e32 v3, 21, v3
; %bb.1880:
	s_and_not1_saveexec_b32 s7, s7
; %bb.1881:
	v_add_f32_e64 v3, 0x43000000, |v2|
; %bb.1882:
	s_or_b32 exec_lo, exec_lo, s7
                                        ; implicit-def: $vgpr5
.LBB7_1883:
	s_and_not1_saveexec_b32 s3, s3
; %bb.1884:
	v_mov_b32_e32 v3, 0x7f
	v_cmp_lt_u32_e32 vcc_lo, 0x7f800000, v5
	s_delay_alu instid0(VALU_DEP_2)
	v_cndmask_b32_e32 v3, 0x7c, v3, vcc_lo
; %bb.1885:
	s_or_b32 exec_lo, exec_lo, s3
	v_lshrrev_b32_e32 v2, 24, v2
	s_delay_alu instid0(VALU_DEP_1)
	v_and_or_b32 v2, 0x80, v2, v3
	global_store_b8 v[8:9], v2, off
.LBB7_1886:
	s_mov_b32 s3, 0
	s_mov_b32 s7, -1
.LBB7_1887:
	s_and_not1_b32 vcc_lo, exec_lo, s3
	s_mov_b32 s3, 0
	s_cbranch_vccnz .LBB7_1894
; %bb.1888:
	s_cmp_gt_i32 s2, 14
	s_mov_b32 s3, -1
	s_cbranch_scc0 .LBB7_1892
; %bb.1889:
	s_cmp_eq_u32 s2, 15
	s_mov_b32 s0, -1
	s_cbranch_scc0 .LBB7_1891
; %bb.1890:
	s_wait_xcnt 0x0
	v_cvt_f32_f64_e32 v2, v[0:1]
	s_mov_b32 s0, 0
	s_mov_b32 s7, -1
	s_delay_alu instid0(VALU_DEP_1) | instskip(SKIP_1) | instid1(VALU_DEP_2)
	v_bfe_u32 v3, v2, 16, 1
	v_cmp_o_f32_e32 vcc_lo, v2, v2
	v_add3_u32 v3, v2, v3, 0x7fff
	s_delay_alu instid0(VALU_DEP_1) | instskip(NEXT) | instid1(VALU_DEP_1)
	v_lshrrev_b32_e32 v3, 16, v3
	v_cndmask_b32_e32 v2, 0x7fc0, v3, vcc_lo
	global_store_b16 v[8:9], v2, off
.LBB7_1891:
	s_mov_b32 s3, 0
.LBB7_1892:
	s_delay_alu instid0(SALU_CYCLE_1)
	s_and_b32 vcc_lo, exec_lo, s3
	s_mov_b32 s3, 0
	s_cbranch_vccz .LBB7_1894
; %bb.1893:
	s_cmp_lg_u32 s2, 11
	s_mov_b32 s3, -1
	s_cselect_b32 s0, -1, 0
.LBB7_1894:
	s_delay_alu instid0(SALU_CYCLE_1)
	s_and_b32 vcc_lo, exec_lo, s0
	s_cbranch_vccnz .LBB7_2185
; %bb.1895:
	s_and_not1_b32 vcc_lo, exec_lo, s3
	s_cbranch_vccnz .LBB7_1897
.LBB7_1896:
	v_cmp_neq_f64_e32 vcc_lo, 0, v[0:1]
	s_mov_b32 s7, -1
	s_wait_xcnt 0x0
	v_cndmask_b32_e64 v2, 0, 1, vcc_lo
	global_store_b8 v[8:9], v2, off
.LBB7_1897:
.LBB7_1898:
	s_and_not1_b32 vcc_lo, exec_lo, s7
	s_cbranch_vccz .LBB7_1938
	s_branch .LBB7_2132
.LBB7_1899:
	s_and_b32 vcc_lo, exec_lo, s0
	s_cbranch_vccz .LBB7_1898
; %bb.1900:
	s_cmp_lt_i32 s2, 5
	s_mov_b32 s0, -1
	s_cbranch_scc1 .LBB7_1921
; %bb.1901:
	s_cmp_lt_i32 s2, 8
	s_cbranch_scc1 .LBB7_1911
; %bb.1902:
	s_cmp_lt_i32 s2, 9
	s_cbranch_scc1 .LBB7_1908
; %bb.1903:
	s_cmp_gt_i32 s2, 9
	s_cbranch_scc0 .LBB7_1905
; %bb.1904:
	s_wait_xcnt 0x0
	v_mov_b64_e32 v[2:3], 0
	s_mov_b32 s0, 0
	global_store_b128 v[8:9], v[0:3], off
.LBB7_1905:
	s_and_not1_b32 vcc_lo, exec_lo, s0
	s_cbranch_vccnz .LBB7_1907
; %bb.1906:
	s_wait_xcnt 0x0
	v_cvt_f32_f64_e32 v2, v[0:1]
	v_mov_b32_e32 v3, 0
	global_store_b64 v[8:9], v[2:3], off
.LBB7_1907:
	s_mov_b32 s0, 0
.LBB7_1908:
	s_delay_alu instid0(SALU_CYCLE_1)
	s_and_not1_b32 vcc_lo, exec_lo, s0
	s_cbranch_vccnz .LBB7_1910
; %bb.1909:
	s_wait_xcnt 0x0
	v_and_or_b32 v2, 0x1ff, v1, v0
	v_lshrrev_b32_e32 v3, 8, v1
	v_bfe_u32 v5, v1, 20, 11
	s_delay_alu instid0(VALU_DEP_3) | instskip(NEXT) | instid1(VALU_DEP_2)
	v_cmp_ne_u32_e32 vcc_lo, 0, v2
	v_sub_nc_u32_e32 v7, 0x3f1, v5
	v_add_nc_u32_e32 v5, 0xfffffc10, v5
	v_cndmask_b32_e64 v2, 0, 1, vcc_lo
	s_delay_alu instid0(VALU_DEP_1) | instskip(NEXT) | instid1(VALU_DEP_4)
	v_and_or_b32 v2, 0xffe, v3, v2
	v_med3_i32 v3, v7, 0, 13
	s_delay_alu instid0(VALU_DEP_2) | instskip(NEXT) | instid1(VALU_DEP_1)
	v_or_b32_e32 v7, 0x1000, v2
	v_lshrrev_b32_e32 v10, v3, v7
	s_delay_alu instid0(VALU_DEP_1) | instskip(NEXT) | instid1(VALU_DEP_1)
	v_lshlrev_b32_e32 v3, v3, v10
	v_cmp_ne_u32_e32 vcc_lo, v3, v7
	v_lshl_or_b32 v7, v5, 12, v2
	v_cndmask_b32_e64 v3, 0, 1, vcc_lo
	v_cmp_gt_i32_e32 vcc_lo, 1, v5
	s_delay_alu instid0(VALU_DEP_2) | instskip(NEXT) | instid1(VALU_DEP_1)
	v_or_b32_e32 v3, v10, v3
	v_cndmask_b32_e32 v3, v7, v3, vcc_lo
	s_delay_alu instid0(VALU_DEP_1) | instskip(NEXT) | instid1(VALU_DEP_1)
	v_dual_lshrrev_b32 v3, 2, v3 :: v_dual_bitop2_b32 v7, 7, v3 bitop3:0x40
	v_cmp_lt_i32_e32 vcc_lo, 5, v7
	v_cndmask_b32_e64 v10, 0, 1, vcc_lo
	v_cmp_eq_u32_e32 vcc_lo, 3, v7
	v_cndmask_b32_e64 v7, 0, 1, vcc_lo
	v_cmp_ne_u32_e32 vcc_lo, 0, v2
	s_delay_alu instid0(VALU_DEP_2) | instskip(NEXT) | instid1(VALU_DEP_1)
	v_or_b32_e32 v7, v7, v10
	v_dual_mov_b32 v10, 0x7e00 :: v_dual_add_nc_u32 v3, v3, v7
	s_delay_alu instid0(VALU_DEP_1) | instskip(SKIP_2) | instid1(VALU_DEP_4)
	v_cndmask_b32_e32 v2, 0x7c00, v10, vcc_lo
	v_cmp_gt_i32_e32 vcc_lo, 31, v5
	v_lshrrev_b32_e32 v7, 16, v1
	v_cndmask_b32_e32 v3, 0x7c00, v3, vcc_lo
	v_cmp_eq_u32_e32 vcc_lo, 0x40f, v5
	s_delay_alu instid0(VALU_DEP_2) | instskip(NEXT) | instid1(VALU_DEP_4)
	v_cndmask_b32_e32 v2, v3, v2, vcc_lo
	v_and_b32_e32 v3, 0x8000, v7
	s_delay_alu instid0(VALU_DEP_1)
	v_bitop3_b32 v2, v3, 0xffff, v2 bitop3:0xc8
	global_store_b32 v[8:9], v2, off
.LBB7_1910:
	s_mov_b32 s0, 0
.LBB7_1911:
	s_delay_alu instid0(SALU_CYCLE_1)
	s_and_not1_b32 vcc_lo, exec_lo, s0
	s_cbranch_vccnz .LBB7_1920
; %bb.1912:
	s_cmp_lt_i32 s2, 6
	s_mov_b32 s0, -1
	s_cbranch_scc1 .LBB7_1918
; %bb.1913:
	s_cmp_gt_i32 s2, 6
	s_cbranch_scc0 .LBB7_1915
; %bb.1914:
	s_mov_b32 s0, 0
	global_store_b64 v[8:9], v[0:1], off
.LBB7_1915:
	s_and_not1_b32 vcc_lo, exec_lo, s0
	s_cbranch_vccnz .LBB7_1917
; %bb.1916:
	s_wait_xcnt 0x0
	v_cvt_f32_f64_e32 v2, v[0:1]
	global_store_b32 v[8:9], v2, off
.LBB7_1917:
	s_mov_b32 s0, 0
.LBB7_1918:
	s_delay_alu instid0(SALU_CYCLE_1)
	s_and_not1_b32 vcc_lo, exec_lo, s0
	s_cbranch_vccnz .LBB7_1920
; %bb.1919:
	s_wait_xcnt 0x0
	v_and_or_b32 v2, 0x1ff, v1, v0
	v_lshrrev_b32_e32 v3, 8, v1
	v_bfe_u32 v5, v1, 20, 11
	s_delay_alu instid0(VALU_DEP_3) | instskip(NEXT) | instid1(VALU_DEP_2)
	v_cmp_ne_u32_e32 vcc_lo, 0, v2
	v_sub_nc_u32_e32 v7, 0x3f1, v5
	v_add_nc_u32_e32 v5, 0xfffffc10, v5
	v_cndmask_b32_e64 v2, 0, 1, vcc_lo
	s_delay_alu instid0(VALU_DEP_1) | instskip(NEXT) | instid1(VALU_DEP_4)
	v_and_or_b32 v2, 0xffe, v3, v2
	v_med3_i32 v3, v7, 0, 13
	s_delay_alu instid0(VALU_DEP_2) | instskip(NEXT) | instid1(VALU_DEP_1)
	v_or_b32_e32 v7, 0x1000, v2
	v_lshrrev_b32_e32 v10, v3, v7
	s_delay_alu instid0(VALU_DEP_1) | instskip(NEXT) | instid1(VALU_DEP_1)
	v_lshlrev_b32_e32 v3, v3, v10
	v_cmp_ne_u32_e32 vcc_lo, v3, v7
	v_lshl_or_b32 v7, v5, 12, v2
	v_cndmask_b32_e64 v3, 0, 1, vcc_lo
	v_cmp_gt_i32_e32 vcc_lo, 1, v5
	s_delay_alu instid0(VALU_DEP_2) | instskip(NEXT) | instid1(VALU_DEP_1)
	v_or_b32_e32 v3, v10, v3
	v_cndmask_b32_e32 v3, v7, v3, vcc_lo
	s_delay_alu instid0(VALU_DEP_1) | instskip(NEXT) | instid1(VALU_DEP_1)
	v_dual_lshrrev_b32 v3, 2, v3 :: v_dual_bitop2_b32 v7, 7, v3 bitop3:0x40
	v_cmp_lt_i32_e32 vcc_lo, 5, v7
	v_cndmask_b32_e64 v10, 0, 1, vcc_lo
	v_cmp_eq_u32_e32 vcc_lo, 3, v7
	v_cndmask_b32_e64 v7, 0, 1, vcc_lo
	v_cmp_ne_u32_e32 vcc_lo, 0, v2
	s_delay_alu instid0(VALU_DEP_2) | instskip(NEXT) | instid1(VALU_DEP_1)
	v_or_b32_e32 v7, v7, v10
	v_dual_mov_b32 v10, 0x7e00 :: v_dual_add_nc_u32 v3, v3, v7
	s_delay_alu instid0(VALU_DEP_1) | instskip(SKIP_1) | instid1(VALU_DEP_3)
	v_cndmask_b32_e32 v2, 0x7c00, v10, vcc_lo
	v_cmp_gt_i32_e32 vcc_lo, 31, v5
	v_cndmask_b32_e32 v3, 0x7c00, v3, vcc_lo
	v_cmp_eq_u32_e32 vcc_lo, 0x40f, v5
	s_delay_alu instid0(VALU_DEP_2) | instskip(NEXT) | instid1(VALU_DEP_1)
	v_dual_cndmask_b32 v2, v3, v2 :: v_dual_lshrrev_b32 v3, 16, v1
	v_and_or_b32 v2, 0x8000, v3, v2
	global_store_b16 v[8:9], v2, off
.LBB7_1920:
	s_mov_b32 s0, 0
.LBB7_1921:
	s_delay_alu instid0(SALU_CYCLE_1)
	s_and_not1_b32 vcc_lo, exec_lo, s0
	s_cbranch_vccnz .LBB7_1937
; %bb.1922:
	s_cmp_lt_i32 s2, 2
	s_mov_b32 s0, -1
	s_cbranch_scc1 .LBB7_1932
; %bb.1923:
	s_cmp_lt_i32 s2, 3
	s_cbranch_scc1 .LBB7_1929
; %bb.1924:
	s_cmp_gt_i32 s2, 3
	s_cbranch_scc0 .LBB7_1926
; %bb.1925:
	s_wait_xcnt 0x0
	v_trunc_f64_e32 v[2:3], v[0:1]
	s_mov_b32 s0, 0
	s_delay_alu instid0(VALU_DEP_1) | instskip(NEXT) | instid1(VALU_DEP_1)
	v_ldexp_f64 v[10:11], v[2:3], 0xffffffe0
	v_floor_f64_e32 v[10:11], v[10:11]
	s_delay_alu instid0(VALU_DEP_1) | instskip(SKIP_1) | instid1(VALU_DEP_2)
	v_fmamk_f64 v[2:3], v[10:11], 0xc1f00000, v[2:3]
	v_cvt_i32_f64_e32 v11, v[10:11]
	v_cvt_u32_f64_e32 v10, v[2:3]
	global_store_b64 v[8:9], v[10:11], off
.LBB7_1926:
	s_and_not1_b32 vcc_lo, exec_lo, s0
	s_cbranch_vccnz .LBB7_1928
; %bb.1927:
	s_wait_xcnt 0x0
	v_cvt_i32_f64_e32 v2, v[0:1]
	global_store_b32 v[8:9], v2, off
.LBB7_1928:
	s_mov_b32 s0, 0
.LBB7_1929:
	s_delay_alu instid0(SALU_CYCLE_1)
	s_and_not1_b32 vcc_lo, exec_lo, s0
	s_cbranch_vccnz .LBB7_1931
; %bb.1930:
	s_wait_xcnt 0x0
	v_cvt_i32_f64_e32 v2, v[0:1]
	global_store_b16 v[8:9], v2, off
.LBB7_1931:
	s_mov_b32 s0, 0
.LBB7_1932:
	s_delay_alu instid0(SALU_CYCLE_1)
	s_and_not1_b32 vcc_lo, exec_lo, s0
	s_cbranch_vccnz .LBB7_1937
; %bb.1933:
	s_cmp_gt_i32 s2, 0
	s_mov_b32 s0, -1
	s_cbranch_scc0 .LBB7_1935
; %bb.1934:
	s_wait_xcnt 0x0
	v_cvt_i32_f64_e32 v2, v[0:1]
	s_mov_b32 s0, 0
	global_store_b8 v[8:9], v2, off
.LBB7_1935:
	s_and_not1_b32 vcc_lo, exec_lo, s0
	s_cbranch_vccnz .LBB7_1937
; %bb.1936:
	s_wait_xcnt 0x0
	v_trunc_f64_e32 v[0:1], v[0:1]
	s_delay_alu instid0(VALU_DEP_1) | instskip(NEXT) | instid1(VALU_DEP_1)
	v_ldexp_f64 v[2:3], v[0:1], 0xffffffe0
	v_floor_f64_e32 v[2:3], v[2:3]
	s_delay_alu instid0(VALU_DEP_1) | instskip(NEXT) | instid1(VALU_DEP_1)
	v_fmamk_f64 v[0:1], v[2:3], 0xc1f00000, v[0:1]
	v_cvt_u32_f64_e32 v0, v[0:1]
	global_store_b8 v[8:9], v0, off
.LBB7_1937:
.LBB7_1938:
	s_wait_xcnt 0x0
	v_dual_mul_f64 v[0:1], v[24:25], v[24:25] :: v_dual_mov_b32 v7, 0
	v_dual_mul_f64 v[16:17], 0.5, v[26:27] :: v_dual_bitop2_b32 v5, 1, v32 bitop3:0x40
	s_mov_b64 s[10:11], 0x3de5e0b2f9a43bb8
	v_cmp_class_f64_e64 s0, v[12:13], 0x1f8
	s_delay_alu instid0(VALU_DEP_3)
	v_add_nc_u64_e32 v[6:7], s[4:5], v[6:7]
	s_mov_b32 s7, 0
	v_cmp_eq_u32_e32 vcc_lo, 0, v5
	s_cmp_lt_i32 s2, 11
	v_mul_f64_e32 v[2:3], 0.5, v[0:1]
	v_mul_f64_e64 v[18:19], v[24:25], -v[0:1]
	v_fmaak_f64 v[20:21], s[10:11], v[0:1], 0xbe5ae600b42fdfa7
	s_mov_b64 s[10:11], 0xbda907db46cc5e42
	s_delay_alu instid0(VALU_DEP_3) | instskip(NEXT) | instid1(VALU_DEP_1)
	v_add_f64_e64 v[8:9], -v[2:3], 1.0
	v_add_f64_e64 v[10:11], -v[8:9], 1.0
	s_delay_alu instid0(VALU_DEP_1) | instskip(NEXT) | instid1(VALU_DEP_4)
	v_add_f64_e64 v[2:3], v[10:11], -v[2:3]
	v_fmaak_f64 v[10:11], v[0:1], v[20:21], 0x3ec71de3796cde01
	v_mul_f64_e32 v[20:21], v[0:1], v[0:1]
	s_delay_alu instid0(VALU_DEP_2) | instskip(NEXT) | instid1(VALU_DEP_1)
	v_fmaak_f64 v[10:11], v[0:1], v[10:11], 0xbf2a01a019e83e5c
	v_fmaak_f64 v[10:11], v[0:1], v[10:11], 0x3f81111111110bb3
	s_delay_alu instid0(VALU_DEP_1) | instskip(SKIP_1) | instid1(VALU_DEP_1)
	v_fmac_f64_e32 v[16:17], v[18:19], v[10:11]
	v_fmaak_f64 v[10:11], s[10:11], v[0:1], 0x3e21eeb69037ab78
	v_fmaak_f64 v[10:11], v[0:1], v[10:11], 0xbe927e4fa17f65f6
	v_fma_f64 v[2:3], v[24:25], -v[26:27], v[2:3]
	s_delay_alu instid0(VALU_DEP_2) | instskip(NEXT) | instid1(VALU_DEP_1)
	v_fmaak_f64 v[10:11], v[0:1], v[10:11], 0x3efa01a019f4ec90
	v_fmaak_f64 v[10:11], v[0:1], v[10:11], 0xbf56c16c16c16967
	v_fma_f64 v[16:17], v[0:1], v[16:17], -v[26:27]
	s_delay_alu instid0(VALU_DEP_2) | instskip(NEXT) | instid1(VALU_DEP_1)
	v_fmaak_f64 v[0:1], v[0:1], v[10:11], 0x3fa5555555555555
	v_fmac_f64_e32 v[2:3], v[20:21], v[0:1]
	s_delay_alu instid0(VALU_DEP_3) | instskip(NEXT) | instid1(VALU_DEP_1)
	v_fmamk_f64 v[0:1], v[18:19], 0xbfc5555555555555, v[16:17]
	v_add_f64_e64 v[0:1], v[24:25], -v[0:1]
	s_delay_alu instid0(VALU_DEP_3) | instskip(NEXT) | instid1(VALU_DEP_1)
	v_add_f64_e32 v[2:3], v[8:9], v[2:3]
	v_dual_cndmask_b32 v0, v2, v0 :: v_dual_cndmask_b32 v1, v3, v1
	v_lshlrev_b32_e32 v2, 30, v32
	s_delay_alu instid0(VALU_DEP_1) | instskip(NEXT) | instid1(VALU_DEP_1)
	v_dual_cndmask_b32 v0, 0, v0, s0 :: v_dual_bitop2_b32 v2, v2, v13 bitop3:0x14
	v_bitop3_b32 v1, v1, v2, 0x80000000 bitop3:0x78
	s_delay_alu instid0(VALU_DEP_1)
	v_cndmask_b32_e64 v1, 0x7ff80000, v1, s0
	s_mov_b32 s0, -1
	s_cbranch_scc1 .LBB7_2093
; %bb.1939:
	s_mov_b32 s10, -1
	s_mov_b32 s3, 0
	s_cmp_gt_i32 s2, 25
	s_mov_b32 s0, 0
	s_cbranch_scc0 .LBB7_1972
; %bb.1940:
	s_cmp_gt_i32 s2, 28
	s_cbranch_scc0 .LBB7_1955
; %bb.1941:
	s_cmp_gt_i32 s2, 43
	;; [unrolled: 3-line block ×3, first 2 shown]
	s_cbranch_scc0 .LBB7_1945
; %bb.1943:
	s_mov_b32 s0, -1
	s_mov_b32 s10, 0
	s_cmp_eq_u32 s2, 46
	s_cbranch_scc0 .LBB7_1945
; %bb.1944:
	v_cvt_f32_f64_e32 v2, v[0:1]
	s_mov_b32 s0, 0
	s_mov_b32 s7, -1
	s_delay_alu instid0(VALU_DEP_1) | instskip(SKIP_1) | instid1(VALU_DEP_2)
	v_bfe_u32 v3, v2, 16, 1
	v_cmp_o_f32_e32 vcc_lo, v2, v2
	v_add3_u32 v3, v2, v3, 0x7fff
	s_delay_alu instid0(VALU_DEP_1) | instskip(NEXT) | instid1(VALU_DEP_1)
	v_lshrrev_b32_e32 v3, 16, v3
	v_cndmask_b32_e32 v2, 0x7fc0, v3, vcc_lo
	global_store_b32 v[6:7], v2, off
.LBB7_1945:
	s_and_b32 vcc_lo, exec_lo, s10
	s_cbranch_vccz .LBB7_1950
; %bb.1946:
	s_cmp_eq_u32 s2, 44
	s_mov_b32 s0, -1
	s_cbranch_scc0 .LBB7_1950
; %bb.1947:
	s_wait_xcnt 0x0
	v_cvt_f32_f64_e32 v2, v[0:1]
	v_mov_b32_e32 v3, 0xff
	s_mov_b32 s7, exec_lo
	s_delay_alu instid0(VALU_DEP_2) | instskip(NEXT) | instid1(VALU_DEP_1)
	v_bfe_u32 v5, v2, 23, 8
	v_cmpx_ne_u32_e32 0xff, v5
	s_cbranch_execz .LBB7_1949
; %bb.1948:
	v_and_b32_e32 v3, 0x400000, v2
	v_and_or_b32 v5, 0x3fffff, v2, v5
	v_lshrrev_b32_e32 v2, 23, v2
	s_delay_alu instid0(VALU_DEP_3) | instskip(NEXT) | instid1(VALU_DEP_3)
	v_cmp_ne_u32_e32 vcc_lo, 0, v3
	v_cmp_ne_u32_e64 s0, 0, v5
	s_and_b32 s0, vcc_lo, s0
	s_delay_alu instid0(SALU_CYCLE_1) | instskip(NEXT) | instid1(VALU_DEP_1)
	v_cndmask_b32_e64 v3, 0, 1, s0
	v_add_nc_u32_e32 v3, v2, v3
.LBB7_1949:
	s_or_b32 exec_lo, exec_lo, s7
	s_mov_b32 s0, 0
	s_mov_b32 s7, -1
	global_store_b8 v[6:7], v3, off
.LBB7_1950:
	s_mov_b32 s10, 0
.LBB7_1951:
	s_delay_alu instid0(SALU_CYCLE_1)
	s_and_b32 vcc_lo, exec_lo, s10
	s_cbranch_vccz .LBB7_1954
; %bb.1952:
	s_cmp_eq_u32 s2, 29
	s_mov_b32 s0, -1
	s_cbranch_scc0 .LBB7_1954
; %bb.1953:
	s_wait_xcnt 0x0
	v_trunc_f64_e32 v[2:3], v[0:1]
	s_mov_b32 s0, 0
	s_mov_b32 s7, -1
	s_delay_alu instid0(VALU_DEP_1) | instskip(NEXT) | instid1(VALU_DEP_1)
	v_ldexp_f64 v[8:9], v[2:3], 0xffffffe0
	v_floor_f64_e32 v[8:9], v[8:9]
	s_delay_alu instid0(VALU_DEP_1) | instskip(SKIP_1) | instid1(VALU_DEP_2)
	v_fmamk_f64 v[2:3], v[8:9], 0xc1f00000, v[2:3]
	v_cvt_u32_f64_e32 v9, v[8:9]
	v_cvt_u32_f64_e32 v8, v[2:3]
	global_store_b64 v[6:7], v[8:9], off
.LBB7_1954:
	s_mov_b32 s10, 0
.LBB7_1955:
	s_delay_alu instid0(SALU_CYCLE_1)
	s_and_b32 vcc_lo, exec_lo, s10
	s_cbranch_vccz .LBB7_1971
; %bb.1956:
	s_cmp_lt_i32 s2, 27
	s_mov_b32 s7, -1
	s_cbranch_scc1 .LBB7_1962
; %bb.1957:
	s_wait_xcnt 0x0
	v_cvt_u32_f64_e32 v2, v[0:1]
	s_cmp_gt_i32 s2, 27
	s_cbranch_scc0 .LBB7_1959
; %bb.1958:
	s_mov_b32 s7, 0
	global_store_b32 v[6:7], v2, off
.LBB7_1959:
	s_and_not1_b32 vcc_lo, exec_lo, s7
	s_cbranch_vccnz .LBB7_1961
; %bb.1960:
	global_store_b16 v[6:7], v2, off
.LBB7_1961:
	s_mov_b32 s7, 0
.LBB7_1962:
	s_delay_alu instid0(SALU_CYCLE_1)
	s_and_not1_b32 vcc_lo, exec_lo, s7
	s_cbranch_vccnz .LBB7_1970
; %bb.1963:
	s_wait_xcnt 0x0
	v_cvt_f32_f64_e32 v2, v[0:1]
	v_mov_b32_e32 v5, 0x80
	s_mov_b32 s7, exec_lo
	s_delay_alu instid0(VALU_DEP_2) | instskip(NEXT) | instid1(VALU_DEP_1)
	v_and_b32_e32 v3, 0x7fffffff, v2
	v_cmpx_gt_u32_e32 0x43800000, v3
	s_cbranch_execz .LBB7_1969
; %bb.1964:
	v_cmp_lt_u32_e32 vcc_lo, 0x3bffffff, v3
	s_mov_b32 s10, 0
                                        ; implicit-def: $vgpr3
	s_and_saveexec_b32 s11, vcc_lo
	s_delay_alu instid0(SALU_CYCLE_1)
	s_xor_b32 s11, exec_lo, s11
	s_cbranch_execz .LBB7_2188
; %bb.1965:
	v_bfe_u32 v3, v2, 20, 1
	s_mov_b32 s10, exec_lo
	s_delay_alu instid0(VALU_DEP_1) | instskip(NEXT) | instid1(VALU_DEP_1)
	v_add3_u32 v3, v2, v3, 0x487ffff
	v_lshrrev_b32_e32 v3, 20, v3
	s_and_not1_saveexec_b32 s11, s11
	s_cbranch_execnz .LBB7_2189
.LBB7_1966:
	s_or_b32 exec_lo, exec_lo, s11
	v_mov_b32_e32 v5, 0
	s_and_saveexec_b32 s11, s10
.LBB7_1967:
	v_lshrrev_b32_e32 v2, 24, v2
	s_delay_alu instid0(VALU_DEP_1)
	v_and_or_b32 v5, 0x80, v2, v3
.LBB7_1968:
	s_or_b32 exec_lo, exec_lo, s11
.LBB7_1969:
	s_delay_alu instid0(SALU_CYCLE_1)
	s_or_b32 exec_lo, exec_lo, s7
	global_store_b8 v[6:7], v5, off
.LBB7_1970:
	s_mov_b32 s7, -1
.LBB7_1971:
	s_mov_b32 s10, 0
.LBB7_1972:
	s_delay_alu instid0(SALU_CYCLE_1)
	s_and_b32 vcc_lo, exec_lo, s10
	s_cbranch_vccz .LBB7_2012
; %bb.1973:
	s_cmp_gt_i32 s2, 22
	s_mov_b32 s3, -1
	s_cbranch_scc0 .LBB7_2005
; %bb.1974:
	s_cmp_lt_i32 s2, 24
	s_cbranch_scc1 .LBB7_1994
; %bb.1975:
	s_cmp_gt_i32 s2, 24
	s_cbranch_scc0 .LBB7_1983
; %bb.1976:
	s_wait_xcnt 0x0
	v_cvt_f32_f64_e32 v2, v[0:1]
	v_mov_b32_e32 v5, 0x80
	s_mov_b32 s3, exec_lo
	s_delay_alu instid0(VALU_DEP_2) | instskip(NEXT) | instid1(VALU_DEP_1)
	v_and_b32_e32 v3, 0x7fffffff, v2
	v_cmpx_gt_u32_e32 0x47800000, v3
	s_cbranch_execz .LBB7_1982
; %bb.1977:
	v_cmp_lt_u32_e32 vcc_lo, 0x37ffffff, v3
	s_mov_b32 s7, 0
                                        ; implicit-def: $vgpr3
	s_and_saveexec_b32 s10, vcc_lo
	s_delay_alu instid0(SALU_CYCLE_1)
	s_xor_b32 s10, exec_lo, s10
	s_cbranch_execz .LBB7_2191
; %bb.1978:
	v_bfe_u32 v3, v2, 21, 1
	s_mov_b32 s7, exec_lo
	s_delay_alu instid0(VALU_DEP_1) | instskip(NEXT) | instid1(VALU_DEP_1)
	v_add3_u32 v3, v2, v3, 0x88fffff
	v_lshrrev_b32_e32 v3, 21, v3
	s_and_not1_saveexec_b32 s10, s10
	s_cbranch_execnz .LBB7_2192
.LBB7_1979:
	s_or_b32 exec_lo, exec_lo, s10
	v_mov_b32_e32 v5, 0
	s_and_saveexec_b32 s10, s7
.LBB7_1980:
	v_lshrrev_b32_e32 v2, 24, v2
	s_delay_alu instid0(VALU_DEP_1)
	v_and_or_b32 v5, 0x80, v2, v3
.LBB7_1981:
	s_or_b32 exec_lo, exec_lo, s10
.LBB7_1982:
	s_delay_alu instid0(SALU_CYCLE_1)
	s_or_b32 exec_lo, exec_lo, s3
	s_mov_b32 s3, 0
	global_store_b8 v[6:7], v5, off
.LBB7_1983:
	s_and_b32 vcc_lo, exec_lo, s3
	s_cbranch_vccz .LBB7_1993
; %bb.1984:
	s_wait_xcnt 0x0
	v_cvt_f32_f64_e32 v2, v[0:1]
	s_mov_b32 s3, exec_lo
                                        ; implicit-def: $vgpr3
	s_delay_alu instid0(VALU_DEP_1) | instskip(NEXT) | instid1(VALU_DEP_1)
	v_and_b32_e32 v5, 0x7fffffff, v2
	v_cmpx_gt_u32_e32 0x43f00000, v5
	s_xor_b32 s3, exec_lo, s3
	s_cbranch_execz .LBB7_1990
; %bb.1985:
	s_mov_b32 s7, exec_lo
                                        ; implicit-def: $vgpr3
	v_cmpx_lt_u32_e32 0x3c7fffff, v5
	s_xor_b32 s7, exec_lo, s7
; %bb.1986:
	v_bfe_u32 v3, v2, 20, 1
	s_delay_alu instid0(VALU_DEP_1) | instskip(NEXT) | instid1(VALU_DEP_1)
	v_add3_u32 v3, v2, v3, 0x407ffff
	v_and_b32_e32 v5, 0xff00000, v3
	v_lshrrev_b32_e32 v3, 20, v3
	s_delay_alu instid0(VALU_DEP_2) | instskip(NEXT) | instid1(VALU_DEP_2)
	v_cmp_ne_u32_e32 vcc_lo, 0x7f00000, v5
	v_cndmask_b32_e32 v3, 0x7e, v3, vcc_lo
; %bb.1987:
	s_and_not1_saveexec_b32 s7, s7
; %bb.1988:
	v_add_f32_e64 v3, 0x46800000, |v2|
; %bb.1989:
	s_or_b32 exec_lo, exec_lo, s7
                                        ; implicit-def: $vgpr5
.LBB7_1990:
	s_and_not1_saveexec_b32 s3, s3
; %bb.1991:
	v_mov_b32_e32 v3, 0x7f
	v_cmp_lt_u32_e32 vcc_lo, 0x7f800000, v5
	s_delay_alu instid0(VALU_DEP_2)
	v_cndmask_b32_e32 v3, 0x7e, v3, vcc_lo
; %bb.1992:
	s_or_b32 exec_lo, exec_lo, s3
	v_lshrrev_b32_e32 v2, 24, v2
	s_delay_alu instid0(VALU_DEP_1)
	v_and_or_b32 v2, 0x80, v2, v3
	global_store_b8 v[6:7], v2, off
.LBB7_1993:
	s_mov_b32 s3, 0
.LBB7_1994:
	s_delay_alu instid0(SALU_CYCLE_1)
	s_and_not1_b32 vcc_lo, exec_lo, s3
	s_cbranch_vccnz .LBB7_2004
; %bb.1995:
	s_wait_xcnt 0x0
	v_cvt_f32_f64_e32 v2, v[0:1]
	s_mov_b32 s3, exec_lo
                                        ; implicit-def: $vgpr3
	s_delay_alu instid0(VALU_DEP_1) | instskip(NEXT) | instid1(VALU_DEP_1)
	v_and_b32_e32 v5, 0x7fffffff, v2
	v_cmpx_gt_u32_e32 0x47800000, v5
	s_xor_b32 s3, exec_lo, s3
	s_cbranch_execz .LBB7_2001
; %bb.1996:
	s_mov_b32 s7, exec_lo
                                        ; implicit-def: $vgpr3
	v_cmpx_lt_u32_e32 0x387fffff, v5
	s_xor_b32 s7, exec_lo, s7
; %bb.1997:
	v_bfe_u32 v3, v2, 21, 1
	s_delay_alu instid0(VALU_DEP_1) | instskip(NEXT) | instid1(VALU_DEP_1)
	v_add3_u32 v3, v2, v3, 0x80fffff
	v_lshrrev_b32_e32 v3, 21, v3
; %bb.1998:
	s_and_not1_saveexec_b32 s7, s7
; %bb.1999:
	v_add_f32_e64 v3, 0x43000000, |v2|
; %bb.2000:
	s_or_b32 exec_lo, exec_lo, s7
                                        ; implicit-def: $vgpr5
.LBB7_2001:
	s_and_not1_saveexec_b32 s3, s3
; %bb.2002:
	v_mov_b32_e32 v3, 0x7f
	v_cmp_lt_u32_e32 vcc_lo, 0x7f800000, v5
	s_delay_alu instid0(VALU_DEP_2)
	v_cndmask_b32_e32 v3, 0x7c, v3, vcc_lo
; %bb.2003:
	s_or_b32 exec_lo, exec_lo, s3
	v_lshrrev_b32_e32 v2, 24, v2
	s_delay_alu instid0(VALU_DEP_1)
	v_and_or_b32 v2, 0x80, v2, v3
	global_store_b8 v[6:7], v2, off
.LBB7_2004:
	s_mov_b32 s3, 0
	s_mov_b32 s7, -1
.LBB7_2005:
	s_and_not1_b32 vcc_lo, exec_lo, s3
	s_mov_b32 s3, 0
	s_cbranch_vccnz .LBB7_2012
; %bb.2006:
	s_cmp_gt_i32 s2, 14
	s_mov_b32 s3, -1
	s_cbranch_scc0 .LBB7_2010
; %bb.2007:
	s_cmp_eq_u32 s2, 15
	s_mov_b32 s0, -1
	s_cbranch_scc0 .LBB7_2009
; %bb.2008:
	s_wait_xcnt 0x0
	v_cvt_f32_f64_e32 v2, v[0:1]
	s_mov_b32 s0, 0
	s_mov_b32 s7, -1
	s_delay_alu instid0(VALU_DEP_1) | instskip(SKIP_1) | instid1(VALU_DEP_2)
	v_bfe_u32 v3, v2, 16, 1
	v_cmp_o_f32_e32 vcc_lo, v2, v2
	v_add3_u32 v3, v2, v3, 0x7fff
	s_delay_alu instid0(VALU_DEP_1) | instskip(NEXT) | instid1(VALU_DEP_1)
	v_lshrrev_b32_e32 v3, 16, v3
	v_cndmask_b32_e32 v2, 0x7fc0, v3, vcc_lo
	global_store_b16 v[6:7], v2, off
.LBB7_2009:
	s_mov_b32 s3, 0
.LBB7_2010:
	s_delay_alu instid0(SALU_CYCLE_1)
	s_and_b32 vcc_lo, exec_lo, s3
	s_mov_b32 s3, 0
	s_cbranch_vccz .LBB7_2012
; %bb.2011:
	s_cmp_lg_u32 s2, 11
	s_mov_b32 s3, -1
	s_cselect_b32 s0, -1, 0
.LBB7_2012:
	s_delay_alu instid0(SALU_CYCLE_1)
	s_and_b32 vcc_lo, exec_lo, s0
	s_cbranch_vccnz .LBB7_2190
; %bb.2013:
	s_and_not1_b32 vcc_lo, exec_lo, s3
	s_cbranch_vccnz .LBB7_2015
.LBB7_2014:
	v_cmp_neq_f64_e32 vcc_lo, 0, v[0:1]
	s_mov_b32 s7, -1
	s_wait_xcnt 0x0
	v_cndmask_b32_e64 v2, 0, 1, vcc_lo
	global_store_b8 v[6:7], v2, off
.LBB7_2015:
.LBB7_2016:
	s_and_not1_b32 vcc_lo, exec_lo, s7
	s_cbranch_vccnz .LBB7_2132
.LBB7_2017:
	s_wait_xcnt 0x0
	v_mul_f64_e32 v[0:1], v[28:29], v[28:29]
	v_dual_mul_f64 v[10:11], 0.5, v[30:31] :: v_dual_bitop2_b32 v5, 1, v33 bitop3:0x40
	s_mov_b64 s[10:11], 0x3de5e0b2f9a43bb8
	v_cmp_class_f64_e64 s0, v[14:15], 0x1f8
	s_mov_b32 s3, 0
	s_cmp_lt_i32 s2, 11
	v_cmp_eq_u32_e32 vcc_lo, 0, v5
	v_dual_mul_f64 v[2:3], 0.5, v[0:1] :: v_dual_mov_b32 v5, 0
	v_mul_f64_e64 v[12:13], v[28:29], -v[0:1]
	v_fmaak_f64 v[16:17], s[10:11], v[0:1], 0xbe5ae600b42fdfa7
	s_mov_b64 s[10:11], 0xbda907db46cc5e42
	s_delay_alu instid0(VALU_DEP_3) | instskip(NEXT) | instid1(VALU_DEP_1)
	v_add_f64_e64 v[6:7], -v[2:3], 1.0
	v_add_f64_e64 v[8:9], -v[6:7], 1.0
	s_delay_alu instid0(VALU_DEP_1) | instskip(NEXT) | instid1(VALU_DEP_4)
	v_add_f64_e64 v[2:3], v[8:9], -v[2:3]
	v_fmaak_f64 v[8:9], v[0:1], v[16:17], 0x3ec71de3796cde01
	v_mul_f64_e32 v[16:17], v[0:1], v[0:1]
	s_delay_alu instid0(VALU_DEP_2) | instskip(NEXT) | instid1(VALU_DEP_1)
	v_fmaak_f64 v[8:9], v[0:1], v[8:9], 0xbf2a01a019e83e5c
	v_fmaak_f64 v[8:9], v[0:1], v[8:9], 0x3f81111111110bb3
	s_delay_alu instid0(VALU_DEP_1) | instskip(SKIP_1) | instid1(VALU_DEP_1)
	v_fmac_f64_e32 v[10:11], v[12:13], v[8:9]
	v_fmaak_f64 v[8:9], s[10:11], v[0:1], 0x3e21eeb69037ab78
	v_fmaak_f64 v[8:9], v[0:1], v[8:9], 0xbe927e4fa17f65f6
	v_fma_f64 v[2:3], v[28:29], -v[30:31], v[2:3]
	s_delay_alu instid0(VALU_DEP_2) | instskip(NEXT) | instid1(VALU_DEP_1)
	v_fmaak_f64 v[8:9], v[0:1], v[8:9], 0x3efa01a019f4ec90
	v_fmaak_f64 v[8:9], v[0:1], v[8:9], 0xbf56c16c16c16967
	v_fma_f64 v[10:11], v[0:1], v[10:11], -v[30:31]
	s_delay_alu instid0(VALU_DEP_2) | instskip(NEXT) | instid1(VALU_DEP_1)
	v_fmaak_f64 v[0:1], v[0:1], v[8:9], 0x3fa5555555555555
	v_fmac_f64_e32 v[2:3], v[16:17], v[0:1]
	s_delay_alu instid0(VALU_DEP_3) | instskip(NEXT) | instid1(VALU_DEP_1)
	v_fmamk_f64 v[0:1], v[12:13], 0xbfc5555555555555, v[10:11]
	v_add_f64_e64 v[0:1], v[28:29], -v[0:1]
	s_delay_alu instid0(VALU_DEP_3) | instskip(SKIP_1) | instid1(VALU_DEP_2)
	v_add_f64_e32 v[2:3], v[6:7], v[2:3]
	v_add_nc_u64_e32 v[6:7], s[4:5], v[4:5]
	v_dual_cndmask_b32 v0, v2, v0, vcc_lo :: v_dual_lshlrev_b32 v2, 30, v33
	s_delay_alu instid0(VALU_DEP_1) | instskip(NEXT) | instid1(VALU_DEP_2)
	v_dual_cndmask_b32 v1, v3, v1, vcc_lo :: v_dual_cndmask_b32 v0, 0, v0, s0
	v_xor_b32_e32 v2, v2, v15
	s_delay_alu instid0(VALU_DEP_1) | instskip(NEXT) | instid1(VALU_DEP_1)
	v_bitop3_b32 v1, v1, v2, 0x80000000 bitop3:0x78
	v_cndmask_b32_e64 v1, 0x7ff80000, v1, s0
	s_mov_b32 s0, -1
	s_cbranch_scc1 .LBB7_2133
; %bb.2018:
	s_mov_b32 s4, -1
	s_cmp_gt_i32 s2, 25
	s_mov_b32 s0, 0
	s_cbranch_scc0 .LBB7_2051
; %bb.2019:
	s_cmp_gt_i32 s2, 28
	s_cbranch_scc0 .LBB7_2035
; %bb.2020:
	s_cmp_gt_i32 s2, 43
	;; [unrolled: 3-line block ×3, first 2 shown]
	s_cbranch_scc0 .LBB7_2025
; %bb.2022:
	s_cmp_eq_u32 s2, 46
	s_mov_b32 s0, -1
	s_cbranch_scc0 .LBB7_2024
; %bb.2023:
	v_cvt_f32_f64_e32 v2, v[0:1]
	s_mov_b32 s0, 0
	s_delay_alu instid0(VALU_DEP_1) | instskip(SKIP_1) | instid1(VALU_DEP_2)
	v_bfe_u32 v3, v2, 16, 1
	v_cmp_o_f32_e32 vcc_lo, v2, v2
	v_add3_u32 v3, v2, v3, 0x7fff
	s_delay_alu instid0(VALU_DEP_1) | instskip(NEXT) | instid1(VALU_DEP_1)
	v_lshrrev_b32_e32 v3, 16, v3
	v_cndmask_b32_e32 v2, 0x7fc0, v3, vcc_lo
	global_store_b32 v[6:7], v2, off
.LBB7_2024:
	s_mov_b32 s4, 0
.LBB7_2025:
	s_delay_alu instid0(SALU_CYCLE_1)
	s_and_b32 vcc_lo, exec_lo, s4
	s_cbranch_vccz .LBB7_2030
; %bb.2026:
	s_cmp_eq_u32 s2, 44
	s_mov_b32 s0, -1
	s_cbranch_scc0 .LBB7_2030
; %bb.2027:
	s_wait_xcnt 0x0
	v_cvt_f32_f64_e32 v2, v[0:1]
	v_mov_b32_e32 v3, 0xff
	s_mov_b32 s4, exec_lo
	s_delay_alu instid0(VALU_DEP_2) | instskip(NEXT) | instid1(VALU_DEP_1)
	v_bfe_u32 v4, v2, 23, 8
	v_cmpx_ne_u32_e32 0xff, v4
	s_cbranch_execz .LBB7_2029
; %bb.2028:
	v_and_b32_e32 v3, 0x400000, v2
	v_and_or_b32 v4, 0x3fffff, v2, v4
	v_lshrrev_b32_e32 v2, 23, v2
	s_delay_alu instid0(VALU_DEP_3) | instskip(NEXT) | instid1(VALU_DEP_3)
	v_cmp_ne_u32_e32 vcc_lo, 0, v3
	v_cmp_ne_u32_e64 s0, 0, v4
	s_and_b32 s0, vcc_lo, s0
	s_delay_alu instid0(SALU_CYCLE_1) | instskip(NEXT) | instid1(VALU_DEP_1)
	v_cndmask_b32_e64 v3, 0, 1, s0
	v_add_nc_u32_e32 v3, v2, v3
.LBB7_2029:
	s_or_b32 exec_lo, exec_lo, s4
	s_mov_b32 s0, 0
	global_store_b8 v[6:7], v3, off
.LBB7_2030:
	s_mov_b32 s4, 0
.LBB7_2031:
	s_delay_alu instid0(SALU_CYCLE_1)
	s_and_b32 vcc_lo, exec_lo, s4
	s_cbranch_vccz .LBB7_2034
; %bb.2032:
	s_cmp_eq_u32 s2, 29
	s_mov_b32 s0, -1
	s_cbranch_scc0 .LBB7_2034
; %bb.2033:
	s_wait_xcnt 0x0
	v_trunc_f64_e32 v[2:3], v[0:1]
	s_mov_b32 s0, 0
	s_delay_alu instid0(VALU_DEP_1) | instskip(NEXT) | instid1(VALU_DEP_1)
	v_ldexp_f64 v[4:5], v[2:3], 0xffffffe0
	v_floor_f64_e32 v[4:5], v[4:5]
	s_delay_alu instid0(VALU_DEP_1) | instskip(SKIP_1) | instid1(VALU_DEP_2)
	v_fmamk_f64 v[2:3], v[4:5], 0xc1f00000, v[2:3]
	v_cvt_u32_f64_e32 v5, v[4:5]
	v_cvt_u32_f64_e32 v4, v[2:3]
	global_store_b64 v[6:7], v[4:5], off
.LBB7_2034:
	s_mov_b32 s4, 0
.LBB7_2035:
	s_delay_alu instid0(SALU_CYCLE_1)
	s_and_b32 vcc_lo, exec_lo, s4
	s_cbranch_vccz .LBB7_2050
; %bb.2036:
	s_cmp_lt_i32 s2, 27
	s_mov_b32 s4, -1
	s_cbranch_scc1 .LBB7_2042
; %bb.2037:
	s_cmp_gt_i32 s2, 27
	s_cbranch_scc0 .LBB7_2039
; %bb.2038:
	s_wait_xcnt 0x0
	v_cvt_u32_f64_e32 v2, v[0:1]
	s_mov_b32 s4, 0
	global_store_b32 v[6:7], v2, off
.LBB7_2039:
	s_and_not1_b32 vcc_lo, exec_lo, s4
	s_cbranch_vccnz .LBB7_2041
; %bb.2040:
	s_wait_xcnt 0x0
	v_cvt_u32_f64_e32 v2, v[0:1]
	global_store_b16 v[6:7], v2, off
.LBB7_2041:
	s_mov_b32 s4, 0
.LBB7_2042:
	s_delay_alu instid0(SALU_CYCLE_1)
	s_and_not1_b32 vcc_lo, exec_lo, s4
	s_cbranch_vccnz .LBB7_2050
; %bb.2043:
	s_wait_xcnt 0x0
	v_cvt_f32_f64_e32 v2, v[0:1]
	v_mov_b32_e32 v4, 0x80
	s_mov_b32 s4, exec_lo
	s_delay_alu instid0(VALU_DEP_2) | instskip(NEXT) | instid1(VALU_DEP_1)
	v_and_b32_e32 v3, 0x7fffffff, v2
	v_cmpx_gt_u32_e32 0x43800000, v3
	s_cbranch_execz .LBB7_2049
; %bb.2044:
	v_cmp_lt_u32_e32 vcc_lo, 0x3bffffff, v3
	s_mov_b32 s5, 0
                                        ; implicit-def: $vgpr3
	s_and_saveexec_b32 s7, vcc_lo
	s_delay_alu instid0(SALU_CYCLE_1)
	s_xor_b32 s7, exec_lo, s7
	s_cbranch_execz .LBB7_2193
; %bb.2045:
	v_bfe_u32 v3, v2, 20, 1
	s_mov_b32 s5, exec_lo
	s_delay_alu instid0(VALU_DEP_1) | instskip(NEXT) | instid1(VALU_DEP_1)
	v_add3_u32 v3, v2, v3, 0x487ffff
	v_lshrrev_b32_e32 v3, 20, v3
	s_and_not1_saveexec_b32 s7, s7
	s_cbranch_execnz .LBB7_2194
.LBB7_2046:
	s_or_b32 exec_lo, exec_lo, s7
	v_mov_b32_e32 v4, 0
	s_and_saveexec_b32 s7, s5
.LBB7_2047:
	v_lshrrev_b32_e32 v2, 24, v2
	s_delay_alu instid0(VALU_DEP_1)
	v_and_or_b32 v4, 0x80, v2, v3
.LBB7_2048:
	s_or_b32 exec_lo, exec_lo, s7
.LBB7_2049:
	s_delay_alu instid0(SALU_CYCLE_1)
	s_or_b32 exec_lo, exec_lo, s4
	global_store_b8 v[6:7], v4, off
.LBB7_2050:
	s_mov_b32 s4, 0
.LBB7_2051:
	s_delay_alu instid0(SALU_CYCLE_1)
	s_and_b32 vcc_lo, exec_lo, s4
	s_cbranch_vccz .LBB7_2091
; %bb.2052:
	s_cmp_gt_i32 s2, 22
	s_mov_b32 s3, -1
	s_cbranch_scc0 .LBB7_2084
; %bb.2053:
	s_cmp_lt_i32 s2, 24
	s_cbranch_scc1 .LBB7_2073
; %bb.2054:
	s_cmp_gt_i32 s2, 24
	s_cbranch_scc0 .LBB7_2062
; %bb.2055:
	s_wait_xcnt 0x0
	v_cvt_f32_f64_e32 v2, v[0:1]
	v_mov_b32_e32 v4, 0x80
	s_mov_b32 s3, exec_lo
	s_delay_alu instid0(VALU_DEP_2) | instskip(NEXT) | instid1(VALU_DEP_1)
	v_and_b32_e32 v3, 0x7fffffff, v2
	v_cmpx_gt_u32_e32 0x47800000, v3
	s_cbranch_execz .LBB7_2061
; %bb.2056:
	v_cmp_lt_u32_e32 vcc_lo, 0x37ffffff, v3
	s_mov_b32 s4, 0
                                        ; implicit-def: $vgpr3
	s_and_saveexec_b32 s5, vcc_lo
	s_delay_alu instid0(SALU_CYCLE_1)
	s_xor_b32 s5, exec_lo, s5
	s_cbranch_execz .LBB7_2196
; %bb.2057:
	v_bfe_u32 v3, v2, 21, 1
	s_mov_b32 s4, exec_lo
	s_delay_alu instid0(VALU_DEP_1) | instskip(NEXT) | instid1(VALU_DEP_1)
	v_add3_u32 v3, v2, v3, 0x88fffff
	v_lshrrev_b32_e32 v3, 21, v3
	s_and_not1_saveexec_b32 s5, s5
	s_cbranch_execnz .LBB7_2197
.LBB7_2058:
	s_or_b32 exec_lo, exec_lo, s5
	v_mov_b32_e32 v4, 0
	s_and_saveexec_b32 s5, s4
.LBB7_2059:
	v_lshrrev_b32_e32 v2, 24, v2
	s_delay_alu instid0(VALU_DEP_1)
	v_and_or_b32 v4, 0x80, v2, v3
.LBB7_2060:
	s_or_b32 exec_lo, exec_lo, s5
.LBB7_2061:
	s_delay_alu instid0(SALU_CYCLE_1)
	s_or_b32 exec_lo, exec_lo, s3
	s_mov_b32 s3, 0
	global_store_b8 v[6:7], v4, off
.LBB7_2062:
	s_and_b32 vcc_lo, exec_lo, s3
	s_cbranch_vccz .LBB7_2072
; %bb.2063:
	s_wait_xcnt 0x0
	v_cvt_f32_f64_e32 v2, v[0:1]
	s_mov_b32 s3, exec_lo
                                        ; implicit-def: $vgpr3
	s_delay_alu instid0(VALU_DEP_1) | instskip(NEXT) | instid1(VALU_DEP_1)
	v_and_b32_e32 v4, 0x7fffffff, v2
	v_cmpx_gt_u32_e32 0x43f00000, v4
	s_xor_b32 s3, exec_lo, s3
	s_cbranch_execz .LBB7_2069
; %bb.2064:
	s_mov_b32 s4, exec_lo
                                        ; implicit-def: $vgpr3
	v_cmpx_lt_u32_e32 0x3c7fffff, v4
	s_xor_b32 s4, exec_lo, s4
; %bb.2065:
	v_bfe_u32 v3, v2, 20, 1
	s_delay_alu instid0(VALU_DEP_1) | instskip(NEXT) | instid1(VALU_DEP_1)
	v_add3_u32 v3, v2, v3, 0x407ffff
	v_and_b32_e32 v4, 0xff00000, v3
	v_lshrrev_b32_e32 v3, 20, v3
	s_delay_alu instid0(VALU_DEP_2) | instskip(NEXT) | instid1(VALU_DEP_2)
	v_cmp_ne_u32_e32 vcc_lo, 0x7f00000, v4
	v_cndmask_b32_e32 v3, 0x7e, v3, vcc_lo
; %bb.2066:
	s_and_not1_saveexec_b32 s4, s4
; %bb.2067:
	v_add_f32_e64 v3, 0x46800000, |v2|
; %bb.2068:
	s_or_b32 exec_lo, exec_lo, s4
                                        ; implicit-def: $vgpr4
.LBB7_2069:
	s_and_not1_saveexec_b32 s3, s3
; %bb.2070:
	v_mov_b32_e32 v3, 0x7f
	v_cmp_lt_u32_e32 vcc_lo, 0x7f800000, v4
	s_delay_alu instid0(VALU_DEP_2)
	v_cndmask_b32_e32 v3, 0x7e, v3, vcc_lo
; %bb.2071:
	s_or_b32 exec_lo, exec_lo, s3
	v_lshrrev_b32_e32 v2, 24, v2
	s_delay_alu instid0(VALU_DEP_1)
	v_and_or_b32 v2, 0x80, v2, v3
	global_store_b8 v[6:7], v2, off
.LBB7_2072:
	s_mov_b32 s3, 0
.LBB7_2073:
	s_delay_alu instid0(SALU_CYCLE_1)
	s_and_not1_b32 vcc_lo, exec_lo, s3
	s_cbranch_vccnz .LBB7_2083
; %bb.2074:
	s_wait_xcnt 0x0
	v_cvt_f32_f64_e32 v2, v[0:1]
	s_mov_b32 s3, exec_lo
                                        ; implicit-def: $vgpr3
	s_delay_alu instid0(VALU_DEP_1) | instskip(NEXT) | instid1(VALU_DEP_1)
	v_and_b32_e32 v4, 0x7fffffff, v2
	v_cmpx_gt_u32_e32 0x47800000, v4
	s_xor_b32 s3, exec_lo, s3
	s_cbranch_execz .LBB7_2080
; %bb.2075:
	s_mov_b32 s4, exec_lo
                                        ; implicit-def: $vgpr3
	v_cmpx_lt_u32_e32 0x387fffff, v4
	s_xor_b32 s4, exec_lo, s4
; %bb.2076:
	v_bfe_u32 v3, v2, 21, 1
	s_delay_alu instid0(VALU_DEP_1) | instskip(NEXT) | instid1(VALU_DEP_1)
	v_add3_u32 v3, v2, v3, 0x80fffff
	v_lshrrev_b32_e32 v3, 21, v3
; %bb.2077:
	s_and_not1_saveexec_b32 s4, s4
; %bb.2078:
	v_add_f32_e64 v3, 0x43000000, |v2|
; %bb.2079:
	s_or_b32 exec_lo, exec_lo, s4
                                        ; implicit-def: $vgpr4
.LBB7_2080:
	s_and_not1_saveexec_b32 s3, s3
; %bb.2081:
	v_mov_b32_e32 v3, 0x7f
	v_cmp_lt_u32_e32 vcc_lo, 0x7f800000, v4
	s_delay_alu instid0(VALU_DEP_2)
	v_cndmask_b32_e32 v3, 0x7c, v3, vcc_lo
; %bb.2082:
	s_or_b32 exec_lo, exec_lo, s3
	v_lshrrev_b32_e32 v2, 24, v2
	s_delay_alu instid0(VALU_DEP_1)
	v_and_or_b32 v2, 0x80, v2, v3
	global_store_b8 v[6:7], v2, off
.LBB7_2083:
	s_mov_b32 s3, 0
.LBB7_2084:
	s_delay_alu instid0(SALU_CYCLE_1)
	s_and_not1_b32 vcc_lo, exec_lo, s3
	s_mov_b32 s3, 0
	s_cbranch_vccnz .LBB7_2091
; %bb.2085:
	s_cmp_gt_i32 s2, 14
	s_mov_b32 s3, -1
	s_cbranch_scc0 .LBB7_2089
; %bb.2086:
	s_cmp_eq_u32 s2, 15
	s_mov_b32 s0, -1
	s_cbranch_scc0 .LBB7_2088
; %bb.2087:
	s_wait_xcnt 0x0
	v_cvt_f32_f64_e32 v2, v[0:1]
	s_mov_b32 s0, 0
	s_delay_alu instid0(VALU_DEP_1) | instskip(SKIP_1) | instid1(VALU_DEP_2)
	v_bfe_u32 v3, v2, 16, 1
	v_cmp_o_f32_e32 vcc_lo, v2, v2
	v_add3_u32 v3, v2, v3, 0x7fff
	s_delay_alu instid0(VALU_DEP_1) | instskip(NEXT) | instid1(VALU_DEP_1)
	v_lshrrev_b32_e32 v3, 16, v3
	v_cndmask_b32_e32 v2, 0x7fc0, v3, vcc_lo
	global_store_b16 v[6:7], v2, off
.LBB7_2088:
	s_mov_b32 s3, 0
.LBB7_2089:
	s_delay_alu instid0(SALU_CYCLE_1)
	s_and_b32 vcc_lo, exec_lo, s3
	s_mov_b32 s3, 0
	s_cbranch_vccz .LBB7_2091
; %bb.2090:
	s_cmp_lg_u32 s2, 11
	s_mov_b32 s3, -1
	s_cselect_b32 s0, -1, 0
.LBB7_2091:
	s_delay_alu instid0(SALU_CYCLE_1)
	s_and_b32 vcc_lo, exec_lo, s0
	s_cbranch_vccnz .LBB7_2195
.LBB7_2092:
	s_mov_b32 s0, 0
	s_branch .LBB7_2133
.LBB7_2093:
	s_and_b32 vcc_lo, exec_lo, s0
	s_cbranch_vccz .LBB7_2016
; %bb.2094:
	s_cmp_lt_i32 s2, 5
	s_mov_b32 s0, -1
	s_cbranch_scc1 .LBB7_2115
; %bb.2095:
	s_cmp_lt_i32 s2, 8
	s_cbranch_scc1 .LBB7_2105
; %bb.2096:
	s_cmp_lt_i32 s2, 9
	s_cbranch_scc1 .LBB7_2102
; %bb.2097:
	s_cmp_gt_i32 s2, 9
	s_cbranch_scc0 .LBB7_2099
; %bb.2098:
	s_wait_xcnt 0x0
	v_mov_b64_e32 v[2:3], 0
	s_mov_b32 s0, 0
	global_store_b128 v[6:7], v[0:3], off
.LBB7_2099:
	s_and_not1_b32 vcc_lo, exec_lo, s0
	s_cbranch_vccnz .LBB7_2101
; %bb.2100:
	s_wait_xcnt 0x0
	v_cvt_f32_f64_e32 v2, v[0:1]
	v_mov_b32_e32 v3, 0
	global_store_b64 v[6:7], v[2:3], off
.LBB7_2101:
	s_mov_b32 s0, 0
.LBB7_2102:
	s_delay_alu instid0(SALU_CYCLE_1)
	s_and_not1_b32 vcc_lo, exec_lo, s0
	s_cbranch_vccnz .LBB7_2104
; %bb.2103:
	s_wait_xcnt 0x0
	v_and_or_b32 v2, 0x1ff, v1, v0
	v_lshrrev_b32_e32 v3, 8, v1
	v_bfe_u32 v5, v1, 20, 11
	s_delay_alu instid0(VALU_DEP_3) | instskip(NEXT) | instid1(VALU_DEP_2)
	v_cmp_ne_u32_e32 vcc_lo, 0, v2
	v_sub_nc_u32_e32 v8, 0x3f1, v5
	v_add_nc_u32_e32 v5, 0xfffffc10, v5
	v_cndmask_b32_e64 v2, 0, 1, vcc_lo
	s_delay_alu instid0(VALU_DEP_1) | instskip(NEXT) | instid1(VALU_DEP_4)
	v_and_or_b32 v2, 0xffe, v3, v2
	v_med3_i32 v3, v8, 0, 13
	s_delay_alu instid0(VALU_DEP_2) | instskip(NEXT) | instid1(VALU_DEP_1)
	v_or_b32_e32 v8, 0x1000, v2
	v_lshrrev_b32_e32 v9, v3, v8
	s_delay_alu instid0(VALU_DEP_1) | instskip(NEXT) | instid1(VALU_DEP_1)
	v_lshlrev_b32_e32 v3, v3, v9
	v_cmp_ne_u32_e32 vcc_lo, v3, v8
	v_lshl_or_b32 v8, v5, 12, v2
	v_cndmask_b32_e64 v3, 0, 1, vcc_lo
	v_cmp_gt_i32_e32 vcc_lo, 1, v5
	s_delay_alu instid0(VALU_DEP_2) | instskip(NEXT) | instid1(VALU_DEP_1)
	v_or_b32_e32 v3, v9, v3
	v_cndmask_b32_e32 v3, v8, v3, vcc_lo
	s_delay_alu instid0(VALU_DEP_1) | instskip(NEXT) | instid1(VALU_DEP_1)
	v_dual_lshrrev_b32 v3, 2, v3 :: v_dual_bitop2_b32 v8, 7, v3 bitop3:0x40
	v_cmp_lt_i32_e32 vcc_lo, 5, v8
	v_cndmask_b32_e64 v9, 0, 1, vcc_lo
	v_cmp_eq_u32_e32 vcc_lo, 3, v8
	v_cndmask_b32_e64 v8, 0, 1, vcc_lo
	v_cmp_ne_u32_e32 vcc_lo, 0, v2
	s_delay_alu instid0(VALU_DEP_2) | instskip(SKIP_1) | instid1(VALU_DEP_1)
	v_or_b32_e32 v8, v8, v9
	v_mov_b32_e32 v9, 0x7e00
	v_dual_cndmask_b32 v2, 0x7c00, v9 :: v_dual_add_nc_u32 v3, v3, v8
	v_cmp_gt_i32_e32 vcc_lo, 31, v5
	s_delay_alu instid0(VALU_DEP_2) | instskip(SKIP_1) | instid1(VALU_DEP_2)
	v_dual_cndmask_b32 v3, 0x7c00, v3 :: v_dual_lshrrev_b32 v8, 16, v1
	v_cmp_eq_u32_e32 vcc_lo, 0x40f, v5
	v_cndmask_b32_e32 v2, v3, v2, vcc_lo
	s_delay_alu instid0(VALU_DEP_3) | instskip(NEXT) | instid1(VALU_DEP_1)
	v_and_b32_e32 v3, 0x8000, v8
	v_bitop3_b32 v2, v3, 0xffff, v2 bitop3:0xc8
	global_store_b32 v[6:7], v2, off
.LBB7_2104:
	s_mov_b32 s0, 0
.LBB7_2105:
	s_delay_alu instid0(SALU_CYCLE_1)
	s_and_not1_b32 vcc_lo, exec_lo, s0
	s_cbranch_vccnz .LBB7_2114
; %bb.2106:
	s_cmp_lt_i32 s2, 6
	s_mov_b32 s0, -1
	s_cbranch_scc1 .LBB7_2112
; %bb.2107:
	s_cmp_gt_i32 s2, 6
	s_cbranch_scc0 .LBB7_2109
; %bb.2108:
	s_mov_b32 s0, 0
	global_store_b64 v[6:7], v[0:1], off
.LBB7_2109:
	s_and_not1_b32 vcc_lo, exec_lo, s0
	s_cbranch_vccnz .LBB7_2111
; %bb.2110:
	s_wait_xcnt 0x0
	v_cvt_f32_f64_e32 v2, v[0:1]
	global_store_b32 v[6:7], v2, off
.LBB7_2111:
	s_mov_b32 s0, 0
.LBB7_2112:
	s_delay_alu instid0(SALU_CYCLE_1)
	s_and_not1_b32 vcc_lo, exec_lo, s0
	s_cbranch_vccnz .LBB7_2114
; %bb.2113:
	s_wait_xcnt 0x0
	v_and_or_b32 v2, 0x1ff, v1, v0
	v_lshrrev_b32_e32 v3, 8, v1
	v_bfe_u32 v5, v1, 20, 11
	s_delay_alu instid0(VALU_DEP_3) | instskip(NEXT) | instid1(VALU_DEP_2)
	v_cmp_ne_u32_e32 vcc_lo, 0, v2
	v_sub_nc_u32_e32 v8, 0x3f1, v5
	v_add_nc_u32_e32 v5, 0xfffffc10, v5
	v_cndmask_b32_e64 v2, 0, 1, vcc_lo
	s_delay_alu instid0(VALU_DEP_1) | instskip(NEXT) | instid1(VALU_DEP_4)
	v_and_or_b32 v2, 0xffe, v3, v2
	v_med3_i32 v3, v8, 0, 13
	s_delay_alu instid0(VALU_DEP_2) | instskip(NEXT) | instid1(VALU_DEP_1)
	v_or_b32_e32 v8, 0x1000, v2
	v_lshrrev_b32_e32 v9, v3, v8
	s_delay_alu instid0(VALU_DEP_1) | instskip(NEXT) | instid1(VALU_DEP_1)
	v_lshlrev_b32_e32 v3, v3, v9
	v_cmp_ne_u32_e32 vcc_lo, v3, v8
	v_lshl_or_b32 v8, v5, 12, v2
	v_cndmask_b32_e64 v3, 0, 1, vcc_lo
	v_cmp_gt_i32_e32 vcc_lo, 1, v5
	s_delay_alu instid0(VALU_DEP_2) | instskip(NEXT) | instid1(VALU_DEP_1)
	v_or_b32_e32 v3, v9, v3
	v_cndmask_b32_e32 v3, v8, v3, vcc_lo
	s_delay_alu instid0(VALU_DEP_1) | instskip(NEXT) | instid1(VALU_DEP_1)
	v_dual_lshrrev_b32 v3, 2, v3 :: v_dual_bitop2_b32 v8, 7, v3 bitop3:0x40
	v_cmp_lt_i32_e32 vcc_lo, 5, v8
	v_cndmask_b32_e64 v9, 0, 1, vcc_lo
	v_cmp_eq_u32_e32 vcc_lo, 3, v8
	v_cndmask_b32_e64 v8, 0, 1, vcc_lo
	v_cmp_ne_u32_e32 vcc_lo, 0, v2
	s_delay_alu instid0(VALU_DEP_2) | instskip(SKIP_1) | instid1(VALU_DEP_1)
	v_or_b32_e32 v8, v8, v9
	v_mov_b32_e32 v9, 0x7e00
	v_dual_cndmask_b32 v2, 0x7c00, v9 :: v_dual_add_nc_u32 v3, v3, v8
	v_cmp_gt_i32_e32 vcc_lo, 31, v5
	s_delay_alu instid0(VALU_DEP_2) | instskip(SKIP_1) | instid1(VALU_DEP_2)
	v_cndmask_b32_e32 v3, 0x7c00, v3, vcc_lo
	v_cmp_eq_u32_e32 vcc_lo, 0x40f, v5
	v_dual_cndmask_b32 v2, v3, v2 :: v_dual_lshrrev_b32 v3, 16, v1
	s_delay_alu instid0(VALU_DEP_1)
	v_and_or_b32 v2, 0x8000, v3, v2
	global_store_b16 v[6:7], v2, off
.LBB7_2114:
	s_mov_b32 s0, 0
.LBB7_2115:
	s_delay_alu instid0(SALU_CYCLE_1)
	s_and_not1_b32 vcc_lo, exec_lo, s0
	s_cbranch_vccnz .LBB7_2131
; %bb.2116:
	s_cmp_lt_i32 s2, 2
	s_mov_b32 s0, -1
	s_cbranch_scc1 .LBB7_2126
; %bb.2117:
	s_cmp_lt_i32 s2, 3
	s_cbranch_scc1 .LBB7_2123
; %bb.2118:
	s_cmp_gt_i32 s2, 3
	s_cbranch_scc0 .LBB7_2120
; %bb.2119:
	s_wait_xcnt 0x0
	v_trunc_f64_e32 v[2:3], v[0:1]
	s_mov_b32 s0, 0
	s_delay_alu instid0(VALU_DEP_1) | instskip(NEXT) | instid1(VALU_DEP_1)
	v_ldexp_f64 v[8:9], v[2:3], 0xffffffe0
	v_floor_f64_e32 v[8:9], v[8:9]
	s_delay_alu instid0(VALU_DEP_1) | instskip(SKIP_1) | instid1(VALU_DEP_2)
	v_fmamk_f64 v[2:3], v[8:9], 0xc1f00000, v[2:3]
	v_cvt_i32_f64_e32 v9, v[8:9]
	v_cvt_u32_f64_e32 v8, v[2:3]
	global_store_b64 v[6:7], v[8:9], off
.LBB7_2120:
	s_and_not1_b32 vcc_lo, exec_lo, s0
	s_cbranch_vccnz .LBB7_2122
; %bb.2121:
	s_wait_xcnt 0x0
	v_cvt_i32_f64_e32 v2, v[0:1]
	global_store_b32 v[6:7], v2, off
.LBB7_2122:
	s_mov_b32 s0, 0
.LBB7_2123:
	s_delay_alu instid0(SALU_CYCLE_1)
	s_and_not1_b32 vcc_lo, exec_lo, s0
	s_cbranch_vccnz .LBB7_2125
; %bb.2124:
	s_wait_xcnt 0x0
	v_cvt_i32_f64_e32 v2, v[0:1]
	global_store_b16 v[6:7], v2, off
.LBB7_2125:
	s_mov_b32 s0, 0
.LBB7_2126:
	s_delay_alu instid0(SALU_CYCLE_1)
	s_and_not1_b32 vcc_lo, exec_lo, s0
	s_cbranch_vccnz .LBB7_2131
; %bb.2127:
	s_cmp_gt_i32 s2, 0
	s_mov_b32 s0, -1
	s_cbranch_scc0 .LBB7_2129
; %bb.2128:
	s_wait_xcnt 0x0
	v_cvt_i32_f64_e32 v2, v[0:1]
	s_mov_b32 s0, 0
	global_store_b8 v[6:7], v2, off
.LBB7_2129:
	s_and_not1_b32 vcc_lo, exec_lo, s0
	s_cbranch_vccnz .LBB7_2131
; %bb.2130:
	s_wait_xcnt 0x0
	v_trunc_f64_e32 v[0:1], v[0:1]
	s_delay_alu instid0(VALU_DEP_1) | instskip(NEXT) | instid1(VALU_DEP_1)
	v_ldexp_f64 v[2:3], v[0:1], 0xffffffe0
	v_floor_f64_e32 v[2:3], v[2:3]
	s_delay_alu instid0(VALU_DEP_1) | instskip(NEXT) | instid1(VALU_DEP_1)
	v_fmamk_f64 v[0:1], v[2:3], 0xc1f00000, v[0:1]
	v_cvt_u32_f64_e32 v0, v[0:1]
	global_store_b8 v[6:7], v0, off
.LBB7_2131:
	s_branch .LBB7_2017
.LBB7_2132:
	s_mov_b32 s0, 0
	s_wait_xcnt 0x0
	s_mov_b32 s3, 0
                                        ; implicit-def: $vgpr6_vgpr7
                                        ; implicit-def: $sgpr6
                                        ; implicit-def: $vgpr0_vgpr1
.LBB7_2133:
	s_and_not1_b32 s2, s8, exec_lo
	s_and_b32 s1, s1, exec_lo
	s_and_b32 s0, s0, exec_lo
	;; [unrolled: 1-line block ×3, first 2 shown]
	s_or_b32 s8, s2, s1
.LBB7_2134:
	s_wait_xcnt 0x0
	s_or_b32 exec_lo, exec_lo, s9
	s_and_saveexec_b32 s1, s8
	s_cbranch_execz .LBB7_2137
; %bb.2135:
	; divergent unreachable
	s_or_b32 exec_lo, exec_lo, s1
	s_and_saveexec_b32 s1, s30
	s_delay_alu instid0(SALU_CYCLE_1)
	s_xor_b32 s1, exec_lo, s1
	s_cbranch_execnz .LBB7_2138
.LBB7_2136:
	s_or_b32 exec_lo, exec_lo, s1
	s_and_saveexec_b32 s1, s0
	s_cbranch_execnz .LBB7_2139
	s_branch .LBB7_2176
.LBB7_2137:
	s_or_b32 exec_lo, exec_lo, s1
	s_and_saveexec_b32 s1, s30
	s_delay_alu instid0(SALU_CYCLE_1)
	s_xor_b32 s1, exec_lo, s1
	s_cbranch_execz .LBB7_2136
.LBB7_2138:
	v_cmp_neq_f64_e32 vcc_lo, 0, v[0:1]
	s_wait_loadcnt 0x0
	v_cndmask_b32_e64 v2, 0, 1, vcc_lo
	global_store_b8 v[6:7], v2, off
	s_wait_xcnt 0x0
	s_or_b32 exec_lo, exec_lo, s1
	s_and_saveexec_b32 s1, s0
	s_cbranch_execz .LBB7_2176
.LBB7_2139:
	s_sext_i32_i16 s1, s6
	s_mov_b32 s0, -1
	s_cmp_lt_i32 s1, 5
	s_cbranch_scc1 .LBB7_2160
; %bb.2140:
	s_cmp_lt_i32 s1, 8
	s_cbranch_scc1 .LBB7_2150
; %bb.2141:
	;; [unrolled: 3-line block ×3, first 2 shown]
	s_cmp_gt_i32 s1, 9
	s_cbranch_scc0 .LBB7_2144
; %bb.2143:
	s_wait_loadcnt 0x0
	v_mov_b64_e32 v[2:3], 0
	s_mov_b32 s0, 0
	global_store_b128 v[6:7], v[0:3], off
.LBB7_2144:
	s_and_not1_b32 vcc_lo, exec_lo, s0
	s_cbranch_vccnz .LBB7_2146
; %bb.2145:
	s_wait_loadcnt 0x0
	v_cvt_f32_f64_e32 v2, v[0:1]
	v_mov_b32_e32 v3, 0
	global_store_b64 v[6:7], v[2:3], off
.LBB7_2146:
	s_mov_b32 s0, 0
.LBB7_2147:
	s_delay_alu instid0(SALU_CYCLE_1)
	s_and_not1_b32 vcc_lo, exec_lo, s0
	s_cbranch_vccnz .LBB7_2149
; %bb.2148:
	s_wait_loadcnt 0x0
	v_and_or_b32 v2, 0x1ff, v1, v0
	v_lshrrev_b32_e32 v3, 8, v1
	v_bfe_u32 v4, v1, 20, 11
	s_delay_alu instid0(VALU_DEP_3) | instskip(NEXT) | instid1(VALU_DEP_2)
	v_cmp_ne_u32_e32 vcc_lo, 0, v2
	v_sub_nc_u32_e32 v5, 0x3f1, v4
	v_add_nc_u32_e32 v4, 0xfffffc10, v4
	v_cndmask_b32_e64 v2, 0, 1, vcc_lo
	s_delay_alu instid0(VALU_DEP_1) | instskip(NEXT) | instid1(VALU_DEP_4)
	v_and_or_b32 v2, 0xffe, v3, v2
	v_med3_i32 v3, v5, 0, 13
	s_delay_alu instid0(VALU_DEP_2) | instskip(NEXT) | instid1(VALU_DEP_1)
	v_or_b32_e32 v5, 0x1000, v2
	v_lshrrev_b32_e32 v8, v3, v5
	s_delay_alu instid0(VALU_DEP_1) | instskip(NEXT) | instid1(VALU_DEP_1)
	v_lshlrev_b32_e32 v3, v3, v8
	v_cmp_ne_u32_e32 vcc_lo, v3, v5
	v_lshl_or_b32 v5, v4, 12, v2
	v_cndmask_b32_e64 v3, 0, 1, vcc_lo
	v_cmp_gt_i32_e32 vcc_lo, 1, v4
	s_delay_alu instid0(VALU_DEP_2) | instskip(NEXT) | instid1(VALU_DEP_1)
	v_or_b32_e32 v3, v8, v3
	v_cndmask_b32_e32 v3, v5, v3, vcc_lo
	s_delay_alu instid0(VALU_DEP_1) | instskip(NEXT) | instid1(VALU_DEP_1)
	v_dual_lshrrev_b32 v3, 2, v3 :: v_dual_bitop2_b32 v5, 7, v3 bitop3:0x40
	v_cmp_lt_i32_e32 vcc_lo, 5, v5
	v_cndmask_b32_e64 v8, 0, 1, vcc_lo
	v_cmp_eq_u32_e32 vcc_lo, 3, v5
	v_cndmask_b32_e64 v5, 0, 1, vcc_lo
	v_cmp_ne_u32_e32 vcc_lo, 0, v2
	s_delay_alu instid0(VALU_DEP_2) | instskip(NEXT) | instid1(VALU_DEP_1)
	v_or_b32_e32 v5, v5, v8
	v_dual_mov_b32 v8, 0x7e00 :: v_dual_add_nc_u32 v3, v3, v5
	s_delay_alu instid0(VALU_DEP_1) | instskip(SKIP_2) | instid1(VALU_DEP_4)
	v_cndmask_b32_e32 v2, 0x7c00, v8, vcc_lo
	v_cmp_gt_i32_e32 vcc_lo, 31, v4
	v_lshrrev_b32_e32 v5, 16, v1
	v_cndmask_b32_e32 v3, 0x7c00, v3, vcc_lo
	v_cmp_eq_u32_e32 vcc_lo, 0x40f, v4
	s_delay_alu instid0(VALU_DEP_2) | instskip(NEXT) | instid1(VALU_DEP_4)
	v_cndmask_b32_e32 v2, v3, v2, vcc_lo
	v_and_b32_e32 v3, 0x8000, v5
	s_delay_alu instid0(VALU_DEP_1)
	v_bitop3_b32 v2, v3, 0xffff, v2 bitop3:0xc8
	global_store_b32 v[6:7], v2, off
.LBB7_2149:
	s_mov_b32 s0, 0
.LBB7_2150:
	s_delay_alu instid0(SALU_CYCLE_1)
	s_and_not1_b32 vcc_lo, exec_lo, s0
	s_cbranch_vccnz .LBB7_2159
; %bb.2151:
	s_sext_i32_i16 s1, s6
	s_mov_b32 s0, -1
	s_cmp_lt_i32 s1, 6
	s_cbranch_scc1 .LBB7_2157
; %bb.2152:
	s_cmp_gt_i32 s1, 6
	s_cbranch_scc0 .LBB7_2154
; %bb.2153:
	s_mov_b32 s0, 0
	s_wait_loadcnt 0x0
	global_store_b64 v[6:7], v[0:1], off
.LBB7_2154:
	s_and_not1_b32 vcc_lo, exec_lo, s0
	s_cbranch_vccnz .LBB7_2156
; %bb.2155:
	s_wait_loadcnt 0x0
	v_cvt_f32_f64_e32 v2, v[0:1]
	global_store_b32 v[6:7], v2, off
.LBB7_2156:
	s_mov_b32 s0, 0
.LBB7_2157:
	s_delay_alu instid0(SALU_CYCLE_1)
	s_and_not1_b32 vcc_lo, exec_lo, s0
	s_cbranch_vccnz .LBB7_2159
; %bb.2158:
	s_wait_loadcnt 0x0
	v_and_or_b32 v2, 0x1ff, v1, v0
	v_lshrrev_b32_e32 v3, 8, v1
	v_bfe_u32 v4, v1, 20, 11
	s_delay_alu instid0(VALU_DEP_3) | instskip(NEXT) | instid1(VALU_DEP_2)
	v_cmp_ne_u32_e32 vcc_lo, 0, v2
	v_sub_nc_u32_e32 v5, 0x3f1, v4
	v_add_nc_u32_e32 v4, 0xfffffc10, v4
	v_cndmask_b32_e64 v2, 0, 1, vcc_lo
	s_delay_alu instid0(VALU_DEP_1) | instskip(NEXT) | instid1(VALU_DEP_4)
	v_and_or_b32 v2, 0xffe, v3, v2
	v_med3_i32 v3, v5, 0, 13
	s_delay_alu instid0(VALU_DEP_2) | instskip(NEXT) | instid1(VALU_DEP_1)
	v_or_b32_e32 v5, 0x1000, v2
	v_lshrrev_b32_e32 v8, v3, v5
	s_delay_alu instid0(VALU_DEP_1) | instskip(NEXT) | instid1(VALU_DEP_1)
	v_lshlrev_b32_e32 v3, v3, v8
	v_cmp_ne_u32_e32 vcc_lo, v3, v5
	v_lshl_or_b32 v5, v4, 12, v2
	v_cndmask_b32_e64 v3, 0, 1, vcc_lo
	v_cmp_gt_i32_e32 vcc_lo, 1, v4
	s_delay_alu instid0(VALU_DEP_2) | instskip(NEXT) | instid1(VALU_DEP_1)
	v_or_b32_e32 v3, v8, v3
	v_cndmask_b32_e32 v3, v5, v3, vcc_lo
	s_delay_alu instid0(VALU_DEP_1) | instskip(NEXT) | instid1(VALU_DEP_1)
	v_dual_lshrrev_b32 v3, 2, v3 :: v_dual_bitop2_b32 v5, 7, v3 bitop3:0x40
	v_cmp_lt_i32_e32 vcc_lo, 5, v5
	v_cndmask_b32_e64 v8, 0, 1, vcc_lo
	v_cmp_eq_u32_e32 vcc_lo, 3, v5
	v_cndmask_b32_e64 v5, 0, 1, vcc_lo
	v_cmp_ne_u32_e32 vcc_lo, 0, v2
	s_delay_alu instid0(VALU_DEP_2) | instskip(NEXT) | instid1(VALU_DEP_1)
	v_or_b32_e32 v5, v5, v8
	v_dual_mov_b32 v8, 0x7e00 :: v_dual_add_nc_u32 v3, v3, v5
	s_delay_alu instid0(VALU_DEP_1) | instskip(SKIP_1) | instid1(VALU_DEP_3)
	v_cndmask_b32_e32 v2, 0x7c00, v8, vcc_lo
	v_cmp_gt_i32_e32 vcc_lo, 31, v4
	v_cndmask_b32_e32 v3, 0x7c00, v3, vcc_lo
	v_cmp_eq_u32_e32 vcc_lo, 0x40f, v4
	s_delay_alu instid0(VALU_DEP_2) | instskip(NEXT) | instid1(VALU_DEP_1)
	v_dual_cndmask_b32 v2, v3, v2 :: v_dual_lshrrev_b32 v3, 16, v1
	v_and_or_b32 v2, 0x8000, v3, v2
	global_store_b16 v[6:7], v2, off
.LBB7_2159:
	s_mov_b32 s0, 0
.LBB7_2160:
	s_delay_alu instid0(SALU_CYCLE_1)
	s_and_not1_b32 vcc_lo, exec_lo, s0
	s_cbranch_vccnz .LBB7_2176
; %bb.2161:
	s_sext_i32_i16 s1, s6
	s_mov_b32 s0, -1
	s_cmp_lt_i32 s1, 2
	s_cbranch_scc1 .LBB7_2171
; %bb.2162:
	s_cmp_lt_i32 s1, 3
	s_cbranch_scc1 .LBB7_2168
; %bb.2163:
	s_cmp_gt_i32 s1, 3
	s_cbranch_scc0 .LBB7_2165
; %bb.2164:
	s_wait_loadcnt 0x0
	v_trunc_f64_e32 v[2:3], v[0:1]
	s_mov_b32 s0, 0
	s_delay_alu instid0(VALU_DEP_1) | instskip(NEXT) | instid1(VALU_DEP_1)
	v_ldexp_f64 v[4:5], v[2:3], 0xffffffe0
	v_floor_f64_e32 v[4:5], v[4:5]
	s_delay_alu instid0(VALU_DEP_1) | instskip(SKIP_1) | instid1(VALU_DEP_2)
	v_fmamk_f64 v[2:3], v[4:5], 0xc1f00000, v[2:3]
	v_cvt_i32_f64_e32 v5, v[4:5]
	v_cvt_u32_f64_e32 v4, v[2:3]
	global_store_b64 v[6:7], v[4:5], off
.LBB7_2165:
	s_and_not1_b32 vcc_lo, exec_lo, s0
	s_cbranch_vccnz .LBB7_2167
; %bb.2166:
	s_wait_loadcnt 0x0
	v_cvt_i32_f64_e32 v2, v[0:1]
	global_store_b32 v[6:7], v2, off
.LBB7_2167:
	s_mov_b32 s0, 0
.LBB7_2168:
	s_delay_alu instid0(SALU_CYCLE_1)
	s_and_not1_b32 vcc_lo, exec_lo, s0
	s_cbranch_vccnz .LBB7_2170
; %bb.2169:
	s_wait_loadcnt 0x0
	v_cvt_i32_f64_e32 v2, v[0:1]
	global_store_b16 v[6:7], v2, off
.LBB7_2170:
	s_mov_b32 s0, 0
.LBB7_2171:
	s_delay_alu instid0(SALU_CYCLE_1)
	s_and_not1_b32 vcc_lo, exec_lo, s0
	s_cbranch_vccnz .LBB7_2176
; %bb.2172:
	s_sext_i32_i16 s0, s6
	s_delay_alu instid0(SALU_CYCLE_1)
	s_cmp_gt_i32 s0, 0
	s_mov_b32 s0, -1
	s_cbranch_scc0 .LBB7_2174
; %bb.2173:
	s_wait_loadcnt 0x0
	v_cvt_i32_f64_e32 v2, v[0:1]
	s_mov_b32 s0, 0
	global_store_b8 v[6:7], v2, off
.LBB7_2174:
	s_and_not1_b32 vcc_lo, exec_lo, s0
	s_cbranch_vccnz .LBB7_2176
; %bb.2175:
	s_wait_xcnt 0x0
	v_trunc_f64_e32 v[0:1], v[0:1]
	s_wait_loadcnt 0x0
	s_delay_alu instid0(VALU_DEP_1) | instskip(NEXT) | instid1(VALU_DEP_1)
	v_ldexp_f64 v[2:3], v[0:1], 0xffffffe0
	v_floor_f64_e32 v[2:3], v[2:3]
	s_delay_alu instid0(VALU_DEP_1) | instskip(NEXT) | instid1(VALU_DEP_1)
	v_fmamk_f64 v[0:1], v[2:3], 0xc1f00000, v[0:1]
	v_cvt_u32_f64_e32 v0, v[0:1]
	global_store_b8 v[6:7], v0, off
	s_endpgm
.LBB7_2176:
	s_endpgm
.LBB7_2177:
	s_or_b32 s1, s1, exec_lo
	s_trap 2
	s_cbranch_execz .LBB7_1646
	s_branch .LBB7_1647
.LBB7_2178:
	s_and_not1_saveexec_b32 s11, s11
	s_cbranch_execz .LBB7_1730
.LBB7_2179:
	v_add_f32_e64 v3, 0x46000000, |v2|
	s_and_not1_b32 s10, s10, exec_lo
	s_delay_alu instid0(VALU_DEP_1) | instskip(NEXT) | instid1(VALU_DEP_1)
	v_and_b32_e32 v3, 0xff, v3
	v_cmp_ne_u32_e32 vcc_lo, 0, v3
	s_and_b32 s12, vcc_lo, exec_lo
	s_delay_alu instid0(SALU_CYCLE_1)
	s_or_b32 s10, s10, s12
	s_or_b32 exec_lo, exec_lo, s11
	v_mov_b32_e32 v5, 0
	s_and_saveexec_b32 s11, s10
	s_cbranch_execnz .LBB7_1731
	s_branch .LBB7_1732
.LBB7_2180:
	s_or_b32 s1, s1, exec_lo
	s_trap 2
	s_cbranch_execz .LBB7_1778
	s_branch .LBB7_1779
.LBB7_2181:
	s_and_not1_saveexec_b32 s10, s10
	s_cbranch_execz .LBB7_1743
.LBB7_2182:
	v_add_f32_e64 v3, 0x42800000, |v2|
	s_and_not1_b32 s7, s7, exec_lo
	s_delay_alu instid0(VALU_DEP_1) | instskip(NEXT) | instid1(VALU_DEP_1)
	v_and_b32_e32 v3, 0xff, v3
	v_cmp_ne_u32_e32 vcc_lo, 0, v3
	s_and_b32 s11, vcc_lo, exec_lo
	s_delay_alu instid0(SALU_CYCLE_1)
	s_or_b32 s7, s7, s11
	s_or_b32 exec_lo, exec_lo, s10
	v_mov_b32_e32 v5, 0
	s_and_saveexec_b32 s10, s7
	s_cbranch_execnz .LBB7_1744
	s_branch .LBB7_1745
.LBB7_2183:
	s_and_not1_saveexec_b32 s11, s11
	s_cbranch_execz .LBB7_1848
.LBB7_2184:
	v_add_f32_e64 v3, 0x46000000, |v2|
	s_and_not1_b32 s10, s10, exec_lo
	s_delay_alu instid0(VALU_DEP_1) | instskip(NEXT) | instid1(VALU_DEP_1)
	v_and_b32_e32 v3, 0xff, v3
	v_cmp_ne_u32_e32 vcc_lo, 0, v3
	s_and_b32 s12, vcc_lo, exec_lo
	s_delay_alu instid0(SALU_CYCLE_1)
	s_or_b32 s10, s10, s12
	s_or_b32 exec_lo, exec_lo, s11
	v_mov_b32_e32 v5, 0
	s_and_saveexec_b32 s11, s10
	s_cbranch_execnz .LBB7_1849
	s_branch .LBB7_1850
.LBB7_2185:
	s_or_b32 s1, s1, exec_lo
	s_trap 2
	s_cbranch_execz .LBB7_1896
	s_branch .LBB7_1897
.LBB7_2186:
	s_and_not1_saveexec_b32 s10, s10
	s_cbranch_execz .LBB7_1861
.LBB7_2187:
	v_add_f32_e64 v3, 0x42800000, |v2|
	s_and_not1_b32 s7, s7, exec_lo
	s_delay_alu instid0(VALU_DEP_1) | instskip(NEXT) | instid1(VALU_DEP_1)
	v_and_b32_e32 v3, 0xff, v3
	v_cmp_ne_u32_e32 vcc_lo, 0, v3
	s_and_b32 s11, vcc_lo, exec_lo
	s_delay_alu instid0(SALU_CYCLE_1)
	s_or_b32 s7, s7, s11
	s_or_b32 exec_lo, exec_lo, s10
	v_mov_b32_e32 v5, 0
	s_and_saveexec_b32 s10, s7
	s_cbranch_execnz .LBB7_1862
	s_branch .LBB7_1863
.LBB7_2188:
	s_and_not1_saveexec_b32 s11, s11
	s_cbranch_execz .LBB7_1966
.LBB7_2189:
	v_add_f32_e64 v3, 0x46000000, |v2|
	s_and_not1_b32 s10, s10, exec_lo
	s_delay_alu instid0(VALU_DEP_1) | instskip(NEXT) | instid1(VALU_DEP_1)
	v_and_b32_e32 v3, 0xff, v3
	v_cmp_ne_u32_e32 vcc_lo, 0, v3
	s_and_b32 s12, vcc_lo, exec_lo
	s_delay_alu instid0(SALU_CYCLE_1)
	s_or_b32 s10, s10, s12
	s_or_b32 exec_lo, exec_lo, s11
	v_mov_b32_e32 v5, 0
	s_and_saveexec_b32 s11, s10
	s_cbranch_execnz .LBB7_1967
	s_branch .LBB7_1968
.LBB7_2190:
	s_or_b32 s1, s1, exec_lo
	s_trap 2
	s_cbranch_execz .LBB7_2014
	s_branch .LBB7_2015
.LBB7_2191:
	s_and_not1_saveexec_b32 s10, s10
	s_cbranch_execz .LBB7_1979
.LBB7_2192:
	v_add_f32_e64 v3, 0x42800000, |v2|
	s_and_not1_b32 s7, s7, exec_lo
	s_delay_alu instid0(VALU_DEP_1) | instskip(NEXT) | instid1(VALU_DEP_1)
	v_and_b32_e32 v3, 0xff, v3
	v_cmp_ne_u32_e32 vcc_lo, 0, v3
	s_and_b32 s11, vcc_lo, exec_lo
	s_delay_alu instid0(SALU_CYCLE_1)
	s_or_b32 s7, s7, s11
	s_or_b32 exec_lo, exec_lo, s10
	v_mov_b32_e32 v5, 0
	s_and_saveexec_b32 s10, s7
	s_cbranch_execnz .LBB7_1980
	s_branch .LBB7_1981
.LBB7_2193:
	s_and_not1_saveexec_b32 s7, s7
	s_cbranch_execz .LBB7_2046
.LBB7_2194:
	v_add_f32_e64 v3, 0x46000000, |v2|
	s_and_not1_b32 s5, s5, exec_lo
	s_delay_alu instid0(VALU_DEP_1) | instskip(NEXT) | instid1(VALU_DEP_1)
	v_and_b32_e32 v3, 0xff, v3
	v_cmp_ne_u32_e32 vcc_lo, 0, v3
	s_and_b32 s10, vcc_lo, exec_lo
	s_delay_alu instid0(SALU_CYCLE_1)
	s_or_b32 s5, s5, s10
	s_or_b32 exec_lo, exec_lo, s7
	v_mov_b32_e32 v4, 0
	s_and_saveexec_b32 s7, s5
	s_cbranch_execnz .LBB7_2047
	s_branch .LBB7_2048
.LBB7_2195:
	s_mov_b32 s3, 0
	s_or_b32 s1, s1, exec_lo
	s_trap 2
	s_branch .LBB7_2092
.LBB7_2196:
	s_and_not1_saveexec_b32 s5, s5
	s_cbranch_execz .LBB7_2058
.LBB7_2197:
	v_add_f32_e64 v3, 0x42800000, |v2|
	s_and_not1_b32 s4, s4, exec_lo
	s_delay_alu instid0(VALU_DEP_1) | instskip(NEXT) | instid1(VALU_DEP_1)
	v_and_b32_e32 v3, 0xff, v3
	v_cmp_ne_u32_e32 vcc_lo, 0, v3
	s_and_b32 s7, vcc_lo, exec_lo
	s_delay_alu instid0(SALU_CYCLE_1)
	s_or_b32 s4, s4, s7
	s_or_b32 exec_lo, exec_lo, s5
	v_mov_b32_e32 v4, 0
	s_and_saveexec_b32 s5, s4
	s_cbranch_execnz .LBB7_2059
	s_branch .LBB7_2060
	.section	.rodata,"a",@progbits
	.p2align	6, 0x0
	.amdhsa_kernel _ZN2at6native32elementwise_kernel_manual_unrollILi128ELi4EZNS0_15gpu_kernel_implIZZZNS0_15sin_kernel_cudaERNS_18TensorIteratorBaseEENKUlvE0_clEvENKUlvE_clEvEUldE_EEvS4_RKT_EUlibE0_EEviT1_
		.amdhsa_group_segment_fixed_size 0
		.amdhsa_private_segment_fixed_size 0
		.amdhsa_kernarg_size 360
		.amdhsa_user_sgpr_count 2
		.amdhsa_user_sgpr_dispatch_ptr 0
		.amdhsa_user_sgpr_queue_ptr 0
		.amdhsa_user_sgpr_kernarg_segment_ptr 1
		.amdhsa_user_sgpr_dispatch_id 0
		.amdhsa_user_sgpr_kernarg_preload_length 0
		.amdhsa_user_sgpr_kernarg_preload_offset 0
		.amdhsa_user_sgpr_private_segment_size 0
		.amdhsa_wavefront_size32 1
		.amdhsa_uses_dynamic_stack 0
		.amdhsa_enable_private_segment 0
		.amdhsa_system_sgpr_workgroup_id_x 1
		.amdhsa_system_sgpr_workgroup_id_y 0
		.amdhsa_system_sgpr_workgroup_id_z 0
		.amdhsa_system_sgpr_workgroup_info 0
		.amdhsa_system_vgpr_workitem_id 0
		.amdhsa_next_free_vgpr 62
		.amdhsa_next_free_sgpr 68
		.amdhsa_named_barrier_count 0
		.amdhsa_reserve_vcc 1
		.amdhsa_float_round_mode_32 0
		.amdhsa_float_round_mode_16_64 0
		.amdhsa_float_denorm_mode_32 3
		.amdhsa_float_denorm_mode_16_64 3
		.amdhsa_fp16_overflow 0
		.amdhsa_memory_ordered 1
		.amdhsa_forward_progress 1
		.amdhsa_inst_pref_size 255
		.amdhsa_round_robin_scheduling 0
		.amdhsa_exception_fp_ieee_invalid_op 0
		.amdhsa_exception_fp_denorm_src 0
		.amdhsa_exception_fp_ieee_div_zero 0
		.amdhsa_exception_fp_ieee_overflow 0
		.amdhsa_exception_fp_ieee_underflow 0
		.amdhsa_exception_fp_ieee_inexact 0
		.amdhsa_exception_int_div_zero 0
	.end_amdhsa_kernel
	.section	.text._ZN2at6native32elementwise_kernel_manual_unrollILi128ELi4EZNS0_15gpu_kernel_implIZZZNS0_15sin_kernel_cudaERNS_18TensorIteratorBaseEENKUlvE0_clEvENKUlvE_clEvEUldE_EEvS4_RKT_EUlibE0_EEviT1_,"axG",@progbits,_ZN2at6native32elementwise_kernel_manual_unrollILi128ELi4EZNS0_15gpu_kernel_implIZZZNS0_15sin_kernel_cudaERNS_18TensorIteratorBaseEENKUlvE0_clEvENKUlvE_clEvEUldE_EEvS4_RKT_EUlibE0_EEviT1_,comdat
.Lfunc_end7:
	.size	_ZN2at6native32elementwise_kernel_manual_unrollILi128ELi4EZNS0_15gpu_kernel_implIZZZNS0_15sin_kernel_cudaERNS_18TensorIteratorBaseEENKUlvE0_clEvENKUlvE_clEvEUldE_EEvS4_RKT_EUlibE0_EEviT1_, .Lfunc_end7-_ZN2at6native32elementwise_kernel_manual_unrollILi128ELi4EZNS0_15gpu_kernel_implIZZZNS0_15sin_kernel_cudaERNS_18TensorIteratorBaseEENKUlvE0_clEvENKUlvE_clEvEUldE_EEvS4_RKT_EUlibE0_EEviT1_
                                        ; -- End function
	.set _ZN2at6native32elementwise_kernel_manual_unrollILi128ELi4EZNS0_15gpu_kernel_implIZZZNS0_15sin_kernel_cudaERNS_18TensorIteratorBaseEENKUlvE0_clEvENKUlvE_clEvEUldE_EEvS4_RKT_EUlibE0_EEviT1_.num_vgpr, 62
	.set _ZN2at6native32elementwise_kernel_manual_unrollILi128ELi4EZNS0_15gpu_kernel_implIZZZNS0_15sin_kernel_cudaERNS_18TensorIteratorBaseEENKUlvE0_clEvENKUlvE_clEvEUldE_EEvS4_RKT_EUlibE0_EEviT1_.num_agpr, 0
	.set _ZN2at6native32elementwise_kernel_manual_unrollILi128ELi4EZNS0_15gpu_kernel_implIZZZNS0_15sin_kernel_cudaERNS_18TensorIteratorBaseEENKUlvE0_clEvENKUlvE_clEvEUldE_EEvS4_RKT_EUlibE0_EEviT1_.numbered_sgpr, 68
	.set _ZN2at6native32elementwise_kernel_manual_unrollILi128ELi4EZNS0_15gpu_kernel_implIZZZNS0_15sin_kernel_cudaERNS_18TensorIteratorBaseEENKUlvE0_clEvENKUlvE_clEvEUldE_EEvS4_RKT_EUlibE0_EEviT1_.num_named_barrier, 0
	.set _ZN2at6native32elementwise_kernel_manual_unrollILi128ELi4EZNS0_15gpu_kernel_implIZZZNS0_15sin_kernel_cudaERNS_18TensorIteratorBaseEENKUlvE0_clEvENKUlvE_clEvEUldE_EEvS4_RKT_EUlibE0_EEviT1_.private_seg_size, 0
	.set _ZN2at6native32elementwise_kernel_manual_unrollILi128ELi4EZNS0_15gpu_kernel_implIZZZNS0_15sin_kernel_cudaERNS_18TensorIteratorBaseEENKUlvE0_clEvENKUlvE_clEvEUldE_EEvS4_RKT_EUlibE0_EEviT1_.uses_vcc, 1
	.set _ZN2at6native32elementwise_kernel_manual_unrollILi128ELi4EZNS0_15gpu_kernel_implIZZZNS0_15sin_kernel_cudaERNS_18TensorIteratorBaseEENKUlvE0_clEvENKUlvE_clEvEUldE_EEvS4_RKT_EUlibE0_EEviT1_.uses_flat_scratch, 0
	.set _ZN2at6native32elementwise_kernel_manual_unrollILi128ELi4EZNS0_15gpu_kernel_implIZZZNS0_15sin_kernel_cudaERNS_18TensorIteratorBaseEENKUlvE0_clEvENKUlvE_clEvEUldE_EEvS4_RKT_EUlibE0_EEviT1_.has_dyn_sized_stack, 0
	.set _ZN2at6native32elementwise_kernel_manual_unrollILi128ELi4EZNS0_15gpu_kernel_implIZZZNS0_15sin_kernel_cudaERNS_18TensorIteratorBaseEENKUlvE0_clEvENKUlvE_clEvEUldE_EEvS4_RKT_EUlibE0_EEviT1_.has_recursion, 0
	.set _ZN2at6native32elementwise_kernel_manual_unrollILi128ELi4EZNS0_15gpu_kernel_implIZZZNS0_15sin_kernel_cudaERNS_18TensorIteratorBaseEENKUlvE0_clEvENKUlvE_clEvEUldE_EEvS4_RKT_EUlibE0_EEviT1_.has_indirect_call, 0
	.section	.AMDGPU.csdata,"",@progbits
; Kernel info:
; codeLenInByte = 56376
; TotalNumSgprs: 70
; NumVgprs: 62
; ScratchSize: 0
; MemoryBound: 1
; FloatMode: 240
; IeeeMode: 1
; LDSByteSize: 0 bytes/workgroup (compile time only)
; SGPRBlocks: 0
; VGPRBlocks: 3
; NumSGPRsForWavesPerEU: 70
; NumVGPRsForWavesPerEU: 62
; NamedBarCnt: 0
; Occupancy: 16
; WaveLimiterHint : 1
; COMPUTE_PGM_RSRC2:SCRATCH_EN: 0
; COMPUTE_PGM_RSRC2:USER_SGPR: 2
; COMPUTE_PGM_RSRC2:TRAP_HANDLER: 0
; COMPUTE_PGM_RSRC2:TGID_X_EN: 1
; COMPUTE_PGM_RSRC2:TGID_Y_EN: 0
; COMPUTE_PGM_RSRC2:TGID_Z_EN: 0
; COMPUTE_PGM_RSRC2:TIDIG_COMP_CNT: 0
	.section	.text._ZN2at6native29vectorized_elementwise_kernelILi16EZZZNS0_15sin_kernel_cudaERNS_18TensorIteratorBaseEENKUlvE0_clEvENKUlvE0_clEvEUlfE_St5arrayIPcLm2EEEEviT0_T1_,"axG",@progbits,_ZN2at6native29vectorized_elementwise_kernelILi16EZZZNS0_15sin_kernel_cudaERNS_18TensorIteratorBaseEENKUlvE0_clEvENKUlvE0_clEvEUlfE_St5arrayIPcLm2EEEEviT0_T1_,comdat
	.globl	_ZN2at6native29vectorized_elementwise_kernelILi16EZZZNS0_15sin_kernel_cudaERNS_18TensorIteratorBaseEENKUlvE0_clEvENKUlvE0_clEvEUlfE_St5arrayIPcLm2EEEEviT0_T1_ ; -- Begin function _ZN2at6native29vectorized_elementwise_kernelILi16EZZZNS0_15sin_kernel_cudaERNS_18TensorIteratorBaseEENKUlvE0_clEvENKUlvE0_clEvEUlfE_St5arrayIPcLm2EEEEviT0_T1_
	.p2align	8
	.type	_ZN2at6native29vectorized_elementwise_kernelILi16EZZZNS0_15sin_kernel_cudaERNS_18TensorIteratorBaseEENKUlvE0_clEvENKUlvE0_clEvEUlfE_St5arrayIPcLm2EEEEviT0_T1_,@function
_ZN2at6native29vectorized_elementwise_kernelILi16EZZZNS0_15sin_kernel_cudaERNS_18TensorIteratorBaseEENKUlvE0_clEvENKUlvE0_clEvEUlfE_St5arrayIPcLm2EEEEviT0_T1_: ; @_ZN2at6native29vectorized_elementwise_kernelILi16EZZZNS0_15sin_kernel_cudaERNS_18TensorIteratorBaseEENKUlvE0_clEvENKUlvE0_clEvEUlfE_St5arrayIPcLm2EEEEviT0_T1_
; %bb.0:
	s_clause 0x1
	s_load_b32 s2, s[0:1], 0x0
	s_load_b128 s[4:7], s[0:1], 0x8
	s_wait_xcnt 0x0
	s_bfe_u32 s0, ttmp6, 0x4000c
	s_and_b32 s1, ttmp6, 15
	s_add_co_i32 s0, s0, 1
	s_getreg_b32 s3, hwreg(HW_REG_IB_STS2, 6, 4)
	s_mul_i32 s0, ttmp9, s0
	s_delay_alu instid0(SALU_CYCLE_1) | instskip(SKIP_2) | instid1(SALU_CYCLE_1)
	s_add_co_i32 s1, s1, s0
	s_cmp_eq_u32 s3, 0
	s_cselect_b32 s0, ttmp9, s1
	s_lshl_b32 s8, s0, 10
	s_mov_b32 s0, -1
	s_wait_kmcnt 0x0
	s_sub_co_i32 s10, s2, s8
	s_delay_alu instid0(SALU_CYCLE_1)
	s_cmp_gt_i32 s10, 0x3ff
	s_cbranch_scc0 .LBB8_18
; %bb.1:
	s_ashr_i32 s9, s8, 31
	v_mov_b32_e32 v7, 0
	s_lshl_b64 s[2:3], s[8:9], 2
                                        ; implicit-def: $vgpr10
                                        ; implicit-def: $vgpr6
	s_delay_alu instid0(SALU_CYCLE_1)
	s_add_nc_u64 s[0:1], s[6:7], s[2:3]
	global_load_b128 v[2:5], v0, s[0:1] scale_offset
	s_wait_xcnt 0x0
	s_mov_b32 s1, exec_lo
	s_wait_loadcnt 0x0
	v_and_b32_e32 v1, 0x7fffffff, v2
	v_cmpx_ngt_f32_e64 0x48000000, |v2|
	s_xor_b32 s9, exec_lo, s1
	s_cbranch_execz .LBB8_3
; %bb.2:
	s_mov_b32 s0, 0x7fffff
	v_mov_b32_e32 v19, v7
	v_and_or_b32 v6, v1, s0, 0x800000
	s_mov_b64 s[0:1], 0xfe5163ab
	s_delay_alu instid0(VALU_DEP_1) | instid1(SALU_CYCLE_1)
	v_mul_u64_e32 v[8:9], s[0:1], v[6:7]
	s_delay_alu instid0(VALU_DEP_1) | instskip(SKIP_1) | instid1(VALU_DEP_2)
	v_dual_mov_b32 v11, v7 :: v_dual_mov_b32 v10, v9
	v_lshrrev_b32_e32 v9, 23, v1
	v_mad_nc_u64_u32 v[10:11], 0x3c439041, v6, v[10:11]
	v_mov_b32_e32 v13, v7
	s_delay_alu instid0(VALU_DEP_3) | instskip(NEXT) | instid1(VALU_DEP_1)
	v_add_nc_u32_e32 v9, 0xffffff88, v9
	v_cmp_lt_u32_e32 vcc_lo, 63, v9
	s_delay_alu instid0(VALU_DEP_4) | instskip(SKIP_1) | instid1(VALU_DEP_2)
	v_mov_b32_e32 v12, v11
	v_cndmask_b32_e64 v11, 0, 0xffffffc0, vcc_lo
	v_mad_nc_u64_u32 v[12:13], 0xdb629599, v6, v[12:13]
	s_delay_alu instid0(VALU_DEP_1) | instskip(NEXT) | instid1(VALU_DEP_2)
	v_dual_mov_b32 v15, v7 :: v_dual_mov_b32 v14, v13
	v_cndmask_b32_e32 v8, v12, v8, vcc_lo
	s_delay_alu instid0(VALU_DEP_2) | instskip(NEXT) | instid1(VALU_DEP_1)
	v_mad_nc_u64_u32 v[14:15], 0xf534ddc0, v6, v[14:15]
	v_dual_mov_b32 v17, v7 :: v_dual_mov_b32 v16, v15
	s_delay_alu instid0(VALU_DEP_2) | instskip(NEXT) | instid1(VALU_DEP_2)
	v_cndmask_b32_e32 v10, v14, v10, vcc_lo
	v_mad_nc_u64_u32 v[16:17], 0xfc2757d1, v6, v[16:17]
	s_delay_alu instid0(VALU_DEP_1) | instskip(NEXT) | instid1(VALU_DEP_1)
	v_dual_mov_b32 v18, v17 :: v_dual_cndmask_b32 v15, v16, v12
	v_mad_nc_u64_u32 v[18:19], 0x4e441529, v6, v[18:19]
	v_add_nc_u32_e32 v9, v11, v9
	s_delay_alu instid0(VALU_DEP_2) | instskip(NEXT) | instid1(VALU_DEP_3)
	v_dual_mov_b32 v21, v7 :: v_dual_mov_b32 v20, v19
	v_cndmask_b32_e32 v13, v18, v14, vcc_lo
	s_delay_alu instid0(VALU_DEP_3) | instskip(NEXT) | instid1(VALU_DEP_3)
	v_cmp_lt_u32_e64 s0, 31, v9
	v_mad_nc_u64_u32 v[6:7], 0xa2f9836e, v6, v[20:21]
	s_delay_alu instid0(VALU_DEP_2) | instskip(NEXT) | instid1(VALU_DEP_1)
	v_cndmask_b32_e64 v11, 0, 0xffffffe0, s0
	v_dual_cndmask_b32 v8, v10, v8, s0 :: v_dual_add_nc_u32 v9, v11, v9
	s_delay_alu instid0(VALU_DEP_3) | instskip(NEXT) | instid1(VALU_DEP_2)
	v_cndmask_b32_e32 v6, v6, v16, vcc_lo
	v_cmp_lt_u32_e64 s1, 31, v9
	v_cndmask_b32_e32 v7, v7, v18, vcc_lo
	s_delay_alu instid0(VALU_DEP_2) | instskip(NEXT) | instid1(VALU_DEP_1)
	v_cndmask_b32_e64 v11, 0, 0xffffffe0, s1
	v_add_nc_u32_e32 v9, v11, v9
	s_delay_alu instid0(VALU_DEP_3) | instskip(SKIP_1) | instid1(VALU_DEP_3)
	v_dual_cndmask_b32 v11, v6, v13, s0 :: v_dual_cndmask_b32 v6, v7, v6, s0
	v_dual_cndmask_b32 v7, v13, v15, s0 :: v_dual_cndmask_b32 v14, v15, v10, s0
	v_sub_nc_u32_e32 v13, 32, v9
	v_cmp_eq_u32_e32 vcc_lo, 0, v9
	s_delay_alu instid0(VALU_DEP_4) | instskip(NEXT) | instid1(VALU_DEP_4)
	v_cndmask_b32_e64 v6, v6, v11, s1
	v_cndmask_b32_e64 v11, v11, v7, s1
	;; [unrolled: 1-line block ×3, first 2 shown]
	s_delay_alu instid0(VALU_DEP_2) | instskip(NEXT) | instid1(VALU_DEP_2)
	v_alignbit_b32 v15, v6, v11, v13
	v_alignbit_b32 v12, v11, v7, v13
	s_delay_alu instid0(VALU_DEP_1) | instskip(NEXT) | instid1(VALU_DEP_1)
	v_dual_cndmask_b32 v6, v15, v6 :: v_dual_cndmask_b32 v9, v12, v11
	v_bfe_u32 v10, v6, 29, 1
	v_cndmask_b32_e64 v8, v14, v8, s1
	s_delay_alu instid0(VALU_DEP_3) | instskip(NEXT) | instid1(VALU_DEP_3)
	v_alignbit_b32 v11, v6, v9, 30
	v_sub_nc_u32_e32 v12, 0, v10
	s_delay_alu instid0(VALU_DEP_3) | instskip(NEXT) | instid1(VALU_DEP_1)
	v_alignbit_b32 v13, v7, v8, v13
	v_dual_cndmask_b32 v7, v13, v7, vcc_lo :: v_dual_bitop2_b32 v11, v11, v12 bitop3:0x14
	s_delay_alu instid0(VALU_DEP_1) | instskip(NEXT) | instid1(VALU_DEP_2)
	v_clz_i32_u32_e32 v13, v11
	v_alignbit_b32 v9, v9, v7, 30
	v_alignbit_b32 v7, v7, v8, 30
	s_delay_alu instid0(VALU_DEP_3) | instskip(NEXT) | instid1(VALU_DEP_3)
	v_min_u32_e32 v13, 32, v13
	v_xor_b32_e32 v8, v9, v12
	s_delay_alu instid0(VALU_DEP_3) | instskip(NEXT) | instid1(VALU_DEP_3)
	v_dual_lshrrev_b32 v12, 29, v6 :: v_dual_bitop2_b32 v7, v7, v12 bitop3:0x14
	v_dual_sub_nc_u32 v9, 31, v13 :: v_dual_lshlrev_b32 v14, 23, v13
	s_delay_alu instid0(VALU_DEP_1) | instskip(NEXT) | instid1(VALU_DEP_3)
	v_alignbit_b32 v11, v11, v8, v9
	v_alignbit_b32 v7, v8, v7, v9
	s_delay_alu instid0(VALU_DEP_4) | instskip(NEXT) | instid1(VALU_DEP_2)
	v_lshlrev_b32_e32 v8, 31, v12
	v_alignbit_b32 v9, v11, v7, 9
	s_delay_alu instid0(VALU_DEP_2) | instskip(SKIP_1) | instid1(VALU_DEP_3)
	v_dual_lshrrev_b32 v11, 9, v11 :: v_dual_bitop2_b32 v12, 0.5, v8 bitop3:0x54
	v_or_b32_e32 v8, 0x33000000, v8
	v_clz_i32_u32_e32 v15, v9
	s_delay_alu instid0(VALU_DEP_3) | instskip(NEXT) | instid1(VALU_DEP_2)
	v_sub_nc_u32_e32 v12, v12, v14
	v_min_u32_e32 v14, 32, v15
	s_delay_alu instid0(VALU_DEP_1) | instskip(NEXT) | instid1(VALU_DEP_3)
	v_add_lshl_u32 v13, v14, v13, 23
	v_or_b32_e32 v11, v11, v12
	v_not_b32_e32 v12, v14
	s_delay_alu instid0(VALU_DEP_2) | instskip(NEXT) | instid1(VALU_DEP_2)
	v_dual_mul_f32 v15, 0x3fc90fda, v11 :: v_dual_sub_nc_u32 v8, v8, v13
	v_alignbit_b32 v7, v9, v7, v12
	s_delay_alu instid0(VALU_DEP_2) | instskip(NEXT) | instid1(VALU_DEP_2)
	v_fma_f32 v9, 0x3fc90fda, v11, -v15
	v_lshrrev_b32_e32 v7, 9, v7
	s_delay_alu instid0(VALU_DEP_2) | instskip(NEXT) | instid1(VALU_DEP_2)
	v_fmamk_f32 v9, v11, 0x33a22168, v9
	v_or_b32_e32 v7, v8, v7
	s_delay_alu instid0(VALU_DEP_1) | instskip(NEXT) | instid1(VALU_DEP_1)
	v_fmac_f32_e32 v9, 0x3fc90fda, v7
	v_dual_add_f32 v6, v15, v9 :: v_dual_lshrrev_b32 v7, 30, v6
	s_delay_alu instid0(VALU_DEP_1)
	v_add_nc_u32_e32 v10, v10, v7
.LBB8_3:
	s_and_not1_saveexec_b32 s0, s9
; %bb.4:
	v_mul_f32_e64 v6, 0x3f22f983, |v2|
	s_delay_alu instid0(VALU_DEP_1) | instskip(NEXT) | instid1(VALU_DEP_1)
	v_rndne_f32_e32 v7, v6
	v_fma_f32 v6, 0xbfc90fda, v7, |v2|
	v_cvt_i32_f32_e32 v10, v7
	s_delay_alu instid0(VALU_DEP_2) | instskip(NEXT) | instid1(VALU_DEP_1)
	v_fmamk_f32 v6, v7, 0xb3a22168, v6
	v_fmamk_f32 v6, v7, 0xa7c234c4, v6
; %bb.5:
	s_or_b32 exec_lo, exec_lo, s0
	v_and_b32_e32 v11, 0x7fffffff, v3
                                        ; implicit-def: $vgpr13
	s_mov_b32 s1, exec_lo
	v_cmpx_ngt_f32_e64 0x48000000, |v3|
	s_xor_b32 s9, exec_lo, s1
	s_cbranch_execz .LBB8_7
; %bb.6:
	s_mov_b32 s0, 0x7fffff
	v_mov_b32_e32 v9, 0
	v_and_or_b32 v8, v11, s0, 0x800000
	s_mov_b64 s[0:1], 0xfe5163ab
	v_lshrrev_b32_e32 v7, 23, v11
	s_delay_alu instid0(VALU_DEP_2) | instskip(NEXT) | instid1(VALU_DEP_1)
	v_mul_u64_e32 v[12:13], s[0:1], v[8:9]
	v_dual_mov_b32 v14, v13 :: v_dual_mov_b32 v15, v9
	v_dual_mov_b32 v17, v9 :: v_dual_mov_b32 v19, v9
	v_mov_b32_e32 v21, v9
	s_delay_alu instid0(VALU_DEP_3) | instskip(NEXT) | instid1(VALU_DEP_1)
	v_mad_nc_u64_u32 v[14:15], 0x3c439041, v8, v[14:15]
	v_mov_b32_e32 v16, v15
	s_delay_alu instid0(VALU_DEP_1) | instskip(NEXT) | instid1(VALU_DEP_1)
	v_mad_nc_u64_u32 v[16:17], 0xdb629599, v8, v[16:17]
	v_mov_b32_e32 v18, v17
	s_delay_alu instid0(VALU_DEP_1) | instskip(NEXT) | instid1(VALU_DEP_1)
	;; [unrolled: 3-line block ×3, first 2 shown]
	v_mad_nc_u64_u32 v[20:21], 0xfc2757d1, v8, v[20:21]
	v_dual_mov_b32 v23, v9 :: v_dual_mov_b32 v22, v21
	s_delay_alu instid0(VALU_DEP_1) | instskip(NEXT) | instid1(VALU_DEP_1)
	v_mad_nc_u64_u32 v[22:23], 0x4e441529, v8, v[22:23]
	v_dual_mov_b32 v24, v23 :: v_dual_add_nc_u32 v7, 0xffffff88, v7
	s_delay_alu instid0(VALU_DEP_1) | instskip(SKIP_2) | instid1(VALU_DEP_2)
	v_cmp_lt_u32_e32 vcc_lo, 63, v7
	v_mov_b32_e32 v25, v9
	v_cndmask_b32_e64 v13, 0, 0xffffffc0, vcc_lo
	v_mad_nc_u64_u32 v[8:9], 0xa2f9836e, v8, v[24:25]
	v_dual_cndmask_b32 v15, v22, v18, vcc_lo :: v_dual_cndmask_b32 v17, v20, v16, vcc_lo
	s_delay_alu instid0(VALU_DEP_3) | instskip(NEXT) | instid1(VALU_DEP_1)
	v_dual_cndmask_b32 v12, v16, v12 :: v_dual_add_nc_u32 v7, v13, v7
	v_cmp_lt_u32_e64 s0, 31, v7
	s_delay_alu instid0(VALU_DEP_4) | instskip(NEXT) | instid1(VALU_DEP_2)
	v_dual_cndmask_b32 v8, v8, v20 :: v_dual_cndmask_b32 v9, v9, v22
	v_cndmask_b32_e64 v13, 0, 0xffffffe0, s0
	s_delay_alu instid0(VALU_DEP_1) | instskip(NEXT) | instid1(VALU_DEP_1)
	v_add_nc_u32_e32 v7, v13, v7
	v_cmp_lt_u32_e64 s1, 31, v7
	s_delay_alu instid0(VALU_DEP_1) | instskip(NEXT) | instid1(VALU_DEP_1)
	v_cndmask_b32_e64 v13, 0, 0xffffffe0, s1
	v_dual_add_nc_u32 v7, v13, v7 :: v_dual_cndmask_b32 v13, v18, v14, vcc_lo
	v_dual_cndmask_b32 v14, v8, v15, s0 :: v_dual_cndmask_b32 v8, v9, v8, s0
	s_delay_alu instid0(VALU_DEP_2) | instskip(NEXT) | instid1(VALU_DEP_3)
	v_dual_cndmask_b32 v9, v15, v17, s0 :: v_dual_sub_nc_u32 v15, 32, v7
	v_cndmask_b32_e64 v17, v17, v13, s0
	v_cmp_eq_u32_e32 vcc_lo, 0, v7
	s_delay_alu instid0(VALU_DEP_3) | instskip(NEXT) | instid1(VALU_DEP_3)
	v_dual_cndmask_b32 v8, v8, v14, s1 :: v_dual_cndmask_b32 v14, v14, v9, s1
	v_cndmask_b32_e64 v9, v9, v17, s1
	s_delay_alu instid0(VALU_DEP_2) | instskip(NEXT) | instid1(VALU_DEP_2)
	v_alignbit_b32 v18, v8, v14, v15
	v_alignbit_b32 v16, v14, v9, v15
	s_delay_alu instid0(VALU_DEP_2) | instskip(NEXT) | instid1(VALU_DEP_2)
	v_cndmask_b32_e32 v7, v18, v8, vcc_lo
	v_dual_cndmask_b32 v8, v13, v12, s0 :: v_dual_cndmask_b32 v12, v16, v14, vcc_lo
	s_delay_alu instid0(VALU_DEP_2) | instskip(NEXT) | instid1(VALU_DEP_2)
	v_bfe_u32 v13, v7, 29, 1
	v_alignbit_b32 v14, v7, v12, 30
	s_delay_alu instid0(VALU_DEP_2) | instskip(NEXT) | instid1(VALU_DEP_1)
	v_dual_sub_nc_u32 v16, 0, v13 :: v_dual_cndmask_b32 v8, v17, v8, s1
	v_xor_b32_e32 v14, v14, v16
	s_delay_alu instid0(VALU_DEP_2) | instskip(NEXT) | instid1(VALU_DEP_1)
	v_alignbit_b32 v15, v9, v8, v15
	v_cndmask_b32_e32 v9, v15, v9, vcc_lo
	s_delay_alu instid0(VALU_DEP_3) | instskip(NEXT) | instid1(VALU_DEP_2)
	v_clz_i32_u32_e32 v15, v14
	v_alignbit_b32 v12, v12, v9, 30
	s_delay_alu instid0(VALU_DEP_2) | instskip(SKIP_1) | instid1(VALU_DEP_2)
	v_min_u32_e32 v15, 32, v15
	v_alignbit_b32 v8, v9, v8, 30
	v_dual_sub_nc_u32 v12, 31, v15 :: v_dual_bitop2_b32 v9, v12, v16 bitop3:0x14
	s_delay_alu instid0(VALU_DEP_2) | instskip(SKIP_1) | instid1(VALU_DEP_3)
	v_dual_lshrrev_b32 v16, 29, v7 :: v_dual_bitop2_b32 v8, v8, v16 bitop3:0x14
	v_lshlrev_b32_e32 v17, 23, v15
	v_alignbit_b32 v14, v14, v9, v12
	s_delay_alu instid0(VALU_DEP_3) | instskip(NEXT) | instid1(VALU_DEP_4)
	v_alignbit_b32 v8, v9, v8, v12
	v_lshlrev_b32_e32 v9, 31, v16
	s_delay_alu instid0(VALU_DEP_2) | instskip(NEXT) | instid1(VALU_DEP_2)
	v_alignbit_b32 v12, v14, v8, 9
	v_dual_lshrrev_b32 v14, 9, v14 :: v_dual_bitop2_b32 v16, 0.5, v9 bitop3:0x54
	v_or_b32_e32 v9, 0x33000000, v9
	s_delay_alu instid0(VALU_DEP_3) | instskip(NEXT) | instid1(VALU_DEP_3)
	v_clz_i32_u32_e32 v18, v12
	v_sub_nc_u32_e32 v16, v16, v17
	s_delay_alu instid0(VALU_DEP_2) | instskip(NEXT) | instid1(VALU_DEP_1)
	v_min_u32_e32 v17, 32, v18
	v_add_lshl_u32 v15, v17, v15, 23
	s_delay_alu instid0(VALU_DEP_3) | instskip(SKIP_1) | instid1(VALU_DEP_2)
	v_or_b32_e32 v14, v14, v16
	v_not_b32_e32 v16, v17
	v_dual_mul_f32 v18, 0x3fc90fda, v14 :: v_dual_sub_nc_u32 v9, v9, v15
	s_delay_alu instid0(VALU_DEP_2) | instskip(NEXT) | instid1(VALU_DEP_2)
	v_alignbit_b32 v8, v12, v8, v16
	v_fma_f32 v12, 0x3fc90fda, v14, -v18
	s_delay_alu instid0(VALU_DEP_2) | instskip(NEXT) | instid1(VALU_DEP_2)
	v_lshrrev_b32_e32 v8, 9, v8
	v_fmamk_f32 v12, v14, 0x33a22168, v12
	s_delay_alu instid0(VALU_DEP_2) | instskip(NEXT) | instid1(VALU_DEP_1)
	v_or_b32_e32 v8, v9, v8
	v_fmac_f32_e32 v12, 0x3fc90fda, v8
	v_lshrrev_b32_e32 v8, 30, v7
	s_delay_alu instid0(VALU_DEP_1) | instskip(NEXT) | instid1(VALU_DEP_3)
	v_add_nc_u32_e32 v13, v13, v8
	v_add_f32_e32 v7, v18, v12
.LBB8_7:
	s_and_not1_saveexec_b32 s0, s9
; %bb.8:
	v_mul_f32_e64 v7, 0x3f22f983, |v3|
	s_delay_alu instid0(VALU_DEP_1) | instskip(NEXT) | instid1(VALU_DEP_1)
	v_rndne_f32_e32 v8, v7
	v_fma_f32 v7, 0xbfc90fda, v8, |v3|
	v_cvt_i32_f32_e32 v13, v8
	s_delay_alu instid0(VALU_DEP_2) | instskip(NEXT) | instid1(VALU_DEP_1)
	v_fmamk_f32 v7, v8, 0xb3a22168, v7
	v_fmamk_f32 v7, v8, 0xa7c234c4, v7
; %bb.9:
	s_or_b32 exec_lo, exec_lo, s0
	v_and_b32_e32 v12, 0x7fffffff, v4
                                        ; implicit-def: $vgpr15
                                        ; implicit-def: $vgpr8
	s_mov_b32 s1, exec_lo
	v_cmpx_ngt_f32_e64 0x48000000, |v4|
	s_xor_b32 s9, exec_lo, s1
	s_cbranch_execz .LBB8_11
; %bb.10:
	s_mov_b32 s0, 0x7fffff
	v_mov_b32_e32 v9, 0
	v_and_or_b32 v8, v12, s0, 0x800000
	s_mov_b64 s[0:1], 0xfe5163ab
	s_delay_alu instid0(VALU_DEP_1) | instid1(SALU_CYCLE_1)
	v_mul_u64_e32 v[14:15], s[0:1], v[8:9]
	s_delay_alu instid0(VALU_DEP_1) | instskip(SKIP_2) | instid1(VALU_DEP_3)
	v_dual_mov_b32 v16, v15 :: v_dual_mov_b32 v17, v9
	v_dual_mov_b32 v19, v9 :: v_dual_mov_b32 v21, v9
	v_dual_mov_b32 v23, v9 :: v_dual_lshrrev_b32 v15, 23, v12
	v_mad_nc_u64_u32 v[16:17], 0x3c439041, v8, v[16:17]
	s_delay_alu instid0(VALU_DEP_1) | instskip(NEXT) | instid1(VALU_DEP_1)
	v_mov_b32_e32 v18, v17
	v_mad_nc_u64_u32 v[18:19], 0xdb629599, v8, v[18:19]
	s_delay_alu instid0(VALU_DEP_1) | instskip(NEXT) | instid1(VALU_DEP_1)
	v_mov_b32_e32 v20, v19
	;; [unrolled: 3-line block ×3, first 2 shown]
	v_mad_nc_u64_u32 v[22:23], 0xfc2757d1, v8, v[22:23]
	s_delay_alu instid0(VALU_DEP_1) | instskip(NEXT) | instid1(VALU_DEP_1)
	v_dual_mov_b32 v25, v9 :: v_dual_mov_b32 v24, v23
	v_mad_nc_u64_u32 v[24:25], 0x4e441529, v8, v[24:25]
	s_delay_alu instid0(VALU_DEP_1) | instskip(NEXT) | instid1(VALU_DEP_1)
	v_dual_mov_b32 v26, v25 :: v_dual_add_nc_u32 v15, 0xffffff88, v15
	v_cmp_lt_u32_e32 vcc_lo, 63, v15
	v_mov_b32_e32 v27, v9
	v_cndmask_b32_e64 v17, 0, 0xffffffc0, vcc_lo
	s_delay_alu instid0(VALU_DEP_2) | instskip(SKIP_1) | instid1(VALU_DEP_3)
	v_mad_nc_u64_u32 v[8:9], 0xa2f9836e, v8, v[26:27]
	v_dual_cndmask_b32 v19, v24, v20, vcc_lo :: v_dual_cndmask_b32 v21, v22, v18, vcc_lo
	v_dual_cndmask_b32 v16, v20, v16 :: v_dual_add_nc_u32 v15, v17, v15
	v_cndmask_b32_e32 v14, v18, v14, vcc_lo
	s_delay_alu instid0(VALU_DEP_2) | instskip(SKIP_1) | instid1(VALU_DEP_2)
	v_cmp_lt_u32_e64 s0, 31, v15
	v_dual_cndmask_b32 v8, v8, v22 :: v_dual_cndmask_b32 v9, v9, v24
	v_cndmask_b32_e64 v17, 0, 0xffffffe0, s0
	s_delay_alu instid0(VALU_DEP_4) | instskip(NEXT) | instid1(VALU_DEP_2)
	v_dual_cndmask_b32 v20, v21, v16, s0 :: v_dual_cndmask_b32 v14, v16, v14, s0
	v_add_nc_u32_e32 v15, v17, v15
	s_delay_alu instid0(VALU_DEP_1) | instskip(NEXT) | instid1(VALU_DEP_1)
	v_cmp_lt_u32_e64 s1, 31, v15
	v_cndmask_b32_e64 v17, 0, 0xffffffe0, s1
	s_delay_alu instid0(VALU_DEP_1) | instskip(SKIP_1) | instid1(VALU_DEP_2)
	v_dual_cndmask_b32 v14, v20, v14, s1 :: v_dual_add_nc_u32 v15, v17, v15
	v_dual_cndmask_b32 v17, v8, v19, s0 :: v_dual_cndmask_b32 v8, v9, v8, s0
	v_dual_cndmask_b32 v9, v19, v21, s0 :: v_dual_sub_nc_u32 v19, 32, v15
	v_cmp_eq_u32_e32 vcc_lo, 0, v15
	s_delay_alu instid0(VALU_DEP_3) | instskip(NEXT) | instid1(VALU_DEP_3)
	v_cndmask_b32_e64 v8, v8, v17, s1
	v_cndmask_b32_e64 v17, v17, v9, s1
	;; [unrolled: 1-line block ×3, first 2 shown]
	s_delay_alu instid0(VALU_DEP_2) | instskip(NEXT) | instid1(VALU_DEP_2)
	v_alignbit_b32 v21, v8, v17, v19
	v_alignbit_b32 v18, v17, v9, v19
	;; [unrolled: 1-line block ×3, first 2 shown]
	s_delay_alu instid0(VALU_DEP_2) | instskip(NEXT) | instid1(VALU_DEP_2)
	v_dual_cndmask_b32 v8, v21, v8 :: v_dual_cndmask_b32 v15, v18, v17
	v_cndmask_b32_e32 v9, v19, v9, vcc_lo
	s_delay_alu instid0(VALU_DEP_2) | instskip(NEXT) | instid1(VALU_DEP_3)
	v_bfe_u32 v16, v8, 29, 1
	v_alignbit_b32 v17, v8, v15, 30
	s_delay_alu instid0(VALU_DEP_3) | instskip(SKIP_1) | instid1(VALU_DEP_4)
	v_alignbit_b32 v15, v15, v9, 30
	v_alignbit_b32 v9, v9, v14, 30
	v_sub_nc_u32_e32 v18, 0, v16
	s_delay_alu instid0(VALU_DEP_1) | instskip(NEXT) | instid1(VALU_DEP_4)
	v_xor_b32_e32 v17, v17, v18
	v_xor_b32_e32 v14, v15, v18
	s_delay_alu instid0(VALU_DEP_4) | instskip(NEXT) | instid1(VALU_DEP_3)
	v_dual_lshrrev_b32 v18, 29, v8 :: v_dual_bitop2_b32 v9, v9, v18 bitop3:0x14
	v_clz_i32_u32_e32 v19, v17
	s_delay_alu instid0(VALU_DEP_1) | instskip(NEXT) | instid1(VALU_DEP_1)
	v_min_u32_e32 v19, 32, v19
	v_dual_sub_nc_u32 v15, 31, v19 :: v_dual_lshlrev_b32 v20, 23, v19
	s_delay_alu instid0(VALU_DEP_1) | instskip(SKIP_2) | instid1(VALU_DEP_2)
	v_alignbit_b32 v17, v17, v14, v15
	v_alignbit_b32 v9, v14, v9, v15
	v_lshlrev_b32_e32 v14, 31, v18
	v_alignbit_b32 v15, v17, v9, 9
	s_delay_alu instid0(VALU_DEP_2) | instskip(SKIP_1) | instid1(VALU_DEP_3)
	v_dual_lshrrev_b32 v17, 9, v17 :: v_dual_bitop2_b32 v18, 0.5, v14 bitop3:0x54
	v_or_b32_e32 v14, 0x33000000, v14
	v_clz_i32_u32_e32 v21, v15
	s_delay_alu instid0(VALU_DEP_3) | instskip(NEXT) | instid1(VALU_DEP_2)
	v_sub_nc_u32_e32 v18, v18, v20
	v_min_u32_e32 v20, 32, v21
	s_delay_alu instid0(VALU_DEP_1) | instskip(NEXT) | instid1(VALU_DEP_3)
	v_add_lshl_u32 v19, v20, v19, 23
	v_or_b32_e32 v17, v17, v18
	v_not_b32_e32 v18, v20
	s_delay_alu instid0(VALU_DEP_2) | instskip(NEXT) | instid1(VALU_DEP_2)
	v_dual_mul_f32 v21, 0x3fc90fda, v17 :: v_dual_sub_nc_u32 v14, v14, v19
	v_alignbit_b32 v9, v15, v9, v18
	s_delay_alu instid0(VALU_DEP_2) | instskip(NEXT) | instid1(VALU_DEP_2)
	v_fma_f32 v15, 0x3fc90fda, v17, -v21
	v_lshrrev_b32_e32 v9, 9, v9
	s_delay_alu instid0(VALU_DEP_2) | instskip(NEXT) | instid1(VALU_DEP_2)
	v_fmamk_f32 v15, v17, 0x33a22168, v15
	v_or_b32_e32 v9, v14, v9
	s_delay_alu instid0(VALU_DEP_1) | instskip(NEXT) | instid1(VALU_DEP_1)
	v_fmac_f32_e32 v15, 0x3fc90fda, v9
	v_dual_add_f32 v8, v21, v15 :: v_dual_lshrrev_b32 v9, 30, v8
	s_delay_alu instid0(VALU_DEP_1)
	v_add_nc_u32_e32 v15, v16, v9
.LBB8_11:
	s_and_not1_saveexec_b32 s0, s9
; %bb.12:
	v_mul_f32_e64 v8, 0x3f22f983, |v4|
	s_delay_alu instid0(VALU_DEP_1) | instskip(NEXT) | instid1(VALU_DEP_1)
	v_rndne_f32_e32 v9, v8
	v_fma_f32 v8, 0xbfc90fda, v9, |v4|
	v_cvt_i32_f32_e32 v15, v9
	s_delay_alu instid0(VALU_DEP_2) | instskip(NEXT) | instid1(VALU_DEP_1)
	v_fmamk_f32 v8, v9, 0xb3a22168, v8
	v_fmamk_f32 v8, v9, 0xa7c234c4, v8
; %bb.13:
	s_or_b32 exec_lo, exec_lo, s0
	v_and_b32_e32 v14, 0x7fffffff, v5
                                        ; implicit-def: $vgpr16
	s_mov_b32 s1, exec_lo
	v_cmpx_ngt_f32_e64 0x48000000, |v5|
	s_xor_b32 s9, exec_lo, s1
	s_cbranch_execz .LBB8_15
; %bb.14:
	s_mov_b32 s0, 0x7fffff
	v_mov_b32_e32 v17, 0
	v_and_or_b32 v16, v14, s0, 0x800000
	s_mov_b64 s[0:1], 0xfe5163ab
	v_lshrrev_b32_e32 v9, 23, v14
	s_delay_alu instid0(VALU_DEP_2) | instskip(NEXT) | instid1(VALU_DEP_1)
	v_mul_u64_e32 v[18:19], s[0:1], v[16:17]
	v_dual_mov_b32 v20, v19 :: v_dual_mov_b32 v21, v17
	v_dual_mov_b32 v23, v17 :: v_dual_mov_b32 v25, v17
	;; [unrolled: 1-line block ×3, first 2 shown]
	s_delay_alu instid0(VALU_DEP_3) | instskip(NEXT) | instid1(VALU_DEP_1)
	v_mad_nc_u64_u32 v[20:21], 0x3c439041, v16, v[20:21]
	v_mov_b32_e32 v22, v21
	s_delay_alu instid0(VALU_DEP_1) | instskip(NEXT) | instid1(VALU_DEP_1)
	v_mad_nc_u64_u32 v[22:23], 0xdb629599, v16, v[22:23]
	v_mov_b32_e32 v24, v23
	s_delay_alu instid0(VALU_DEP_1) | instskip(NEXT) | instid1(VALU_DEP_1)
	;; [unrolled: 3-line block ×3, first 2 shown]
	v_mad_nc_u64_u32 v[26:27], 0xfc2757d1, v16, v[26:27]
	v_dual_mov_b32 v29, v17 :: v_dual_mov_b32 v28, v27
	s_delay_alu instid0(VALU_DEP_1) | instskip(NEXT) | instid1(VALU_DEP_1)
	v_mad_nc_u64_u32 v[28:29], 0x4e441529, v16, v[28:29]
	v_dual_mov_b32 v30, v29 :: v_dual_add_nc_u32 v9, 0xffffff88, v9
	s_delay_alu instid0(VALU_DEP_1) | instskip(NEXT) | instid1(VALU_DEP_2)
	v_cmp_lt_u32_e32 vcc_lo, 63, v9
	v_mad_nc_u64_u32 v[16:17], 0xa2f9836e, v16, v[30:31]
	v_cndmask_b32_e64 v19, 0, 0xffffffc0, vcc_lo
	v_dual_cndmask_b32 v21, v28, v24 :: v_dual_cndmask_b32 v18, v22, v18
	s_delay_alu instid0(VALU_DEP_2) | instskip(NEXT) | instid1(VALU_DEP_1)
	v_add_nc_u32_e32 v9, v19, v9
	v_cmp_lt_u32_e64 s0, 31, v9
	v_dual_cndmask_b32 v16, v16, v26 :: v_dual_cndmask_b32 v17, v17, v28
	s_delay_alu instid0(VALU_DEP_2) | instskip(NEXT) | instid1(VALU_DEP_1)
	v_cndmask_b32_e64 v19, 0, 0xffffffe0, s0
	v_add_nc_u32_e32 v9, v19, v9
	s_delay_alu instid0(VALU_DEP_1) | instskip(NEXT) | instid1(VALU_DEP_1)
	v_cmp_lt_u32_e64 s1, 31, v9
	v_cndmask_b32_e64 v19, 0, 0xffffffe0, s1
	s_delay_alu instid0(VALU_DEP_1) | instskip(SKIP_2) | instid1(VALU_DEP_3)
	v_dual_cndmask_b32 v23, v26, v22, vcc_lo :: v_dual_add_nc_u32 v9, v19, v9
	v_cndmask_b32_e32 v19, v24, v20, vcc_lo
	v_dual_cndmask_b32 v20, v16, v21, s0 :: v_dual_cndmask_b32 v16, v17, v16, s0
	v_dual_cndmask_b32 v17, v21, v23, s0 :: v_dual_sub_nc_u32 v21, 32, v9
	s_delay_alu instid0(VALU_DEP_3) | instskip(SKIP_1) | instid1(VALU_DEP_4)
	v_cndmask_b32_e64 v23, v23, v19, s0
	v_cmp_eq_u32_e32 vcc_lo, 0, v9
	v_cndmask_b32_e64 v16, v16, v20, s1
	s_delay_alu instid0(VALU_DEP_3) | instskip(NEXT) | instid1(VALU_DEP_1)
	v_dual_cndmask_b32 v20, v20, v17, s1 :: v_dual_cndmask_b32 v17, v17, v23, s1
	v_alignbit_b32 v24, v16, v20, v21
	s_delay_alu instid0(VALU_DEP_2) | instskip(NEXT) | instid1(VALU_DEP_2)
	v_alignbit_b32 v22, v20, v17, v21
	v_dual_cndmask_b32 v9, v24, v16, vcc_lo :: v_dual_cndmask_b32 v16, v19, v18, s0
	s_delay_alu instid0(VALU_DEP_1) | instskip(NEXT) | instid1(VALU_DEP_1)
	v_bfe_u32 v19, v9, 29, 1
	v_dual_cndmask_b32 v18, v22, v20, vcc_lo :: v_dual_sub_nc_u32 v22, 0, v19
	s_delay_alu instid0(VALU_DEP_1) | instskip(NEXT) | instid1(VALU_DEP_1)
	v_alignbit_b32 v20, v9, v18, 30
	v_dual_cndmask_b32 v16, v23, v16, s1 :: v_dual_bitop2_b32 v20, v20, v22 bitop3:0x14
	s_delay_alu instid0(VALU_DEP_1) | instskip(NEXT) | instid1(VALU_DEP_1)
	v_alignbit_b32 v21, v17, v16, v21
	v_cndmask_b32_e32 v17, v21, v17, vcc_lo
	s_delay_alu instid0(VALU_DEP_3) | instskip(NEXT) | instid1(VALU_DEP_2)
	v_clz_i32_u32_e32 v21, v20
	v_alignbit_b32 v16, v17, v16, 30
	s_delay_alu instid0(VALU_DEP_2) | instskip(NEXT) | instid1(VALU_DEP_2)
	v_min_u32_e32 v21, 32, v21
	v_xor_b32_e32 v16, v16, v22
	v_alignbit_b32 v18, v18, v17, 30
	s_delay_alu instid0(VALU_DEP_1) | instskip(SKIP_1) | instid1(VALU_DEP_1)
	v_dual_lshlrev_b32 v23, 23, v21 :: v_dual_bitop2_b32 v17, v18, v22 bitop3:0x14
	v_sub_nc_u32_e32 v18, 31, v21
	v_alignbit_b32 v20, v20, v17, v18
	v_lshrrev_b32_e32 v22, 29, v9
	v_alignbit_b32 v16, v17, v16, v18
	s_delay_alu instid0(VALU_DEP_1) | instskip(NEXT) | instid1(VALU_DEP_3)
	v_alignbit_b32 v18, v20, v16, 9
	v_dual_lshrrev_b32 v20, 9, v20 :: v_dual_lshlrev_b32 v17, 31, v22
	s_delay_alu instid0(VALU_DEP_2) | instskip(NEXT) | instid1(VALU_DEP_2)
	v_clz_i32_u32_e32 v24, v18
	v_or_b32_e32 v22, 0.5, v17
	v_or_b32_e32 v17, 0x33000000, v17
	s_delay_alu instid0(VALU_DEP_2) | instskip(NEXT) | instid1(VALU_DEP_4)
	v_sub_nc_u32_e32 v22, v22, v23
	v_min_u32_e32 v23, 32, v24
	s_delay_alu instid0(VALU_DEP_1) | instskip(NEXT) | instid1(VALU_DEP_1)
	v_add_lshl_u32 v21, v23, v21, 23
	v_dual_sub_nc_u32 v17, v17, v21 :: v_dual_bitop2_b32 v20, v20, v22 bitop3:0x54
	v_not_b32_e32 v22, v23
	s_delay_alu instid0(VALU_DEP_2) | instskip(NEXT) | instid1(VALU_DEP_2)
	v_mul_f32_e32 v24, 0x3fc90fda, v20
	v_alignbit_b32 v16, v18, v16, v22
	s_delay_alu instid0(VALU_DEP_2) | instskip(NEXT) | instid1(VALU_DEP_2)
	v_fma_f32 v18, 0x3fc90fda, v20, -v24
	v_lshrrev_b32_e32 v16, 9, v16
	s_delay_alu instid0(VALU_DEP_2) | instskip(NEXT) | instid1(VALU_DEP_2)
	v_fmamk_f32 v18, v20, 0x33a22168, v18
	v_or_b32_e32 v16, v17, v16
	s_delay_alu instid0(VALU_DEP_1) | instskip(NEXT) | instid1(VALU_DEP_1)
	v_fmac_f32_e32 v18, 0x3fc90fda, v16
	v_dual_add_f32 v9, v24, v18 :: v_dual_lshrrev_b32 v16, 30, v9
	s_delay_alu instid0(VALU_DEP_1)
	v_add_nc_u32_e32 v16, v19, v16
.LBB8_15:
	s_and_not1_saveexec_b32 s0, s9
; %bb.16:
	v_mul_f32_e64 v9, 0x3f22f983, |v5|
	s_delay_alu instid0(VALU_DEP_1) | instskip(NEXT) | instid1(VALU_DEP_1)
	v_rndne_f32_e32 v16, v9
	v_fma_f32 v9, 0xbfc90fda, v16, |v5|
	s_delay_alu instid0(VALU_DEP_1) | instskip(NEXT) | instid1(VALU_DEP_1)
	v_fmamk_f32 v9, v16, 0xb3a22168, v9
	v_fmamk_f32 v9, v16, 0xa7c234c4, v9
	v_cvt_i32_f32_e32 v16, v16
; %bb.17:
	s_or_b32 exec_lo, exec_lo, s0
	v_pk_mul_f32 v[18:19], v[6:7], v[6:7]
	s_mov_b32 s0, 0x3c0881c4
	s_mov_b32 s12, 0xb94c1982
	;; [unrolled: 1-line block ×4, first 2 shown]
	v_dual_lshlrev_b32 v26, 30, v16 :: v_dual_lshlrev_b32 v27, 30, v15
	v_dual_lshlrev_b32 v23, 30, v10 :: v_dual_bitop2_b32 v15, 1, v15 bitop3:0x40
	v_and_b32_e32 v29, 1, v10
	v_xor_b32_e32 v30, v11, v3
	v_pk_fma_f32 v[10:11], v[18:19], s[12:13], s[0:1] op_sel_hi:[1,0,0]
	v_pk_fma_f32 v[20:21], v[18:19], s[16:17], s[14:15] op_sel_hi:[1,0,0]
	s_mov_b32 s18, 0xbe2aaa9d
	s_mov_b32 s20, 0x3d2aabf7
	;; [unrolled: 1-line block ×3, first 2 shown]
	v_pk_fma_f32 v[10:11], v[18:19], v[10:11], s[18:19] op_sel_hi:[1,1,0]
	v_pk_fma_f32 v[20:21], v[18:19], v[20:21], s[20:21] op_sel_hi:[1,1,0]
	v_dual_lshlrev_b32 v22, 30, v13 :: v_dual_bitop2_b32 v28, 1, v16 bitop3:0x40
	v_pk_mul_f32 v[16:17], v[8:9], v[8:9]
	s_delay_alu instid0(VALU_DEP_4) | instskip(NEXT) | instid1(VALU_DEP_4)
	v_pk_mul_f32 v[10:11], v[18:19], v[10:11]
	v_pk_fma_f32 v[20:21], v[18:19], v[20:21], s[22:23] op_sel_hi:[1,1,0]
	v_and_b32_e32 v32, 0x80000000, v23
	v_and_b32_e32 v31, 0x80000000, v22
	v_pk_fma_f32 v[22:23], v[16:17], s[12:13], s[0:1] op_sel_hi:[1,0,0]
	v_pk_fma_f32 v[6:7], v[6:7], v[10:11], v[6:7]
	v_pk_fma_f32 v[10:11], v[18:19], v[20:21], 1.0 op_sel_hi:[1,1,0]
	v_and_b32_e32 v13, 1, v13
	v_pk_fma_f32 v[24:25], v[16:17], s[16:17], s[14:15] op_sel_hi:[1,0,0]
	v_pk_fma_f32 v[18:19], v[16:17], v[22:23], s[18:19] op_sel_hi:[1,1,0]
	v_xor_b32_e32 v1, v1, v2
	v_xor_b32_e32 v14, v14, v5
	v_cmp_eq_u32_e32 vcc_lo, 0, v13
	v_pk_fma_f32 v[20:21], v[16:17], v[24:25], s[20:21] op_sel_hi:[1,1,0]
	v_pk_mul_f32 v[18:19], v[16:17], v[18:19]
	v_xor_b32_e32 v1, v1, v32
	v_and_b32_e32 v13, 0x80000000, v26
	v_cndmask_b32_e32 v7, v11, v7, vcc_lo
	v_cmp_eq_u32_e32 vcc_lo, 0, v29
	v_pk_fma_f32 v[20:21], v[16:17], v[20:21], s[22:23] op_sel_hi:[1,1,0]
	v_xor_b32_e32 v12, v12, v4
	s_add_nc_u64 s[2:3], s[4:5], s[2:3]
	s_mov_b32 s0, 0
	v_cndmask_b32_e32 v10, v10, v6, vcc_lo
	v_xor_b32_e32 v30, v30, v31
	v_cmp_eq_u32_e32 vcc_lo, 0, v28
	s_delay_alu instid0(VALU_DEP_3) | instskip(NEXT) | instid1(VALU_DEP_3)
	v_xor_b32_e32 v1, v1, v10
	v_xor_b32_e32 v11, v30, v7
	v_pk_fma_f32 v[6:7], v[8:9], v[18:19], v[8:9]
	v_pk_fma_f32 v[8:9], v[16:17], v[20:21], 1.0 op_sel_hi:[1,1,0]
	v_and_b32_e32 v16, 0x80000000, v27
	s_delay_alu instid0(VALU_DEP_2) | instskip(SKIP_1) | instid1(VALU_DEP_3)
	v_cndmask_b32_e32 v7, v9, v7, vcc_lo
	v_cmp_eq_u32_e32 vcc_lo, 0, v15
	v_xor_b32_e32 v9, v12, v16
	v_cndmask_b32_e32 v6, v8, v6, vcc_lo
	v_cmp_class_f32_e64 vcc_lo, v3, 0x1f8
	v_xor_b32_e32 v8, v14, v13
	s_delay_alu instid0(VALU_DEP_3) | instskip(SKIP_2) | instid1(VALU_DEP_4)
	v_xor_b32_e32 v6, v9, v6
	v_cndmask_b32_e32 v3, 0x7fc00000, v11, vcc_lo
	v_cmp_class_f32_e64 vcc_lo, v2, 0x1f8
	v_xor_b32_e32 v7, v8, v7
	v_cndmask_b32_e32 v2, 0x7fc00000, v1, vcc_lo
	v_cmp_class_f32_e64 vcc_lo, v5, 0x1f8
	s_delay_alu instid0(VALU_DEP_3)
	v_cndmask_b32_e32 v5, 0x7fc00000, v7, vcc_lo
	v_cmp_class_f32_e64 vcc_lo, v4, 0x1f8
	v_cndmask_b32_e32 v4, 0x7fc00000, v6, vcc_lo
	global_store_b128 v0, v[2:5], s[2:3] scale_offset
.LBB8_18:
	s_and_b32 vcc_lo, exec_lo, s0
	s_cbranch_vccz .LBB8_51
; %bb.19:
	v_cmp_gt_i32_e32 vcc_lo, s10, v0
	s_wait_xcnt 0x0
	v_dual_mov_b32 v9, 0 :: v_dual_bitop2_b32 v5, s8, v0 bitop3:0x54
	v_or_b32_e32 v6, 0x100, v0
	v_dual_mov_b32 v10, 0 :: v_dual_mov_b32 v1, v0
	s_and_saveexec_b32 s0, vcc_lo
	s_cbranch_execz .LBB8_21
; %bb.20:
	global_load_b32 v10, v5, s[6:7] scale_offset
	v_or_b32_e32 v1, 0x100, v0
.LBB8_21:
	s_wait_xcnt 0x0
	s_or_b32 exec_lo, exec_lo, s0
	s_delay_alu instid0(SALU_CYCLE_1) | instskip(NEXT) | instid1(VALU_DEP_1)
	s_mov_b32 s1, exec_lo
	v_cmpx_gt_i32_e64 s10, v1
	s_cbranch_execz .LBB8_23
; %bb.22:
	v_add_nc_u32_e32 v2, s8, v1
	v_add_nc_u32_e32 v1, 0x100, v1
	global_load_b32 v9, v2, s[6:7] scale_offset
.LBB8_23:
	s_wait_xcnt 0x0
	s_or_b32 exec_lo, exec_lo, s1
	v_dual_mov_b32 v7, 0 :: v_dual_mov_b32 v8, 0
	s_mov_b32 s1, exec_lo
	v_cmpx_gt_i32_e64 s10, v1
	s_cbranch_execz .LBB8_25
; %bb.24:
	v_add_nc_u32_e32 v2, s8, v1
	v_add_nc_u32_e32 v1, 0x100, v1
	global_load_b32 v8, v2, s[6:7] scale_offset
.LBB8_25:
	s_wait_xcnt 0x0
	s_or_b32 exec_lo, exec_lo, s1
	s_delay_alu instid0(SALU_CYCLE_1)
	s_mov_b32 s1, exec_lo
	v_cmpx_gt_i32_e64 s10, v1
	s_cbranch_execz .LBB8_27
; %bb.26:
	v_add_nc_u32_e32 v1, s8, v1
	global_load_b32 v7, v1, s[6:7] scale_offset
.LBB8_27:
	s_wait_xcnt 0x0
	s_or_b32 exec_lo, exec_lo, s1
	v_mov_b32_e32 v2, 0
	s_delay_alu instid0(VALU_DEP_1)
	v_dual_mov_b32 v1, v2 :: v_dual_mov_b32 v4, v2
	v_mov_b32_e32 v3, v2
	s_and_saveexec_b32 s3, vcc_lo
	s_cbranch_execz .LBB8_33
; %bb.28:
	s_wait_loadcnt 0x0
	v_and_b32_e32 v1, 0x7fffffff, v10
                                        ; implicit-def: $vgpr3
                                        ; implicit-def: $vgpr2
	s_mov_b32 s1, exec_lo
	v_cmpx_ngt_f32_e64 0x48000000, |v10|
	s_xor_b32 s6, exec_lo, s1
	s_cbranch_execz .LBB8_30
; %bb.29:
	s_mov_b32 s0, 0x7fffff
	v_mov_b32_e32 v3, 0
	v_and_or_b32 v2, v1, s0, 0x800000
	s_mov_b64 s[0:1], 0xfe5163ab
	v_lshrrev_b32_e32 v4, 23, v1
	s_delay_alu instid0(VALU_DEP_2) | instskip(NEXT) | instid1(VALU_DEP_1)
	v_mul_u64_e32 v[12:13], s[0:1], v[2:3]
	v_dual_mov_b32 v14, v13 :: v_dual_mov_b32 v15, v3
	v_dual_mov_b32 v17, v3 :: v_dual_mov_b32 v19, v3
	s_delay_alu instid0(VALU_DEP_4) | instskip(SKIP_1) | instid1(VALU_DEP_4)
	v_dual_mov_b32 v21, v3 :: v_dual_add_nc_u32 v4, 0xffffff88, v4
	v_mov_b32_e32 v25, v3
	v_mad_nc_u64_u32 v[14:15], 0x3c439041, v2, v[14:15]
	s_delay_alu instid0(VALU_DEP_3) | instskip(NEXT) | instid1(VALU_DEP_1)
	v_cmp_lt_u32_e64 s0, 63, v4
	v_cndmask_b32_e64 v11, 0, 0xffffffc0, s0
	s_delay_alu instid0(VALU_DEP_3) | instskip(NEXT) | instid1(VALU_DEP_1)
	v_mov_b32_e32 v16, v15
	v_mad_nc_u64_u32 v[16:17], 0xdb629599, v2, v[16:17]
	s_delay_alu instid0(VALU_DEP_1) | instskip(NEXT) | instid1(VALU_DEP_1)
	v_dual_mov_b32 v18, v17 :: v_dual_cndmask_b32 v12, v16, v12, s0
	v_mad_nc_u64_u32 v[18:19], 0xf534ddc0, v2, v[18:19]
	s_delay_alu instid0(VALU_DEP_1) | instskip(NEXT) | instid1(VALU_DEP_1)
	v_mov_b32_e32 v20, v19
	v_mad_nc_u64_u32 v[20:21], 0xfc2757d1, v2, v[20:21]
	s_delay_alu instid0(VALU_DEP_1) | instskip(NEXT) | instid1(VALU_DEP_2)
	v_dual_mov_b32 v23, v3 :: v_dual_mov_b32 v22, v21
	v_cndmask_b32_e64 v15, v20, v16, s0
	s_delay_alu instid0(VALU_DEP_2) | instskip(NEXT) | instid1(VALU_DEP_1)
	v_mad_nc_u64_u32 v[22:23], 0x4e441529, v2, v[22:23]
	v_dual_add_nc_u32 v4, v11, v4 :: v_dual_cndmask_b32 v13, v22, v18, s0
	s_delay_alu instid0(VALU_DEP_1) | instskip(NEXT) | instid1(VALU_DEP_3)
	v_cmp_lt_u32_e64 s1, 31, v4
	v_mov_b32_e32 v24, v23
	s_delay_alu instid0(VALU_DEP_2) | instskip(NEXT) | instid1(VALU_DEP_2)
	v_cndmask_b32_e64 v11, 0, 0xffffffe0, s1
	v_mad_nc_u64_u32 v[2:3], 0xa2f9836e, v2, v[24:25]
	s_delay_alu instid0(VALU_DEP_2) | instskip(NEXT) | instid1(VALU_DEP_1)
	v_add_nc_u32_e32 v4, v11, v4
	v_cmp_lt_u32_e64 s2, 31, v4
	s_delay_alu instid0(VALU_DEP_3) | instskip(NEXT) | instid1(VALU_DEP_2)
	v_dual_cndmask_b32 v2, v2, v20, s0 :: v_dual_cndmask_b32 v3, v3, v22, s0
	v_cndmask_b32_e64 v11, 0, 0xffffffe0, s2
	s_delay_alu instid0(VALU_DEP_1) | instskip(NEXT) | instid1(VALU_DEP_3)
	v_dual_add_nc_u32 v4, v11, v4 :: v_dual_cndmask_b32 v11, v18, v14, s0
	v_dual_cndmask_b32 v14, v2, v13, s1 :: v_dual_cndmask_b32 v2, v3, v2, s1
	s_delay_alu instid0(VALU_DEP_2) | instskip(NEXT) | instid1(VALU_DEP_3)
	v_dual_cndmask_b32 v3, v13, v15, s1 :: v_dual_sub_nc_u32 v13, 32, v4
	v_cndmask_b32_e64 v15, v15, v11, s1
	v_cmp_eq_u32_e64 s0, 0, v4
	s_delay_alu instid0(VALU_DEP_4) | instskip(NEXT) | instid1(VALU_DEP_4)
	v_cndmask_b32_e64 v2, v2, v14, s2
	v_dual_cndmask_b32 v14, v14, v3, s2 :: v_dual_cndmask_b32 v4, v11, v12, s1
	s_delay_alu instid0(VALU_DEP_4) | instskip(NEXT) | instid1(VALU_DEP_2)
	v_cndmask_b32_e64 v3, v3, v15, s2
	v_alignbit_b32 v17, v2, v14, v13
	s_delay_alu instid0(VALU_DEP_3) | instskip(NEXT) | instid1(VALU_DEP_3)
	v_cndmask_b32_e64 v4, v15, v4, s2
	v_alignbit_b32 v16, v14, v3, v13
	s_delay_alu instid0(VALU_DEP_3) | instskip(NEXT) | instid1(VALU_DEP_3)
	;; [unrolled: 3-line block ×3, first 2 shown]
	v_cndmask_b32_e64 v11, v16, v14, s0
	v_bfe_u32 v12, v2, 29, 1
	s_delay_alu instid0(VALU_DEP_3) | instskip(NEXT) | instid1(VALU_DEP_3)
	v_cndmask_b32_e64 v3, v13, v3, s0
	v_alignbit_b32 v14, v2, v11, 30
	s_delay_alu instid0(VALU_DEP_3) | instskip(NEXT) | instid1(VALU_DEP_3)
	v_sub_nc_u32_e32 v15, 0, v12
	v_alignbit_b32 v11, v11, v3, 30
	v_alignbit_b32 v3, v3, v4, 30
	s_delay_alu instid0(VALU_DEP_3) | instskip(NEXT) | instid1(VALU_DEP_3)
	v_xor_b32_e32 v14, v14, v15
	v_xor_b32_e32 v4, v11, v15
	s_delay_alu instid0(VALU_DEP_3) | instskip(NEXT) | instid1(VALU_DEP_3)
	v_dual_lshrrev_b32 v15, 29, v2 :: v_dual_bitop2_b32 v3, v3, v15 bitop3:0x14
	v_clz_i32_u32_e32 v13, v14
	s_delay_alu instid0(VALU_DEP_1) | instskip(NEXT) | instid1(VALU_DEP_1)
	v_min_u32_e32 v13, 32, v13
	v_dual_sub_nc_u32 v11, 31, v13 :: v_dual_lshlrev_b32 v16, 23, v13
	s_delay_alu instid0(VALU_DEP_1) | instskip(SKIP_2) | instid1(VALU_DEP_2)
	v_alignbit_b32 v14, v14, v4, v11
	v_alignbit_b32 v3, v4, v3, v11
	v_lshlrev_b32_e32 v4, 31, v15
	v_alignbit_b32 v11, v14, v3, 9
	s_delay_alu instid0(VALU_DEP_2) | instskip(SKIP_1) | instid1(VALU_DEP_3)
	v_dual_lshrrev_b32 v14, 9, v14 :: v_dual_bitop2_b32 v15, 0.5, v4 bitop3:0x54
	v_or_b32_e32 v4, 0x33000000, v4
	v_clz_i32_u32_e32 v17, v11
	s_delay_alu instid0(VALU_DEP_3) | instskip(NEXT) | instid1(VALU_DEP_2)
	v_sub_nc_u32_e32 v15, v15, v16
	v_min_u32_e32 v16, 32, v17
	s_delay_alu instid0(VALU_DEP_1) | instskip(NEXT) | instid1(VALU_DEP_3)
	v_add_lshl_u32 v13, v16, v13, 23
	v_or_b32_e32 v14, v14, v15
	v_not_b32_e32 v15, v16
	s_delay_alu instid0(VALU_DEP_2) | instskip(NEXT) | instid1(VALU_DEP_2)
	v_dual_mul_f32 v17, 0x3fc90fda, v14 :: v_dual_sub_nc_u32 v4, v4, v13
	v_alignbit_b32 v3, v11, v3, v15
	s_delay_alu instid0(VALU_DEP_2) | instskip(NEXT) | instid1(VALU_DEP_2)
	v_fma_f32 v11, 0x3fc90fda, v14, -v17
	v_lshrrev_b32_e32 v3, 9, v3
	s_delay_alu instid0(VALU_DEP_2) | instskip(NEXT) | instid1(VALU_DEP_2)
	v_fmamk_f32 v11, v14, 0x33a22168, v11
	v_or_b32_e32 v3, v4, v3
	s_delay_alu instid0(VALU_DEP_1) | instskip(NEXT) | instid1(VALU_DEP_1)
	v_fmac_f32_e32 v11, 0x3fc90fda, v3
	v_dual_add_f32 v2, v17, v11 :: v_dual_lshrrev_b32 v3, 30, v2
	s_delay_alu instid0(VALU_DEP_1)
	v_add_nc_u32_e32 v3, v12, v3
.LBB8_30:
	s_and_not1_saveexec_b32 s0, s6
; %bb.31:
	v_mul_f32_e64 v2, 0x3f22f983, |v10|
	s_delay_alu instid0(VALU_DEP_1) | instskip(NEXT) | instid1(VALU_DEP_1)
	v_rndne_f32_e32 v3, v2
	v_fma_f32 v2, 0xbfc90fda, v3, |v10|
	s_delay_alu instid0(VALU_DEP_1) | instskip(NEXT) | instid1(VALU_DEP_1)
	v_fmamk_f32 v2, v3, 0xb3a22168, v2
	v_fmamk_f32 v2, v3, 0xa7c234c4, v2
	v_cvt_i32_f32_e32 v3, v3
; %bb.32:
	s_or_b32 exec_lo, exec_lo, s0
	s_delay_alu instid0(VALU_DEP_1) | instskip(SKIP_3) | instid1(VALU_DEP_2)
	v_dual_mul_f32 v4, v2, v2 :: v_dual_bitop2_b32 v13, 1, v3 bitop3:0x40
	s_mov_b32 s0, 0xb94c1982
	s_mov_b32 s1, 0x37d75334
	v_lshlrev_b32_e32 v3, 30, v3
	v_fmaak_f32 v11, s0, v4, 0x3c0881c4
	v_cmp_eq_u32_e64 s0, 0, v13
	s_delay_alu instid0(VALU_DEP_3) | instskip(NEXT) | instid1(VALU_DEP_3)
	v_and_b32_e32 v3, 0x80000000, v3
	v_fmaak_f32 v11, v4, v11, 0xbe2aaa9d
	s_delay_alu instid0(VALU_DEP_1) | instskip(NEXT) | instid1(VALU_DEP_1)
	v_dual_fmaak_f32 v12, s1, v4, 0xbab64f3b :: v_dual_mul_f32 v11, v4, v11
	v_fmaak_f32 v12, v4, v12, 0x3d2aabf7
	s_delay_alu instid0(VALU_DEP_2) | instskip(NEXT) | instid1(VALU_DEP_2)
	v_dual_fmac_f32 v2, v2, v11 :: v_dual_bitop2_b32 v11, v1, v10 bitop3:0x14
	v_dual_fmaak_f32 v12, v4, v12, 0xbf000004 :: v_dual_mov_b32 v1, 0
	s_delay_alu instid0(VALU_DEP_1) | instskip(NEXT) | instid1(VALU_DEP_1)
	v_fma_f32 v4, v4, v12, 1.0
	v_cndmask_b32_e64 v2, v4, v2, s0
	v_cmp_class_f32_e64 s0, v10, 0x1f8
	s_delay_alu instid0(VALU_DEP_4) | instskip(NEXT) | instid1(VALU_DEP_3)
	v_mov_b32_e32 v4, v1
	v_xor3_b32 v2, v11, v3, v2
	v_mov_b32_e32 v3, v1
	s_delay_alu instid0(VALU_DEP_2)
	v_cndmask_b32_e64 v2, 0x7fc00000, v2, s0
.LBB8_33:
	s_or_b32 exec_lo, exec_lo, s3
	s_delay_alu instid0(SALU_CYCLE_1)
	s_mov_b32 s3, exec_lo
	v_cmpx_gt_i32_e64 s10, v6
	s_cbranch_execz .LBB8_39
; %bb.34:
	s_wait_loadcnt 0x0
	v_and_b32_e32 v1, 0x7fffffff, v9
                                        ; implicit-def: $vgpr11
                                        ; implicit-def: $vgpr10
	s_mov_b32 s1, exec_lo
	v_cmpx_ngt_f32_e64 0x48000000, |v9|
	s_xor_b32 s6, exec_lo, s1
	s_cbranch_execz .LBB8_36
; %bb.35:
	s_mov_b32 s0, 0x7fffff
	v_mov_b32_e32 v11, 0
	v_and_or_b32 v10, v1, s0, 0x800000
	s_mov_b64 s[0:1], 0xfe5163ab
	s_delay_alu instid0(VALU_DEP_1) | instid1(SALU_CYCLE_1)
	v_mul_u64_e32 v[12:13], s[0:1], v[10:11]
	s_delay_alu instid0(VALU_DEP_1) | instskip(SKIP_2) | instid1(VALU_DEP_3)
	v_dual_mov_b32 v14, v13 :: v_dual_mov_b32 v15, v11
	v_dual_mov_b32 v17, v11 :: v_dual_mov_b32 v19, v11
	v_dual_mov_b32 v21, v11 :: v_dual_lshrrev_b32 v13, 23, v1
	v_mad_nc_u64_u32 v[14:15], 0x3c439041, v10, v[14:15]
	s_delay_alu instid0(VALU_DEP_1) | instskip(NEXT) | instid1(VALU_DEP_1)
	v_mov_b32_e32 v16, v15
	v_mad_nc_u64_u32 v[16:17], 0xdb629599, v10, v[16:17]
	s_delay_alu instid0(VALU_DEP_1) | instskip(NEXT) | instid1(VALU_DEP_1)
	v_mov_b32_e32 v18, v17
	;; [unrolled: 3-line block ×3, first 2 shown]
	v_mad_nc_u64_u32 v[20:21], 0xfc2757d1, v10, v[20:21]
	s_delay_alu instid0(VALU_DEP_1) | instskip(NEXT) | instid1(VALU_DEP_1)
	v_dual_mov_b32 v23, v11 :: v_dual_mov_b32 v22, v21
	v_mad_nc_u64_u32 v[22:23], 0x4e441529, v10, v[22:23]
	s_delay_alu instid0(VALU_DEP_1) | instskip(NEXT) | instid1(VALU_DEP_1)
	v_dual_mov_b32 v24, v23 :: v_dual_add_nc_u32 v13, 0xffffff88, v13
	v_cmp_lt_u32_e64 s0, 63, v13
	v_mov_b32_e32 v25, v11
	s_delay_alu instid0(VALU_DEP_2) | instskip(NEXT) | instid1(VALU_DEP_2)
	v_cndmask_b32_e64 v15, 0, 0xffffffc0, s0
	v_mad_nc_u64_u32 v[10:11], 0xa2f9836e, v10, v[24:25]
	v_dual_cndmask_b32 v17, v22, v18, s0 :: v_dual_cndmask_b32 v19, v20, v16, s0
	s_delay_alu instid0(VALU_DEP_3) | instskip(SKIP_1) | instid1(VALU_DEP_2)
	v_dual_cndmask_b32 v14, v18, v14, s0 :: v_dual_add_nc_u32 v13, v15, v13
	v_cndmask_b32_e64 v12, v16, v12, s0
	v_cmp_lt_u32_e64 s1, 31, v13
	v_dual_cndmask_b32 v10, v10, v20, s0 :: v_dual_cndmask_b32 v11, v11, v22, s0
	s_delay_alu instid0(VALU_DEP_2) | instskip(NEXT) | instid1(VALU_DEP_4)
	v_cndmask_b32_e64 v15, 0, 0xffffffe0, s1
	v_dual_cndmask_b32 v18, v19, v14, s1 :: v_dual_cndmask_b32 v12, v14, v12, s1
	s_delay_alu instid0(VALU_DEP_2) | instskip(NEXT) | instid1(VALU_DEP_1)
	v_add_nc_u32_e32 v13, v15, v13
	v_cmp_lt_u32_e64 s2, 31, v13
	s_delay_alu instid0(VALU_DEP_1) | instskip(NEXT) | instid1(VALU_DEP_1)
	v_cndmask_b32_e64 v15, 0, 0xffffffe0, s2
	v_dual_cndmask_b32 v12, v18, v12, s2 :: v_dual_add_nc_u32 v13, v15, v13
	v_dual_cndmask_b32 v15, v10, v17, s1 :: v_dual_cndmask_b32 v10, v11, v10, s1
	s_delay_alu instid0(VALU_DEP_2) | instskip(SKIP_1) | instid1(VALU_DEP_3)
	v_dual_cndmask_b32 v11, v17, v19, s1 :: v_dual_sub_nc_u32 v17, 32, v13
	v_cmp_eq_u32_e64 s0, 0, v13
	v_cndmask_b32_e64 v10, v10, v15, s2
	s_delay_alu instid0(VALU_DEP_3) | instskip(SKIP_1) | instid1(VALU_DEP_2)
	v_cndmask_b32_e64 v15, v15, v11, s2
	v_cndmask_b32_e64 v11, v11, v18, s2
	v_alignbit_b32 v19, v10, v15, v17
	s_delay_alu instid0(VALU_DEP_2) | instskip(SKIP_1) | instid1(VALU_DEP_2)
	v_alignbit_b32 v16, v15, v11, v17
	v_alignbit_b32 v17, v11, v12, v17
	v_dual_cndmask_b32 v10, v19, v10, s0 :: v_dual_cndmask_b32 v13, v16, v15, s0
	s_delay_alu instid0(VALU_DEP_2) | instskip(NEXT) | instid1(VALU_DEP_2)
	v_cndmask_b32_e64 v11, v17, v11, s0
	v_bfe_u32 v14, v10, 29, 1
	s_delay_alu instid0(VALU_DEP_3) | instskip(NEXT) | instid1(VALU_DEP_3)
	v_alignbit_b32 v15, v10, v13, 30
	v_alignbit_b32 v13, v13, v11, 30
	;; [unrolled: 1-line block ×3, first 2 shown]
	s_delay_alu instid0(VALU_DEP_4) | instskip(NEXT) | instid1(VALU_DEP_1)
	v_sub_nc_u32_e32 v16, 0, v14
	v_xor_b32_e32 v15, v15, v16
	s_delay_alu instid0(VALU_DEP_4) | instskip(NEXT) | instid1(VALU_DEP_4)
	v_xor_b32_e32 v12, v13, v16
	v_dual_lshrrev_b32 v16, 29, v10 :: v_dual_bitop2_b32 v11, v11, v16 bitop3:0x14
	s_delay_alu instid0(VALU_DEP_3) | instskip(NEXT) | instid1(VALU_DEP_1)
	v_clz_i32_u32_e32 v17, v15
	v_min_u32_e32 v17, 32, v17
	s_delay_alu instid0(VALU_DEP_1) | instskip(NEXT) | instid1(VALU_DEP_1)
	v_dual_sub_nc_u32 v13, 31, v17 :: v_dual_lshlrev_b32 v18, 23, v17
	v_alignbit_b32 v15, v15, v12, v13
	v_alignbit_b32 v11, v12, v11, v13
	v_lshlrev_b32_e32 v12, 31, v16
	s_delay_alu instid0(VALU_DEP_2) | instskip(NEXT) | instid1(VALU_DEP_2)
	v_alignbit_b32 v13, v15, v11, 9
	v_dual_lshrrev_b32 v15, 9, v15 :: v_dual_bitop2_b32 v16, 0.5, v12 bitop3:0x54
	v_or_b32_e32 v12, 0x33000000, v12
	s_delay_alu instid0(VALU_DEP_3) | instskip(NEXT) | instid1(VALU_DEP_3)
	v_clz_i32_u32_e32 v19, v13
	v_sub_nc_u32_e32 v16, v16, v18
	s_delay_alu instid0(VALU_DEP_2) | instskip(NEXT) | instid1(VALU_DEP_1)
	v_min_u32_e32 v18, 32, v19
	v_add_lshl_u32 v17, v18, v17, 23
	s_delay_alu instid0(VALU_DEP_3) | instskip(SKIP_1) | instid1(VALU_DEP_2)
	v_or_b32_e32 v15, v15, v16
	v_not_b32_e32 v16, v18
	v_dual_mul_f32 v19, 0x3fc90fda, v15 :: v_dual_sub_nc_u32 v12, v12, v17
	s_delay_alu instid0(VALU_DEP_2) | instskip(NEXT) | instid1(VALU_DEP_2)
	v_alignbit_b32 v11, v13, v11, v16
	v_fma_f32 v13, 0x3fc90fda, v15, -v19
	s_delay_alu instid0(VALU_DEP_2) | instskip(NEXT) | instid1(VALU_DEP_2)
	v_lshrrev_b32_e32 v11, 9, v11
	v_fmamk_f32 v13, v15, 0x33a22168, v13
	s_delay_alu instid0(VALU_DEP_2) | instskip(NEXT) | instid1(VALU_DEP_1)
	v_or_b32_e32 v11, v12, v11
	v_fmac_f32_e32 v13, 0x3fc90fda, v11
	s_delay_alu instid0(VALU_DEP_1) | instskip(NEXT) | instid1(VALU_DEP_1)
	v_dual_add_f32 v10, v19, v13 :: v_dual_lshrrev_b32 v11, 30, v10
	v_add_nc_u32_e32 v11, v14, v11
.LBB8_36:
	s_and_not1_saveexec_b32 s0, s6
; %bb.37:
	v_mul_f32_e64 v10, 0x3f22f983, |v9|
	s_delay_alu instid0(VALU_DEP_1) | instskip(NEXT) | instid1(VALU_DEP_1)
	v_rndne_f32_e32 v11, v10
	v_fma_f32 v10, 0xbfc90fda, v11, |v9|
	s_delay_alu instid0(VALU_DEP_1) | instskip(NEXT) | instid1(VALU_DEP_1)
	v_fmamk_f32 v10, v11, 0xb3a22168, v10
	v_fmamk_f32 v10, v11, 0xa7c234c4, v10
	v_cvt_i32_f32_e32 v11, v11
; %bb.38:
	s_or_b32 exec_lo, exec_lo, s0
	s_delay_alu instid0(VALU_DEP_1) | instskip(SKIP_3) | instid1(VALU_DEP_2)
	v_dual_mul_f32 v12, v10, v10 :: v_dual_bitop2_b32 v15, 1, v11 bitop3:0x40
	s_mov_b32 s0, 0xb94c1982
	s_mov_b32 s1, 0x37d75334
	v_lshlrev_b32_e32 v11, 30, v11
	v_fmaak_f32 v13, s0, v12, 0x3c0881c4
	v_cmp_eq_u32_e64 s0, 0, v15
	v_xor_b32_e32 v1, v1, v9
	s_delay_alu instid0(VALU_DEP_4) | instskip(NEXT) | instid1(VALU_DEP_4)
	v_and_b32_e32 v11, 0x80000000, v11
	v_fmaak_f32 v13, v12, v13, 0xbe2aaa9d
	s_delay_alu instid0(VALU_DEP_1) | instskip(NEXT) | instid1(VALU_DEP_1)
	v_dual_fmaak_f32 v14, s1, v12, 0xbab64f3b :: v_dual_mul_f32 v13, v12, v13
	v_fmaak_f32 v14, v12, v14, 0x3d2aabf7
	s_delay_alu instid0(VALU_DEP_2) | instskip(NEXT) | instid1(VALU_DEP_2)
	v_fmac_f32_e32 v10, v10, v13
	v_fmaak_f32 v14, v12, v14, 0xbf000004
	s_delay_alu instid0(VALU_DEP_1) | instskip(NEXT) | instid1(VALU_DEP_1)
	v_fma_f32 v12, v12, v14, 1.0
	v_cndmask_b32_e64 v10, v12, v10, s0
	v_cmp_class_f32_e64 s0, v9, 0x1f8
	s_delay_alu instid0(VALU_DEP_2) | instskip(NEXT) | instid1(VALU_DEP_1)
	v_xor3_b32 v1, v1, v11, v10
	v_cndmask_b32_e64 v1, 0x7fc00000, v1, s0
.LBB8_39:
	s_or_b32 exec_lo, exec_lo, s3
	s_wait_loadcnt 0x0
	v_or_b32_e32 v9, 0x200, v0
	s_mov_b32 s3, exec_lo
	s_delay_alu instid0(VALU_DEP_1)
	v_cmpx_gt_i32_e64 s10, v9
	s_cbranch_execz .LBB8_45
; %bb.40:
	v_and_b32_e32 v4, 0x7fffffff, v8
                                        ; implicit-def: $vgpr10
                                        ; implicit-def: $vgpr9
	s_mov_b32 s1, exec_lo
	v_cmpx_ngt_f32_e64 0x48000000, |v8|
	s_xor_b32 s6, exec_lo, s1
	s_cbranch_execz .LBB8_42
; %bb.41:
	s_mov_b32 s0, 0x7fffff
	v_mov_b32_e32 v11, 0
	v_and_or_b32 v10, v4, s0, 0x800000
	s_mov_b64 s[0:1], 0xfe5163ab
	v_lshrrev_b32_e32 v9, 23, v4
	s_delay_alu instid0(VALU_DEP_2) | instskip(NEXT) | instid1(VALU_DEP_1)
	v_mul_u64_e32 v[12:13], s[0:1], v[10:11]
	v_dual_mov_b32 v14, v13 :: v_dual_mov_b32 v15, v11
	v_dual_mov_b32 v17, v11 :: v_dual_mov_b32 v19, v11
	;; [unrolled: 1-line block ×3, first 2 shown]
	s_delay_alu instid0(VALU_DEP_3) | instskip(NEXT) | instid1(VALU_DEP_1)
	v_mad_nc_u64_u32 v[14:15], 0x3c439041, v10, v[14:15]
	v_mov_b32_e32 v16, v15
	s_delay_alu instid0(VALU_DEP_1) | instskip(NEXT) | instid1(VALU_DEP_1)
	v_mad_nc_u64_u32 v[16:17], 0xdb629599, v10, v[16:17]
	v_mov_b32_e32 v18, v17
	s_delay_alu instid0(VALU_DEP_1) | instskip(NEXT) | instid1(VALU_DEP_1)
	;; [unrolled: 3-line block ×3, first 2 shown]
	v_mad_nc_u64_u32 v[20:21], 0xfc2757d1, v10, v[20:21]
	v_dual_mov_b32 v23, v11 :: v_dual_mov_b32 v22, v21
	s_delay_alu instid0(VALU_DEP_1) | instskip(NEXT) | instid1(VALU_DEP_1)
	v_mad_nc_u64_u32 v[22:23], 0x4e441529, v10, v[22:23]
	v_dual_mov_b32 v24, v23 :: v_dual_add_nc_u32 v9, 0xffffff88, v9
	s_delay_alu instid0(VALU_DEP_1) | instskip(NEXT) | instid1(VALU_DEP_2)
	v_cmp_lt_u32_e64 s0, 63, v9
	v_mad_nc_u64_u32 v[10:11], 0xa2f9836e, v10, v[24:25]
	s_delay_alu instid0(VALU_DEP_2) | instskip(SKIP_1) | instid1(VALU_DEP_2)
	v_cndmask_b32_e64 v13, 0, 0xffffffc0, s0
	v_dual_cndmask_b32 v15, v22, v18, s0 :: v_dual_cndmask_b32 v12, v16, v12, s0
	v_add_nc_u32_e32 v9, v13, v9
	s_delay_alu instid0(VALU_DEP_1) | instskip(SKIP_1) | instid1(VALU_DEP_2)
	v_cmp_lt_u32_e64 s1, 31, v9
	v_dual_cndmask_b32 v10, v10, v20, s0 :: v_dual_cndmask_b32 v11, v11, v22, s0
	v_cndmask_b32_e64 v13, 0, 0xffffffe0, s1
	s_delay_alu instid0(VALU_DEP_1) | instskip(NEXT) | instid1(VALU_DEP_1)
	v_add_nc_u32_e32 v9, v13, v9
	v_cmp_lt_u32_e64 s2, 31, v9
	s_delay_alu instid0(VALU_DEP_1) | instskip(NEXT) | instid1(VALU_DEP_1)
	v_cndmask_b32_e64 v13, 0, 0xffffffe0, s2
	v_dual_cndmask_b32 v17, v20, v16, s0 :: v_dual_add_nc_u32 v9, v13, v9
	v_cndmask_b32_e64 v13, v18, v14, s0
	v_dual_cndmask_b32 v14, v10, v15, s1 :: v_dual_cndmask_b32 v10, v11, v10, s1
	s_delay_alu instid0(VALU_DEP_3) | instskip(NEXT) | instid1(VALU_DEP_4)
	v_cndmask_b32_e64 v11, v15, v17, s1
	v_sub_nc_u32_e32 v15, 32, v9
	s_delay_alu instid0(VALU_DEP_4) | instskip(SKIP_2) | instid1(VALU_DEP_3)
	v_cndmask_b32_e64 v17, v17, v13, s1
	v_cmp_eq_u32_e64 s0, 0, v9
	v_cndmask_b32_e64 v10, v10, v14, s2
	v_dual_cndmask_b32 v14, v14, v11, s2 :: v_dual_cndmask_b32 v11, v11, v17, s2
	s_delay_alu instid0(VALU_DEP_1) | instskip(NEXT) | instid1(VALU_DEP_2)
	v_alignbit_b32 v18, v10, v14, v15
	v_alignbit_b32 v16, v14, v11, v15
	s_delay_alu instid0(VALU_DEP_2) | instskip(NEXT) | instid1(VALU_DEP_1)
	v_dual_cndmask_b32 v9, v18, v10, s0 :: v_dual_cndmask_b32 v10, v13, v12, s1
	v_bfe_u32 v13, v9, 29, 1
	s_delay_alu instid0(VALU_DEP_1) | instskip(NEXT) | instid1(VALU_DEP_1)
	v_dual_cndmask_b32 v12, v16, v14, s0 :: v_dual_sub_nc_u32 v16, 0, v13
	v_alignbit_b32 v14, v9, v12, 30
	s_delay_alu instid0(VALU_DEP_1) | instskip(NEXT) | instid1(VALU_DEP_1)
	v_dual_cndmask_b32 v10, v17, v10, s2 :: v_dual_bitop2_b32 v14, v14, v16 bitop3:0x14
	v_alignbit_b32 v15, v11, v10, v15
	s_delay_alu instid0(VALU_DEP_1) | instskip(NEXT) | instid1(VALU_DEP_3)
	v_cndmask_b32_e64 v11, v15, v11, s0
	v_clz_i32_u32_e32 v15, v14
	s_delay_alu instid0(VALU_DEP_2) | instskip(NEXT) | instid1(VALU_DEP_2)
	v_alignbit_b32 v10, v11, v10, 30
	v_min_u32_e32 v15, 32, v15
	s_delay_alu instid0(VALU_DEP_2) | instskip(SKIP_1) | instid1(VALU_DEP_1)
	v_xor_b32_e32 v10, v10, v16
	v_alignbit_b32 v12, v12, v11, 30
	v_dual_lshlrev_b32 v17, 23, v15 :: v_dual_bitop2_b32 v11, v12, v16 bitop3:0x14
	v_dual_sub_nc_u32 v12, 31, v15 :: v_dual_lshrrev_b32 v16, 29, v9
	s_delay_alu instid0(VALU_DEP_1) | instskip(SKIP_1) | instid1(VALU_DEP_3)
	v_alignbit_b32 v14, v14, v11, v12
	v_alignbit_b32 v10, v11, v10, v12
	v_lshlrev_b32_e32 v11, 31, v16
	s_delay_alu instid0(VALU_DEP_2) | instskip(NEXT) | instid1(VALU_DEP_2)
	v_alignbit_b32 v12, v14, v10, 9
	v_dual_lshrrev_b32 v14, 9, v14 :: v_dual_bitop2_b32 v16, 0.5, v11 bitop3:0x54
	s_delay_alu instid0(VALU_DEP_2) | instskip(NEXT) | instid1(VALU_DEP_2)
	v_clz_i32_u32_e32 v18, v12
	v_sub_nc_u32_e32 v16, v16, v17
	v_or_b32_e32 v11, 0x33000000, v11
	s_delay_alu instid0(VALU_DEP_3) | instskip(NEXT) | instid1(VALU_DEP_1)
	v_min_u32_e32 v17, 32, v18
	v_add_lshl_u32 v15, v17, v15, 23
	s_delay_alu instid0(VALU_DEP_4) | instskip(SKIP_1) | instid1(VALU_DEP_2)
	v_or_b32_e32 v14, v14, v16
	v_not_b32_e32 v16, v17
	v_dual_mul_f32 v18, 0x3fc90fda, v14 :: v_dual_sub_nc_u32 v11, v11, v15
	s_delay_alu instid0(VALU_DEP_2) | instskip(NEXT) | instid1(VALU_DEP_2)
	v_alignbit_b32 v10, v12, v10, v16
	v_fma_f32 v12, 0x3fc90fda, v14, -v18
	s_delay_alu instid0(VALU_DEP_2) | instskip(NEXT) | instid1(VALU_DEP_2)
	v_lshrrev_b32_e32 v10, 9, v10
	v_fmamk_f32 v12, v14, 0x33a22168, v12
	s_delay_alu instid0(VALU_DEP_2) | instskip(NEXT) | instid1(VALU_DEP_1)
	v_or_b32_e32 v10, v11, v10
	v_fmac_f32_e32 v12, 0x3fc90fda, v10
	s_delay_alu instid0(VALU_DEP_1) | instskip(NEXT) | instid1(VALU_DEP_1)
	v_dual_add_f32 v9, v18, v12 :: v_dual_lshrrev_b32 v10, 30, v9
	v_add_nc_u32_e32 v10, v13, v10
.LBB8_42:
	s_and_not1_saveexec_b32 s0, s6
; %bb.43:
	v_mul_f32_e64 v9, 0x3f22f983, |v8|
	s_delay_alu instid0(VALU_DEP_1) | instskip(NEXT) | instid1(VALU_DEP_1)
	v_rndne_f32_e32 v10, v9
	v_fma_f32 v9, 0xbfc90fda, v10, |v8|
	s_delay_alu instid0(VALU_DEP_1) | instskip(NEXT) | instid1(VALU_DEP_1)
	v_fmamk_f32 v9, v10, 0xb3a22168, v9
	v_fmamk_f32 v9, v10, 0xa7c234c4, v9
	v_cvt_i32_f32_e32 v10, v10
; %bb.44:
	s_or_b32 exec_lo, exec_lo, s0
	s_delay_alu instid0(VALU_DEP_1) | instskip(SKIP_3) | instid1(VALU_DEP_2)
	v_dual_mul_f32 v11, v9, v9 :: v_dual_bitop2_b32 v14, 1, v10 bitop3:0x40
	s_mov_b32 s0, 0xb94c1982
	s_mov_b32 s1, 0x37d75334
	v_lshlrev_b32_e32 v10, 30, v10
	v_fmaak_f32 v12, s0, v11, 0x3c0881c4
	v_cmp_eq_u32_e64 s0, 0, v14
	v_xor_b32_e32 v4, v4, v8
	s_delay_alu instid0(VALU_DEP_4) | instskip(NEXT) | instid1(VALU_DEP_4)
	v_and_b32_e32 v10, 0x80000000, v10
	v_fmaak_f32 v12, v11, v12, 0xbe2aaa9d
	s_delay_alu instid0(VALU_DEP_1) | instskip(NEXT) | instid1(VALU_DEP_1)
	v_dual_fmaak_f32 v13, s1, v11, 0xbab64f3b :: v_dual_mul_f32 v12, v11, v12
	v_fmaak_f32 v13, v11, v13, 0x3d2aabf7
	s_delay_alu instid0(VALU_DEP_2) | instskip(NEXT) | instid1(VALU_DEP_2)
	v_fmac_f32_e32 v9, v9, v12
	v_fmaak_f32 v13, v11, v13, 0xbf000004
	s_delay_alu instid0(VALU_DEP_1) | instskip(NEXT) | instid1(VALU_DEP_1)
	v_fma_f32 v11, v11, v13, 1.0
	v_cndmask_b32_e64 v9, v11, v9, s0
	v_cmp_class_f32_e64 s0, v8, 0x1f8
	s_delay_alu instid0(VALU_DEP_2) | instskip(NEXT) | instid1(VALU_DEP_1)
	v_xor3_b32 v4, v4, v10, v9
	v_cndmask_b32_e64 v4, 0x7fc00000, v4, s0
.LBB8_45:
	s_or_b32 exec_lo, exec_lo, s3
	v_or_b32_e32 v8, 0x300, v0
	s_mov_b32 s3, exec_lo
	s_delay_alu instid0(VALU_DEP_1)
	v_cmpx_gt_i32_e64 s10, v8
	s_cbranch_execnz .LBB8_52
; %bb.46:
	s_or_b32 exec_lo, exec_lo, s3
	s_and_saveexec_b32 s0, vcc_lo
	s_delay_alu instid0(SALU_CYCLE_1)
	s_xor_b32 s0, exec_lo, s0
	s_cbranch_execnz .LBB8_57
.LBB8_47:
	s_or_b32 exec_lo, exec_lo, s0
	s_delay_alu instid0(SALU_CYCLE_1)
	s_mov_b32 s0, exec_lo
	v_cmpx_gt_i32_e64 s10, v0
	s_cbranch_execnz .LBB8_58
.LBB8_48:
	s_or_b32 exec_lo, exec_lo, s0
	s_delay_alu instid0(SALU_CYCLE_1)
	s_mov_b32 s0, exec_lo
	v_cmpx_gt_i32_e64 s10, v0
	s_cbranch_execnz .LBB8_59
.LBB8_49:
	s_or_b32 exec_lo, exec_lo, s0
	s_delay_alu instid0(SALU_CYCLE_1)
	s_mov_b32 s0, exec_lo
	v_cmpx_gt_i32_e64 s10, v0
	s_cbranch_execz .LBB8_51
.LBB8_50:
	v_add_nc_u32_e32 v0, s8, v0
	global_store_b32 v0, v3, s[4:5] scale_offset
.LBB8_51:
	s_endpgm
.LBB8_52:
	v_and_b32_e32 v3, 0x7fffffff, v7
                                        ; implicit-def: $vgpr9
                                        ; implicit-def: $vgpr8
	s_mov_b32 s1, exec_lo
	v_cmpx_ngt_f32_e64 0x48000000, |v7|
	s_xor_b32 s6, exec_lo, s1
	s_cbranch_execz .LBB8_54
; %bb.53:
	s_mov_b32 s0, 0x7fffff
	v_mov_b32_e32 v9, 0
	v_and_or_b32 v8, v3, s0, 0x800000
	s_mov_b64 s[0:1], 0xfe5163ab
	s_delay_alu instid0(VALU_DEP_1) | instid1(SALU_CYCLE_1)
	v_mul_u64_e32 v[10:11], s[0:1], v[8:9]
	s_delay_alu instid0(VALU_DEP_1) | instskip(SKIP_2) | instid1(VALU_DEP_3)
	v_dual_mov_b32 v12, v11 :: v_dual_mov_b32 v13, v9
	v_dual_mov_b32 v15, v9 :: v_dual_mov_b32 v17, v9
	v_dual_mov_b32 v19, v9 :: v_dual_lshrrev_b32 v11, 23, v3
	v_mad_nc_u64_u32 v[12:13], 0x3c439041, v8, v[12:13]
	s_delay_alu instid0(VALU_DEP_1) | instskip(NEXT) | instid1(VALU_DEP_1)
	v_mov_b32_e32 v14, v13
	v_mad_nc_u64_u32 v[14:15], 0xdb629599, v8, v[14:15]
	s_delay_alu instid0(VALU_DEP_1) | instskip(NEXT) | instid1(VALU_DEP_1)
	v_mov_b32_e32 v16, v15
	;; [unrolled: 3-line block ×3, first 2 shown]
	v_mad_nc_u64_u32 v[18:19], 0xfc2757d1, v8, v[18:19]
	s_delay_alu instid0(VALU_DEP_1) | instskip(NEXT) | instid1(VALU_DEP_1)
	v_dual_mov_b32 v21, v9 :: v_dual_mov_b32 v20, v19
	v_mad_nc_u64_u32 v[20:21], 0x4e441529, v8, v[20:21]
	s_delay_alu instid0(VALU_DEP_1) | instskip(NEXT) | instid1(VALU_DEP_1)
	v_dual_mov_b32 v22, v21 :: v_dual_add_nc_u32 v11, 0xffffff88, v11
	v_cmp_lt_u32_e64 s0, 63, v11
	v_mov_b32_e32 v23, v9
	s_delay_alu instid0(VALU_DEP_2) | instskip(NEXT) | instid1(VALU_DEP_2)
	v_cndmask_b32_e64 v13, 0, 0xffffffc0, s0
	v_mad_nc_u64_u32 v[8:9], 0xa2f9836e, v8, v[22:23]
	v_dual_cndmask_b32 v15, v20, v16, s0 :: v_dual_cndmask_b32 v17, v18, v14, s0
	s_delay_alu instid0(VALU_DEP_3) | instskip(SKIP_1) | instid1(VALU_DEP_2)
	v_dual_cndmask_b32 v12, v16, v12, s0 :: v_dual_add_nc_u32 v11, v13, v11
	v_cndmask_b32_e64 v10, v14, v10, s0
	v_cmp_lt_u32_e64 s1, 31, v11
	v_dual_cndmask_b32 v8, v8, v18, s0 :: v_dual_cndmask_b32 v9, v9, v20, s0
	s_delay_alu instid0(VALU_DEP_2) | instskip(NEXT) | instid1(VALU_DEP_4)
	v_cndmask_b32_e64 v13, 0, 0xffffffe0, s1
	v_dual_cndmask_b32 v16, v17, v12, s1 :: v_dual_cndmask_b32 v10, v12, v10, s1
	s_delay_alu instid0(VALU_DEP_2) | instskip(NEXT) | instid1(VALU_DEP_1)
	v_add_nc_u32_e32 v11, v13, v11
	v_cmp_lt_u32_e64 s2, 31, v11
	s_delay_alu instid0(VALU_DEP_1) | instskip(NEXT) | instid1(VALU_DEP_1)
	v_cndmask_b32_e64 v13, 0, 0xffffffe0, s2
	v_dual_cndmask_b32 v10, v16, v10, s2 :: v_dual_add_nc_u32 v11, v13, v11
	v_dual_cndmask_b32 v13, v8, v15, s1 :: v_dual_cndmask_b32 v8, v9, v8, s1
	s_delay_alu instid0(VALU_DEP_2) | instskip(SKIP_1) | instid1(VALU_DEP_3)
	v_dual_cndmask_b32 v9, v15, v17, s1 :: v_dual_sub_nc_u32 v15, 32, v11
	v_cmp_eq_u32_e64 s0, 0, v11
	v_cndmask_b32_e64 v8, v8, v13, s2
	s_delay_alu instid0(VALU_DEP_3) | instskip(SKIP_1) | instid1(VALU_DEP_2)
	v_cndmask_b32_e64 v13, v13, v9, s2
	v_cndmask_b32_e64 v9, v9, v16, s2
	v_alignbit_b32 v17, v8, v13, v15
	s_delay_alu instid0(VALU_DEP_2) | instskip(SKIP_1) | instid1(VALU_DEP_2)
	v_alignbit_b32 v14, v13, v9, v15
	v_alignbit_b32 v15, v9, v10, v15
	v_dual_cndmask_b32 v8, v17, v8, s0 :: v_dual_cndmask_b32 v11, v14, v13, s0
	s_delay_alu instid0(VALU_DEP_2) | instskip(NEXT) | instid1(VALU_DEP_2)
	v_cndmask_b32_e64 v9, v15, v9, s0
	v_bfe_u32 v12, v8, 29, 1
	s_delay_alu instid0(VALU_DEP_3) | instskip(NEXT) | instid1(VALU_DEP_3)
	v_alignbit_b32 v13, v8, v11, 30
	v_alignbit_b32 v11, v11, v9, 30
	;; [unrolled: 1-line block ×3, first 2 shown]
	s_delay_alu instid0(VALU_DEP_4) | instskip(NEXT) | instid1(VALU_DEP_1)
	v_sub_nc_u32_e32 v14, 0, v12
	v_xor_b32_e32 v13, v13, v14
	s_delay_alu instid0(VALU_DEP_4) | instskip(NEXT) | instid1(VALU_DEP_4)
	v_xor_b32_e32 v10, v11, v14
	v_dual_lshrrev_b32 v14, 29, v8 :: v_dual_bitop2_b32 v9, v9, v14 bitop3:0x14
	s_delay_alu instid0(VALU_DEP_3) | instskip(NEXT) | instid1(VALU_DEP_1)
	v_clz_i32_u32_e32 v15, v13
	v_min_u32_e32 v15, 32, v15
	s_delay_alu instid0(VALU_DEP_1) | instskip(NEXT) | instid1(VALU_DEP_1)
	v_dual_sub_nc_u32 v11, 31, v15 :: v_dual_lshlrev_b32 v16, 23, v15
	v_alignbit_b32 v13, v13, v10, v11
	v_alignbit_b32 v9, v10, v9, v11
	v_lshlrev_b32_e32 v10, 31, v14
	s_delay_alu instid0(VALU_DEP_2) | instskip(NEXT) | instid1(VALU_DEP_2)
	v_alignbit_b32 v11, v13, v9, 9
	v_dual_lshrrev_b32 v13, 9, v13 :: v_dual_bitop2_b32 v14, 0.5, v10 bitop3:0x54
	v_or_b32_e32 v10, 0x33000000, v10
	s_delay_alu instid0(VALU_DEP_3) | instskip(NEXT) | instid1(VALU_DEP_3)
	v_clz_i32_u32_e32 v17, v11
	v_sub_nc_u32_e32 v14, v14, v16
	s_delay_alu instid0(VALU_DEP_2) | instskip(NEXT) | instid1(VALU_DEP_1)
	v_min_u32_e32 v16, 32, v17
	v_add_lshl_u32 v15, v16, v15, 23
	s_delay_alu instid0(VALU_DEP_3) | instskip(SKIP_1) | instid1(VALU_DEP_2)
	v_or_b32_e32 v13, v13, v14
	v_not_b32_e32 v14, v16
	v_dual_mul_f32 v17, 0x3fc90fda, v13 :: v_dual_sub_nc_u32 v10, v10, v15
	s_delay_alu instid0(VALU_DEP_2) | instskip(NEXT) | instid1(VALU_DEP_2)
	v_alignbit_b32 v9, v11, v9, v14
	v_fma_f32 v11, 0x3fc90fda, v13, -v17
	s_delay_alu instid0(VALU_DEP_2) | instskip(NEXT) | instid1(VALU_DEP_2)
	v_lshrrev_b32_e32 v9, 9, v9
	v_fmamk_f32 v11, v13, 0x33a22168, v11
	s_delay_alu instid0(VALU_DEP_2) | instskip(NEXT) | instid1(VALU_DEP_1)
	v_or_b32_e32 v9, v10, v9
	v_fmac_f32_e32 v11, 0x3fc90fda, v9
	s_delay_alu instid0(VALU_DEP_1) | instskip(NEXT) | instid1(VALU_DEP_1)
	v_dual_add_f32 v8, v17, v11 :: v_dual_lshrrev_b32 v9, 30, v8
	v_add_nc_u32_e32 v9, v12, v9
.LBB8_54:
	s_and_not1_saveexec_b32 s0, s6
; %bb.55:
	v_mul_f32_e64 v8, 0x3f22f983, |v7|
	s_delay_alu instid0(VALU_DEP_1) | instskip(NEXT) | instid1(VALU_DEP_1)
	v_rndne_f32_e32 v9, v8
	v_fma_f32 v8, 0xbfc90fda, v9, |v7|
	s_delay_alu instid0(VALU_DEP_1) | instskip(NEXT) | instid1(VALU_DEP_1)
	v_fmamk_f32 v8, v9, 0xb3a22168, v8
	v_fmamk_f32 v8, v9, 0xa7c234c4, v8
	v_cvt_i32_f32_e32 v9, v9
; %bb.56:
	s_or_b32 exec_lo, exec_lo, s0
	s_delay_alu instid0(VALU_DEP_1) | instskip(SKIP_3) | instid1(VALU_DEP_2)
	v_dual_mul_f32 v10, v8, v8 :: v_dual_bitop2_b32 v13, 1, v9 bitop3:0x40
	s_mov_b32 s0, 0xb94c1982
	s_mov_b32 s1, 0x37d75334
	v_lshlrev_b32_e32 v9, 30, v9
	v_fmaak_f32 v11, s0, v10, 0x3c0881c4
	v_cmp_eq_u32_e64 s0, 0, v13
	v_xor_b32_e32 v3, v3, v7
	s_delay_alu instid0(VALU_DEP_4) | instskip(NEXT) | instid1(VALU_DEP_4)
	v_and_b32_e32 v9, 0x80000000, v9
	v_fmaak_f32 v11, v10, v11, 0xbe2aaa9d
	s_delay_alu instid0(VALU_DEP_1) | instskip(NEXT) | instid1(VALU_DEP_1)
	v_dual_fmaak_f32 v12, s1, v10, 0xbab64f3b :: v_dual_mul_f32 v11, v10, v11
	v_fmaak_f32 v12, v10, v12, 0x3d2aabf7
	s_delay_alu instid0(VALU_DEP_2) | instskip(NEXT) | instid1(VALU_DEP_2)
	v_fmac_f32_e32 v8, v8, v11
	v_fmaak_f32 v12, v10, v12, 0xbf000004
	s_delay_alu instid0(VALU_DEP_1) | instskip(NEXT) | instid1(VALU_DEP_1)
	v_fma_f32 v10, v10, v12, 1.0
	v_cndmask_b32_e64 v8, v10, v8, s0
	v_cmp_class_f32_e64 s0, v7, 0x1f8
	s_delay_alu instid0(VALU_DEP_2) | instskip(NEXT) | instid1(VALU_DEP_1)
	v_xor3_b32 v3, v3, v9, v8
	v_cndmask_b32_e64 v3, 0x7fc00000, v3, s0
	s_or_b32 exec_lo, exec_lo, s3
	s_and_saveexec_b32 s0, vcc_lo
	s_delay_alu instid0(SALU_CYCLE_1)
	s_xor_b32 s0, exec_lo, s0
	s_cbranch_execz .LBB8_47
.LBB8_57:
	v_mov_b32_e32 v0, v6
	global_store_b32 v5, v2, s[4:5] scale_offset
	s_wait_xcnt 0x0
	s_or_b32 exec_lo, exec_lo, s0
	s_delay_alu instid0(SALU_CYCLE_1)
	s_mov_b32 s0, exec_lo
	v_cmpx_gt_i32_e64 s10, v0
	s_cbranch_execz .LBB8_48
.LBB8_58:
	v_add_nc_u32_e32 v2, s8, v0
	v_add_nc_u32_e32 v0, 0x100, v0
	global_store_b32 v2, v1, s[4:5] scale_offset
	s_wait_xcnt 0x0
	s_or_b32 exec_lo, exec_lo, s0
	s_delay_alu instid0(SALU_CYCLE_1)
	s_mov_b32 s0, exec_lo
	v_cmpx_gt_i32_e64 s10, v0
	s_cbranch_execz .LBB8_49
.LBB8_59:
	v_add_nc_u32_e32 v1, s8, v0
	v_add_nc_u32_e32 v0, 0x100, v0
	global_store_b32 v1, v4, s[4:5] scale_offset
	s_wait_xcnt 0x0
	s_or_b32 exec_lo, exec_lo, s0
	s_delay_alu instid0(SALU_CYCLE_1)
	s_mov_b32 s0, exec_lo
	v_cmpx_gt_i32_e64 s10, v0
	s_cbranch_execnz .LBB8_50
	s_branch .LBB8_51
	.section	.rodata,"a",@progbits
	.p2align	6, 0x0
	.amdhsa_kernel _ZN2at6native29vectorized_elementwise_kernelILi16EZZZNS0_15sin_kernel_cudaERNS_18TensorIteratorBaseEENKUlvE0_clEvENKUlvE0_clEvEUlfE_St5arrayIPcLm2EEEEviT0_T1_
		.amdhsa_group_segment_fixed_size 0
		.amdhsa_private_segment_fixed_size 0
		.amdhsa_kernarg_size 24
		.amdhsa_user_sgpr_count 2
		.amdhsa_user_sgpr_dispatch_ptr 0
		.amdhsa_user_sgpr_queue_ptr 0
		.amdhsa_user_sgpr_kernarg_segment_ptr 1
		.amdhsa_user_sgpr_dispatch_id 0
		.amdhsa_user_sgpr_kernarg_preload_length 0
		.amdhsa_user_sgpr_kernarg_preload_offset 0
		.amdhsa_user_sgpr_private_segment_size 0
		.amdhsa_wavefront_size32 1
		.amdhsa_uses_dynamic_stack 0
		.amdhsa_enable_private_segment 0
		.amdhsa_system_sgpr_workgroup_id_x 1
		.amdhsa_system_sgpr_workgroup_id_y 0
		.amdhsa_system_sgpr_workgroup_id_z 0
		.amdhsa_system_sgpr_workgroup_info 0
		.amdhsa_system_vgpr_workitem_id 0
		.amdhsa_next_free_vgpr 33
		.amdhsa_next_free_sgpr 24
		.amdhsa_named_barrier_count 0
		.amdhsa_reserve_vcc 1
		.amdhsa_float_round_mode_32 0
		.amdhsa_float_round_mode_16_64 0
		.amdhsa_float_denorm_mode_32 3
		.amdhsa_float_denorm_mode_16_64 3
		.amdhsa_fp16_overflow 0
		.amdhsa_memory_ordered 1
		.amdhsa_forward_progress 1
		.amdhsa_inst_pref_size 68
		.amdhsa_round_robin_scheduling 0
		.amdhsa_exception_fp_ieee_invalid_op 0
		.amdhsa_exception_fp_denorm_src 0
		.amdhsa_exception_fp_ieee_div_zero 0
		.amdhsa_exception_fp_ieee_overflow 0
		.amdhsa_exception_fp_ieee_underflow 0
		.amdhsa_exception_fp_ieee_inexact 0
		.amdhsa_exception_int_div_zero 0
	.end_amdhsa_kernel
	.section	.text._ZN2at6native29vectorized_elementwise_kernelILi16EZZZNS0_15sin_kernel_cudaERNS_18TensorIteratorBaseEENKUlvE0_clEvENKUlvE0_clEvEUlfE_St5arrayIPcLm2EEEEviT0_T1_,"axG",@progbits,_ZN2at6native29vectorized_elementwise_kernelILi16EZZZNS0_15sin_kernel_cudaERNS_18TensorIteratorBaseEENKUlvE0_clEvENKUlvE0_clEvEUlfE_St5arrayIPcLm2EEEEviT0_T1_,comdat
.Lfunc_end8:
	.size	_ZN2at6native29vectorized_elementwise_kernelILi16EZZZNS0_15sin_kernel_cudaERNS_18TensorIteratorBaseEENKUlvE0_clEvENKUlvE0_clEvEUlfE_St5arrayIPcLm2EEEEviT0_T1_, .Lfunc_end8-_ZN2at6native29vectorized_elementwise_kernelILi16EZZZNS0_15sin_kernel_cudaERNS_18TensorIteratorBaseEENKUlvE0_clEvENKUlvE0_clEvEUlfE_St5arrayIPcLm2EEEEviT0_T1_
                                        ; -- End function
	.set _ZN2at6native29vectorized_elementwise_kernelILi16EZZZNS0_15sin_kernel_cudaERNS_18TensorIteratorBaseEENKUlvE0_clEvENKUlvE0_clEvEUlfE_St5arrayIPcLm2EEEEviT0_T1_.num_vgpr, 33
	.set _ZN2at6native29vectorized_elementwise_kernelILi16EZZZNS0_15sin_kernel_cudaERNS_18TensorIteratorBaseEENKUlvE0_clEvENKUlvE0_clEvEUlfE_St5arrayIPcLm2EEEEviT0_T1_.num_agpr, 0
	.set _ZN2at6native29vectorized_elementwise_kernelILi16EZZZNS0_15sin_kernel_cudaERNS_18TensorIteratorBaseEENKUlvE0_clEvENKUlvE0_clEvEUlfE_St5arrayIPcLm2EEEEviT0_T1_.numbered_sgpr, 24
	.set _ZN2at6native29vectorized_elementwise_kernelILi16EZZZNS0_15sin_kernel_cudaERNS_18TensorIteratorBaseEENKUlvE0_clEvENKUlvE0_clEvEUlfE_St5arrayIPcLm2EEEEviT0_T1_.num_named_barrier, 0
	.set _ZN2at6native29vectorized_elementwise_kernelILi16EZZZNS0_15sin_kernel_cudaERNS_18TensorIteratorBaseEENKUlvE0_clEvENKUlvE0_clEvEUlfE_St5arrayIPcLm2EEEEviT0_T1_.private_seg_size, 0
	.set _ZN2at6native29vectorized_elementwise_kernelILi16EZZZNS0_15sin_kernel_cudaERNS_18TensorIteratorBaseEENKUlvE0_clEvENKUlvE0_clEvEUlfE_St5arrayIPcLm2EEEEviT0_T1_.uses_vcc, 1
	.set _ZN2at6native29vectorized_elementwise_kernelILi16EZZZNS0_15sin_kernel_cudaERNS_18TensorIteratorBaseEENKUlvE0_clEvENKUlvE0_clEvEUlfE_St5arrayIPcLm2EEEEviT0_T1_.uses_flat_scratch, 0
	.set _ZN2at6native29vectorized_elementwise_kernelILi16EZZZNS0_15sin_kernel_cudaERNS_18TensorIteratorBaseEENKUlvE0_clEvENKUlvE0_clEvEUlfE_St5arrayIPcLm2EEEEviT0_T1_.has_dyn_sized_stack, 0
	.set _ZN2at6native29vectorized_elementwise_kernelILi16EZZZNS0_15sin_kernel_cudaERNS_18TensorIteratorBaseEENKUlvE0_clEvENKUlvE0_clEvEUlfE_St5arrayIPcLm2EEEEviT0_T1_.has_recursion, 0
	.set _ZN2at6native29vectorized_elementwise_kernelILi16EZZZNS0_15sin_kernel_cudaERNS_18TensorIteratorBaseEENKUlvE0_clEvENKUlvE0_clEvEUlfE_St5arrayIPcLm2EEEEviT0_T1_.has_indirect_call, 0
	.section	.AMDGPU.csdata,"",@progbits
; Kernel info:
; codeLenInByte = 8600
; TotalNumSgprs: 26
; NumVgprs: 33
; ScratchSize: 0
; MemoryBound: 0
; FloatMode: 240
; IeeeMode: 1
; LDSByteSize: 0 bytes/workgroup (compile time only)
; SGPRBlocks: 0
; VGPRBlocks: 2
; NumSGPRsForWavesPerEU: 26
; NumVGPRsForWavesPerEU: 33
; NamedBarCnt: 0
; Occupancy: 16
; WaveLimiterHint : 0
; COMPUTE_PGM_RSRC2:SCRATCH_EN: 0
; COMPUTE_PGM_RSRC2:USER_SGPR: 2
; COMPUTE_PGM_RSRC2:TRAP_HANDLER: 0
; COMPUTE_PGM_RSRC2:TGID_X_EN: 1
; COMPUTE_PGM_RSRC2:TGID_Y_EN: 0
; COMPUTE_PGM_RSRC2:TGID_Z_EN: 0
; COMPUTE_PGM_RSRC2:TIDIG_COMP_CNT: 0
	.section	.text._ZN2at6native29vectorized_elementwise_kernelILi8EZZZNS0_15sin_kernel_cudaERNS_18TensorIteratorBaseEENKUlvE0_clEvENKUlvE0_clEvEUlfE_St5arrayIPcLm2EEEEviT0_T1_,"axG",@progbits,_ZN2at6native29vectorized_elementwise_kernelILi8EZZZNS0_15sin_kernel_cudaERNS_18TensorIteratorBaseEENKUlvE0_clEvENKUlvE0_clEvEUlfE_St5arrayIPcLm2EEEEviT0_T1_,comdat
	.globl	_ZN2at6native29vectorized_elementwise_kernelILi8EZZZNS0_15sin_kernel_cudaERNS_18TensorIteratorBaseEENKUlvE0_clEvENKUlvE0_clEvEUlfE_St5arrayIPcLm2EEEEviT0_T1_ ; -- Begin function _ZN2at6native29vectorized_elementwise_kernelILi8EZZZNS0_15sin_kernel_cudaERNS_18TensorIteratorBaseEENKUlvE0_clEvENKUlvE0_clEvEUlfE_St5arrayIPcLm2EEEEviT0_T1_
	.p2align	8
	.type	_ZN2at6native29vectorized_elementwise_kernelILi8EZZZNS0_15sin_kernel_cudaERNS_18TensorIteratorBaseEENKUlvE0_clEvENKUlvE0_clEvEUlfE_St5arrayIPcLm2EEEEviT0_T1_,@function
_ZN2at6native29vectorized_elementwise_kernelILi8EZZZNS0_15sin_kernel_cudaERNS_18TensorIteratorBaseEENKUlvE0_clEvENKUlvE0_clEvEUlfE_St5arrayIPcLm2EEEEviT0_T1_: ; @_ZN2at6native29vectorized_elementwise_kernelILi8EZZZNS0_15sin_kernel_cudaERNS_18TensorIteratorBaseEENKUlvE0_clEvENKUlvE0_clEvEUlfE_St5arrayIPcLm2EEEEviT0_T1_
; %bb.0:
	s_clause 0x1
	s_load_b32 s2, s[0:1], 0x0
	s_load_b128 s[4:7], s[0:1], 0x8
	s_wait_xcnt 0x0
	s_bfe_u32 s0, ttmp6, 0x4000c
	s_and_b32 s1, ttmp6, 15
	s_add_co_i32 s0, s0, 1
	s_getreg_b32 s3, hwreg(HW_REG_IB_STS2, 6, 4)
	s_mul_i32 s0, ttmp9, s0
	s_delay_alu instid0(SALU_CYCLE_1) | instskip(SKIP_2) | instid1(SALU_CYCLE_1)
	s_add_co_i32 s1, s1, s0
	s_cmp_eq_u32 s3, 0
	s_cselect_b32 s0, ttmp9, s1
	s_lshl_b32 s8, s0, 10
	s_mov_b32 s0, -1
	s_wait_kmcnt 0x0
	s_sub_co_i32 s10, s2, s8
	s_delay_alu instid0(SALU_CYCLE_1)
	s_cmp_gt_i32 s10, 0x3ff
	s_cbranch_scc0 .LBB9_18
; %bb.1:
	s_ashr_i32 s9, s8, 31
	v_mov_b32_e32 v7, 0
	s_lshl_b64 s[2:3], s[8:9], 2
                                        ; implicit-def: $vgpr10
                                        ; implicit-def: $vgpr6
	s_delay_alu instid0(SALU_CYCLE_1)
	s_add_nc_u64 s[0:1], s[6:7], s[2:3]
	global_load_b128 v[2:5], v0, s[0:1] scale_offset
	s_wait_xcnt 0x0
	s_mov_b32 s1, exec_lo
	s_wait_loadcnt 0x0
	v_and_b32_e32 v1, 0x7fffffff, v2
	v_cmpx_ngt_f32_e64 0x48000000, |v2|
	s_xor_b32 s9, exec_lo, s1
	s_cbranch_execz .LBB9_3
; %bb.2:
	s_mov_b32 s0, 0x7fffff
	v_mov_b32_e32 v19, v7
	v_and_or_b32 v6, v1, s0, 0x800000
	s_mov_b64 s[0:1], 0xfe5163ab
	s_delay_alu instid0(VALU_DEP_1) | instid1(SALU_CYCLE_1)
	v_mul_u64_e32 v[8:9], s[0:1], v[6:7]
	s_delay_alu instid0(VALU_DEP_1) | instskip(SKIP_1) | instid1(VALU_DEP_2)
	v_dual_mov_b32 v11, v7 :: v_dual_mov_b32 v10, v9
	v_lshrrev_b32_e32 v9, 23, v1
	v_mad_nc_u64_u32 v[10:11], 0x3c439041, v6, v[10:11]
	v_mov_b32_e32 v13, v7
	s_delay_alu instid0(VALU_DEP_3) | instskip(NEXT) | instid1(VALU_DEP_1)
	v_add_nc_u32_e32 v9, 0xffffff88, v9
	v_cmp_lt_u32_e32 vcc_lo, 63, v9
	s_delay_alu instid0(VALU_DEP_4) | instskip(SKIP_1) | instid1(VALU_DEP_2)
	v_mov_b32_e32 v12, v11
	v_cndmask_b32_e64 v11, 0, 0xffffffc0, vcc_lo
	v_mad_nc_u64_u32 v[12:13], 0xdb629599, v6, v[12:13]
	s_delay_alu instid0(VALU_DEP_1) | instskip(NEXT) | instid1(VALU_DEP_2)
	v_dual_mov_b32 v15, v7 :: v_dual_mov_b32 v14, v13
	v_cndmask_b32_e32 v8, v12, v8, vcc_lo
	s_delay_alu instid0(VALU_DEP_2) | instskip(NEXT) | instid1(VALU_DEP_1)
	v_mad_nc_u64_u32 v[14:15], 0xf534ddc0, v6, v[14:15]
	v_dual_mov_b32 v17, v7 :: v_dual_mov_b32 v16, v15
	s_delay_alu instid0(VALU_DEP_2) | instskip(NEXT) | instid1(VALU_DEP_2)
	v_cndmask_b32_e32 v10, v14, v10, vcc_lo
	v_mad_nc_u64_u32 v[16:17], 0xfc2757d1, v6, v[16:17]
	s_delay_alu instid0(VALU_DEP_1) | instskip(NEXT) | instid1(VALU_DEP_1)
	v_dual_mov_b32 v18, v17 :: v_dual_cndmask_b32 v15, v16, v12
	v_mad_nc_u64_u32 v[18:19], 0x4e441529, v6, v[18:19]
	v_add_nc_u32_e32 v9, v11, v9
	s_delay_alu instid0(VALU_DEP_2) | instskip(NEXT) | instid1(VALU_DEP_3)
	v_dual_mov_b32 v21, v7 :: v_dual_mov_b32 v20, v19
	v_cndmask_b32_e32 v13, v18, v14, vcc_lo
	s_delay_alu instid0(VALU_DEP_3) | instskip(NEXT) | instid1(VALU_DEP_3)
	v_cmp_lt_u32_e64 s0, 31, v9
	v_mad_nc_u64_u32 v[6:7], 0xa2f9836e, v6, v[20:21]
	s_delay_alu instid0(VALU_DEP_2) | instskip(NEXT) | instid1(VALU_DEP_1)
	v_cndmask_b32_e64 v11, 0, 0xffffffe0, s0
	v_dual_cndmask_b32 v8, v10, v8, s0 :: v_dual_add_nc_u32 v9, v11, v9
	s_delay_alu instid0(VALU_DEP_3) | instskip(NEXT) | instid1(VALU_DEP_2)
	v_cndmask_b32_e32 v6, v6, v16, vcc_lo
	v_cmp_lt_u32_e64 s1, 31, v9
	v_cndmask_b32_e32 v7, v7, v18, vcc_lo
	s_delay_alu instid0(VALU_DEP_2) | instskip(NEXT) | instid1(VALU_DEP_1)
	v_cndmask_b32_e64 v11, 0, 0xffffffe0, s1
	v_add_nc_u32_e32 v9, v11, v9
	s_delay_alu instid0(VALU_DEP_3) | instskip(SKIP_1) | instid1(VALU_DEP_3)
	v_dual_cndmask_b32 v11, v6, v13, s0 :: v_dual_cndmask_b32 v6, v7, v6, s0
	v_dual_cndmask_b32 v7, v13, v15, s0 :: v_dual_cndmask_b32 v14, v15, v10, s0
	v_sub_nc_u32_e32 v13, 32, v9
	v_cmp_eq_u32_e32 vcc_lo, 0, v9
	s_delay_alu instid0(VALU_DEP_4) | instskip(NEXT) | instid1(VALU_DEP_4)
	v_cndmask_b32_e64 v6, v6, v11, s1
	v_cndmask_b32_e64 v11, v11, v7, s1
	;; [unrolled: 1-line block ×3, first 2 shown]
	s_delay_alu instid0(VALU_DEP_2) | instskip(NEXT) | instid1(VALU_DEP_2)
	v_alignbit_b32 v15, v6, v11, v13
	v_alignbit_b32 v12, v11, v7, v13
	s_delay_alu instid0(VALU_DEP_1) | instskip(NEXT) | instid1(VALU_DEP_1)
	v_dual_cndmask_b32 v6, v15, v6 :: v_dual_cndmask_b32 v9, v12, v11
	v_bfe_u32 v10, v6, 29, 1
	v_cndmask_b32_e64 v8, v14, v8, s1
	s_delay_alu instid0(VALU_DEP_3) | instskip(NEXT) | instid1(VALU_DEP_3)
	v_alignbit_b32 v11, v6, v9, 30
	v_sub_nc_u32_e32 v12, 0, v10
	s_delay_alu instid0(VALU_DEP_3) | instskip(NEXT) | instid1(VALU_DEP_1)
	v_alignbit_b32 v13, v7, v8, v13
	v_dual_cndmask_b32 v7, v13, v7, vcc_lo :: v_dual_bitop2_b32 v11, v11, v12 bitop3:0x14
	s_delay_alu instid0(VALU_DEP_1) | instskip(NEXT) | instid1(VALU_DEP_2)
	v_clz_i32_u32_e32 v13, v11
	v_alignbit_b32 v9, v9, v7, 30
	v_alignbit_b32 v7, v7, v8, 30
	s_delay_alu instid0(VALU_DEP_3) | instskip(NEXT) | instid1(VALU_DEP_3)
	v_min_u32_e32 v13, 32, v13
	v_xor_b32_e32 v8, v9, v12
	s_delay_alu instid0(VALU_DEP_3) | instskip(NEXT) | instid1(VALU_DEP_3)
	v_dual_lshrrev_b32 v12, 29, v6 :: v_dual_bitop2_b32 v7, v7, v12 bitop3:0x14
	v_dual_sub_nc_u32 v9, 31, v13 :: v_dual_lshlrev_b32 v14, 23, v13
	s_delay_alu instid0(VALU_DEP_1) | instskip(NEXT) | instid1(VALU_DEP_3)
	v_alignbit_b32 v11, v11, v8, v9
	v_alignbit_b32 v7, v8, v7, v9
	s_delay_alu instid0(VALU_DEP_4) | instskip(NEXT) | instid1(VALU_DEP_2)
	v_lshlrev_b32_e32 v8, 31, v12
	v_alignbit_b32 v9, v11, v7, 9
	s_delay_alu instid0(VALU_DEP_2) | instskip(SKIP_1) | instid1(VALU_DEP_3)
	v_dual_lshrrev_b32 v11, 9, v11 :: v_dual_bitop2_b32 v12, 0.5, v8 bitop3:0x54
	v_or_b32_e32 v8, 0x33000000, v8
	v_clz_i32_u32_e32 v15, v9
	s_delay_alu instid0(VALU_DEP_3) | instskip(NEXT) | instid1(VALU_DEP_2)
	v_sub_nc_u32_e32 v12, v12, v14
	v_min_u32_e32 v14, 32, v15
	s_delay_alu instid0(VALU_DEP_1) | instskip(NEXT) | instid1(VALU_DEP_3)
	v_add_lshl_u32 v13, v14, v13, 23
	v_or_b32_e32 v11, v11, v12
	v_not_b32_e32 v12, v14
	s_delay_alu instid0(VALU_DEP_2) | instskip(NEXT) | instid1(VALU_DEP_2)
	v_dual_mul_f32 v15, 0x3fc90fda, v11 :: v_dual_sub_nc_u32 v8, v8, v13
	v_alignbit_b32 v7, v9, v7, v12
	s_delay_alu instid0(VALU_DEP_2) | instskip(NEXT) | instid1(VALU_DEP_2)
	v_fma_f32 v9, 0x3fc90fda, v11, -v15
	v_lshrrev_b32_e32 v7, 9, v7
	s_delay_alu instid0(VALU_DEP_2) | instskip(NEXT) | instid1(VALU_DEP_2)
	v_fmamk_f32 v9, v11, 0x33a22168, v9
	v_or_b32_e32 v7, v8, v7
	s_delay_alu instid0(VALU_DEP_1) | instskip(NEXT) | instid1(VALU_DEP_1)
	v_fmac_f32_e32 v9, 0x3fc90fda, v7
	v_dual_add_f32 v6, v15, v9 :: v_dual_lshrrev_b32 v7, 30, v6
	s_delay_alu instid0(VALU_DEP_1)
	v_add_nc_u32_e32 v10, v10, v7
.LBB9_3:
	s_and_not1_saveexec_b32 s0, s9
; %bb.4:
	v_mul_f32_e64 v6, 0x3f22f983, |v2|
	s_delay_alu instid0(VALU_DEP_1) | instskip(NEXT) | instid1(VALU_DEP_1)
	v_rndne_f32_e32 v7, v6
	v_fma_f32 v6, 0xbfc90fda, v7, |v2|
	v_cvt_i32_f32_e32 v10, v7
	s_delay_alu instid0(VALU_DEP_2) | instskip(NEXT) | instid1(VALU_DEP_1)
	v_fmamk_f32 v6, v7, 0xb3a22168, v6
	v_fmamk_f32 v6, v7, 0xa7c234c4, v6
; %bb.5:
	s_or_b32 exec_lo, exec_lo, s0
	v_and_b32_e32 v11, 0x7fffffff, v3
                                        ; implicit-def: $vgpr13
	s_mov_b32 s1, exec_lo
	v_cmpx_ngt_f32_e64 0x48000000, |v3|
	s_xor_b32 s9, exec_lo, s1
	s_cbranch_execz .LBB9_7
; %bb.6:
	s_mov_b32 s0, 0x7fffff
	v_mov_b32_e32 v9, 0
	v_and_or_b32 v8, v11, s0, 0x800000
	s_mov_b64 s[0:1], 0xfe5163ab
	v_lshrrev_b32_e32 v7, 23, v11
	s_delay_alu instid0(VALU_DEP_2) | instskip(NEXT) | instid1(VALU_DEP_1)
	v_mul_u64_e32 v[12:13], s[0:1], v[8:9]
	v_dual_mov_b32 v14, v13 :: v_dual_mov_b32 v15, v9
	v_dual_mov_b32 v17, v9 :: v_dual_mov_b32 v19, v9
	v_mov_b32_e32 v21, v9
	s_delay_alu instid0(VALU_DEP_3) | instskip(NEXT) | instid1(VALU_DEP_1)
	v_mad_nc_u64_u32 v[14:15], 0x3c439041, v8, v[14:15]
	v_mov_b32_e32 v16, v15
	s_delay_alu instid0(VALU_DEP_1) | instskip(NEXT) | instid1(VALU_DEP_1)
	v_mad_nc_u64_u32 v[16:17], 0xdb629599, v8, v[16:17]
	v_mov_b32_e32 v18, v17
	s_delay_alu instid0(VALU_DEP_1) | instskip(NEXT) | instid1(VALU_DEP_1)
	;; [unrolled: 3-line block ×3, first 2 shown]
	v_mad_nc_u64_u32 v[20:21], 0xfc2757d1, v8, v[20:21]
	v_dual_mov_b32 v23, v9 :: v_dual_mov_b32 v22, v21
	s_delay_alu instid0(VALU_DEP_1) | instskip(NEXT) | instid1(VALU_DEP_1)
	v_mad_nc_u64_u32 v[22:23], 0x4e441529, v8, v[22:23]
	v_dual_mov_b32 v24, v23 :: v_dual_add_nc_u32 v7, 0xffffff88, v7
	s_delay_alu instid0(VALU_DEP_1) | instskip(SKIP_2) | instid1(VALU_DEP_2)
	v_cmp_lt_u32_e32 vcc_lo, 63, v7
	v_mov_b32_e32 v25, v9
	v_cndmask_b32_e64 v13, 0, 0xffffffc0, vcc_lo
	v_mad_nc_u64_u32 v[8:9], 0xa2f9836e, v8, v[24:25]
	v_dual_cndmask_b32 v15, v22, v18, vcc_lo :: v_dual_cndmask_b32 v17, v20, v16, vcc_lo
	s_delay_alu instid0(VALU_DEP_3) | instskip(NEXT) | instid1(VALU_DEP_1)
	v_dual_cndmask_b32 v12, v16, v12 :: v_dual_add_nc_u32 v7, v13, v7
	v_cmp_lt_u32_e64 s0, 31, v7
	s_delay_alu instid0(VALU_DEP_4) | instskip(NEXT) | instid1(VALU_DEP_2)
	v_dual_cndmask_b32 v8, v8, v20 :: v_dual_cndmask_b32 v9, v9, v22
	v_cndmask_b32_e64 v13, 0, 0xffffffe0, s0
	s_delay_alu instid0(VALU_DEP_1) | instskip(NEXT) | instid1(VALU_DEP_1)
	v_add_nc_u32_e32 v7, v13, v7
	v_cmp_lt_u32_e64 s1, 31, v7
	s_delay_alu instid0(VALU_DEP_1) | instskip(NEXT) | instid1(VALU_DEP_1)
	v_cndmask_b32_e64 v13, 0, 0xffffffe0, s1
	v_dual_add_nc_u32 v7, v13, v7 :: v_dual_cndmask_b32 v13, v18, v14, vcc_lo
	v_dual_cndmask_b32 v14, v8, v15, s0 :: v_dual_cndmask_b32 v8, v9, v8, s0
	s_delay_alu instid0(VALU_DEP_2) | instskip(NEXT) | instid1(VALU_DEP_3)
	v_dual_cndmask_b32 v9, v15, v17, s0 :: v_dual_sub_nc_u32 v15, 32, v7
	v_cndmask_b32_e64 v17, v17, v13, s0
	v_cmp_eq_u32_e32 vcc_lo, 0, v7
	s_delay_alu instid0(VALU_DEP_3) | instskip(NEXT) | instid1(VALU_DEP_3)
	v_dual_cndmask_b32 v8, v8, v14, s1 :: v_dual_cndmask_b32 v14, v14, v9, s1
	v_cndmask_b32_e64 v9, v9, v17, s1
	s_delay_alu instid0(VALU_DEP_2) | instskip(NEXT) | instid1(VALU_DEP_2)
	v_alignbit_b32 v18, v8, v14, v15
	v_alignbit_b32 v16, v14, v9, v15
	s_delay_alu instid0(VALU_DEP_2) | instskip(NEXT) | instid1(VALU_DEP_2)
	v_cndmask_b32_e32 v7, v18, v8, vcc_lo
	v_dual_cndmask_b32 v8, v13, v12, s0 :: v_dual_cndmask_b32 v12, v16, v14, vcc_lo
	s_delay_alu instid0(VALU_DEP_2) | instskip(NEXT) | instid1(VALU_DEP_2)
	v_bfe_u32 v13, v7, 29, 1
	v_alignbit_b32 v14, v7, v12, 30
	s_delay_alu instid0(VALU_DEP_2) | instskip(NEXT) | instid1(VALU_DEP_1)
	v_dual_sub_nc_u32 v16, 0, v13 :: v_dual_cndmask_b32 v8, v17, v8, s1
	v_xor_b32_e32 v14, v14, v16
	s_delay_alu instid0(VALU_DEP_2) | instskip(NEXT) | instid1(VALU_DEP_1)
	v_alignbit_b32 v15, v9, v8, v15
	v_cndmask_b32_e32 v9, v15, v9, vcc_lo
	s_delay_alu instid0(VALU_DEP_3) | instskip(NEXT) | instid1(VALU_DEP_2)
	v_clz_i32_u32_e32 v15, v14
	v_alignbit_b32 v12, v12, v9, 30
	s_delay_alu instid0(VALU_DEP_2) | instskip(SKIP_1) | instid1(VALU_DEP_2)
	v_min_u32_e32 v15, 32, v15
	v_alignbit_b32 v8, v9, v8, 30
	v_dual_sub_nc_u32 v12, 31, v15 :: v_dual_bitop2_b32 v9, v12, v16 bitop3:0x14
	s_delay_alu instid0(VALU_DEP_2) | instskip(SKIP_1) | instid1(VALU_DEP_3)
	v_dual_lshrrev_b32 v16, 29, v7 :: v_dual_bitop2_b32 v8, v8, v16 bitop3:0x14
	v_lshlrev_b32_e32 v17, 23, v15
	v_alignbit_b32 v14, v14, v9, v12
	s_delay_alu instid0(VALU_DEP_3) | instskip(NEXT) | instid1(VALU_DEP_4)
	v_alignbit_b32 v8, v9, v8, v12
	v_lshlrev_b32_e32 v9, 31, v16
	s_delay_alu instid0(VALU_DEP_2) | instskip(NEXT) | instid1(VALU_DEP_2)
	v_alignbit_b32 v12, v14, v8, 9
	v_dual_lshrrev_b32 v14, 9, v14 :: v_dual_bitop2_b32 v16, 0.5, v9 bitop3:0x54
	v_or_b32_e32 v9, 0x33000000, v9
	s_delay_alu instid0(VALU_DEP_3) | instskip(NEXT) | instid1(VALU_DEP_3)
	v_clz_i32_u32_e32 v18, v12
	v_sub_nc_u32_e32 v16, v16, v17
	s_delay_alu instid0(VALU_DEP_2) | instskip(NEXT) | instid1(VALU_DEP_1)
	v_min_u32_e32 v17, 32, v18
	v_add_lshl_u32 v15, v17, v15, 23
	s_delay_alu instid0(VALU_DEP_3) | instskip(SKIP_1) | instid1(VALU_DEP_2)
	v_or_b32_e32 v14, v14, v16
	v_not_b32_e32 v16, v17
	v_dual_mul_f32 v18, 0x3fc90fda, v14 :: v_dual_sub_nc_u32 v9, v9, v15
	s_delay_alu instid0(VALU_DEP_2) | instskip(NEXT) | instid1(VALU_DEP_2)
	v_alignbit_b32 v8, v12, v8, v16
	v_fma_f32 v12, 0x3fc90fda, v14, -v18
	s_delay_alu instid0(VALU_DEP_2) | instskip(NEXT) | instid1(VALU_DEP_2)
	v_lshrrev_b32_e32 v8, 9, v8
	v_fmamk_f32 v12, v14, 0x33a22168, v12
	s_delay_alu instid0(VALU_DEP_2) | instskip(NEXT) | instid1(VALU_DEP_1)
	v_or_b32_e32 v8, v9, v8
	v_fmac_f32_e32 v12, 0x3fc90fda, v8
	v_lshrrev_b32_e32 v8, 30, v7
	s_delay_alu instid0(VALU_DEP_1) | instskip(NEXT) | instid1(VALU_DEP_3)
	v_add_nc_u32_e32 v13, v13, v8
	v_add_f32_e32 v7, v18, v12
.LBB9_7:
	s_and_not1_saveexec_b32 s0, s9
; %bb.8:
	v_mul_f32_e64 v7, 0x3f22f983, |v3|
	s_delay_alu instid0(VALU_DEP_1) | instskip(NEXT) | instid1(VALU_DEP_1)
	v_rndne_f32_e32 v8, v7
	v_fma_f32 v7, 0xbfc90fda, v8, |v3|
	v_cvt_i32_f32_e32 v13, v8
	s_delay_alu instid0(VALU_DEP_2) | instskip(NEXT) | instid1(VALU_DEP_1)
	v_fmamk_f32 v7, v8, 0xb3a22168, v7
	v_fmamk_f32 v7, v8, 0xa7c234c4, v7
; %bb.9:
	s_or_b32 exec_lo, exec_lo, s0
	v_and_b32_e32 v12, 0x7fffffff, v4
                                        ; implicit-def: $vgpr15
                                        ; implicit-def: $vgpr8
	s_mov_b32 s1, exec_lo
	v_cmpx_ngt_f32_e64 0x48000000, |v4|
	s_xor_b32 s9, exec_lo, s1
	s_cbranch_execz .LBB9_11
; %bb.10:
	s_mov_b32 s0, 0x7fffff
	v_mov_b32_e32 v9, 0
	v_and_or_b32 v8, v12, s0, 0x800000
	s_mov_b64 s[0:1], 0xfe5163ab
	s_delay_alu instid0(VALU_DEP_1) | instid1(SALU_CYCLE_1)
	v_mul_u64_e32 v[14:15], s[0:1], v[8:9]
	s_delay_alu instid0(VALU_DEP_1) | instskip(SKIP_2) | instid1(VALU_DEP_3)
	v_dual_mov_b32 v16, v15 :: v_dual_mov_b32 v17, v9
	v_dual_mov_b32 v19, v9 :: v_dual_mov_b32 v21, v9
	v_dual_mov_b32 v23, v9 :: v_dual_lshrrev_b32 v15, 23, v12
	v_mad_nc_u64_u32 v[16:17], 0x3c439041, v8, v[16:17]
	s_delay_alu instid0(VALU_DEP_1) | instskip(NEXT) | instid1(VALU_DEP_1)
	v_mov_b32_e32 v18, v17
	v_mad_nc_u64_u32 v[18:19], 0xdb629599, v8, v[18:19]
	s_delay_alu instid0(VALU_DEP_1) | instskip(NEXT) | instid1(VALU_DEP_1)
	v_mov_b32_e32 v20, v19
	;; [unrolled: 3-line block ×3, first 2 shown]
	v_mad_nc_u64_u32 v[22:23], 0xfc2757d1, v8, v[22:23]
	s_delay_alu instid0(VALU_DEP_1) | instskip(NEXT) | instid1(VALU_DEP_1)
	v_dual_mov_b32 v25, v9 :: v_dual_mov_b32 v24, v23
	v_mad_nc_u64_u32 v[24:25], 0x4e441529, v8, v[24:25]
	s_delay_alu instid0(VALU_DEP_1) | instskip(NEXT) | instid1(VALU_DEP_1)
	v_dual_mov_b32 v26, v25 :: v_dual_add_nc_u32 v15, 0xffffff88, v15
	v_cmp_lt_u32_e32 vcc_lo, 63, v15
	v_mov_b32_e32 v27, v9
	v_cndmask_b32_e64 v17, 0, 0xffffffc0, vcc_lo
	s_delay_alu instid0(VALU_DEP_2) | instskip(SKIP_1) | instid1(VALU_DEP_3)
	v_mad_nc_u64_u32 v[8:9], 0xa2f9836e, v8, v[26:27]
	v_dual_cndmask_b32 v19, v24, v20, vcc_lo :: v_dual_cndmask_b32 v21, v22, v18, vcc_lo
	v_dual_cndmask_b32 v16, v20, v16 :: v_dual_add_nc_u32 v15, v17, v15
	v_cndmask_b32_e32 v14, v18, v14, vcc_lo
	s_delay_alu instid0(VALU_DEP_2) | instskip(SKIP_1) | instid1(VALU_DEP_2)
	v_cmp_lt_u32_e64 s0, 31, v15
	v_dual_cndmask_b32 v8, v8, v22 :: v_dual_cndmask_b32 v9, v9, v24
	v_cndmask_b32_e64 v17, 0, 0xffffffe0, s0
	s_delay_alu instid0(VALU_DEP_4) | instskip(NEXT) | instid1(VALU_DEP_2)
	v_dual_cndmask_b32 v20, v21, v16, s0 :: v_dual_cndmask_b32 v14, v16, v14, s0
	v_add_nc_u32_e32 v15, v17, v15
	s_delay_alu instid0(VALU_DEP_1) | instskip(NEXT) | instid1(VALU_DEP_1)
	v_cmp_lt_u32_e64 s1, 31, v15
	v_cndmask_b32_e64 v17, 0, 0xffffffe0, s1
	s_delay_alu instid0(VALU_DEP_1) | instskip(SKIP_1) | instid1(VALU_DEP_2)
	v_dual_cndmask_b32 v14, v20, v14, s1 :: v_dual_add_nc_u32 v15, v17, v15
	v_dual_cndmask_b32 v17, v8, v19, s0 :: v_dual_cndmask_b32 v8, v9, v8, s0
	v_dual_cndmask_b32 v9, v19, v21, s0 :: v_dual_sub_nc_u32 v19, 32, v15
	v_cmp_eq_u32_e32 vcc_lo, 0, v15
	s_delay_alu instid0(VALU_DEP_3) | instskip(NEXT) | instid1(VALU_DEP_3)
	v_cndmask_b32_e64 v8, v8, v17, s1
	v_cndmask_b32_e64 v17, v17, v9, s1
	;; [unrolled: 1-line block ×3, first 2 shown]
	s_delay_alu instid0(VALU_DEP_2) | instskip(NEXT) | instid1(VALU_DEP_2)
	v_alignbit_b32 v21, v8, v17, v19
	v_alignbit_b32 v18, v17, v9, v19
	v_alignbit_b32 v19, v9, v14, v19
	s_delay_alu instid0(VALU_DEP_2) | instskip(NEXT) | instid1(VALU_DEP_2)
	v_dual_cndmask_b32 v8, v21, v8 :: v_dual_cndmask_b32 v15, v18, v17
	v_cndmask_b32_e32 v9, v19, v9, vcc_lo
	s_delay_alu instid0(VALU_DEP_2) | instskip(NEXT) | instid1(VALU_DEP_3)
	v_bfe_u32 v16, v8, 29, 1
	v_alignbit_b32 v17, v8, v15, 30
	s_delay_alu instid0(VALU_DEP_3) | instskip(SKIP_1) | instid1(VALU_DEP_4)
	v_alignbit_b32 v15, v15, v9, 30
	v_alignbit_b32 v9, v9, v14, 30
	v_sub_nc_u32_e32 v18, 0, v16
	s_delay_alu instid0(VALU_DEP_1) | instskip(NEXT) | instid1(VALU_DEP_4)
	v_xor_b32_e32 v17, v17, v18
	v_xor_b32_e32 v14, v15, v18
	s_delay_alu instid0(VALU_DEP_4) | instskip(NEXT) | instid1(VALU_DEP_3)
	v_dual_lshrrev_b32 v18, 29, v8 :: v_dual_bitop2_b32 v9, v9, v18 bitop3:0x14
	v_clz_i32_u32_e32 v19, v17
	s_delay_alu instid0(VALU_DEP_1) | instskip(NEXT) | instid1(VALU_DEP_1)
	v_min_u32_e32 v19, 32, v19
	v_dual_sub_nc_u32 v15, 31, v19 :: v_dual_lshlrev_b32 v20, 23, v19
	s_delay_alu instid0(VALU_DEP_1) | instskip(SKIP_2) | instid1(VALU_DEP_2)
	v_alignbit_b32 v17, v17, v14, v15
	v_alignbit_b32 v9, v14, v9, v15
	v_lshlrev_b32_e32 v14, 31, v18
	v_alignbit_b32 v15, v17, v9, 9
	s_delay_alu instid0(VALU_DEP_2) | instskip(SKIP_1) | instid1(VALU_DEP_3)
	v_dual_lshrrev_b32 v17, 9, v17 :: v_dual_bitop2_b32 v18, 0.5, v14 bitop3:0x54
	v_or_b32_e32 v14, 0x33000000, v14
	v_clz_i32_u32_e32 v21, v15
	s_delay_alu instid0(VALU_DEP_3) | instskip(NEXT) | instid1(VALU_DEP_2)
	v_sub_nc_u32_e32 v18, v18, v20
	v_min_u32_e32 v20, 32, v21
	s_delay_alu instid0(VALU_DEP_1) | instskip(NEXT) | instid1(VALU_DEP_3)
	v_add_lshl_u32 v19, v20, v19, 23
	v_or_b32_e32 v17, v17, v18
	v_not_b32_e32 v18, v20
	s_delay_alu instid0(VALU_DEP_2) | instskip(NEXT) | instid1(VALU_DEP_2)
	v_dual_mul_f32 v21, 0x3fc90fda, v17 :: v_dual_sub_nc_u32 v14, v14, v19
	v_alignbit_b32 v9, v15, v9, v18
	s_delay_alu instid0(VALU_DEP_2) | instskip(NEXT) | instid1(VALU_DEP_2)
	v_fma_f32 v15, 0x3fc90fda, v17, -v21
	v_lshrrev_b32_e32 v9, 9, v9
	s_delay_alu instid0(VALU_DEP_2) | instskip(NEXT) | instid1(VALU_DEP_2)
	v_fmamk_f32 v15, v17, 0x33a22168, v15
	v_or_b32_e32 v9, v14, v9
	s_delay_alu instid0(VALU_DEP_1) | instskip(NEXT) | instid1(VALU_DEP_1)
	v_fmac_f32_e32 v15, 0x3fc90fda, v9
	v_dual_add_f32 v8, v21, v15 :: v_dual_lshrrev_b32 v9, 30, v8
	s_delay_alu instid0(VALU_DEP_1)
	v_add_nc_u32_e32 v15, v16, v9
.LBB9_11:
	s_and_not1_saveexec_b32 s0, s9
; %bb.12:
	v_mul_f32_e64 v8, 0x3f22f983, |v4|
	s_delay_alu instid0(VALU_DEP_1) | instskip(NEXT) | instid1(VALU_DEP_1)
	v_rndne_f32_e32 v9, v8
	v_fma_f32 v8, 0xbfc90fda, v9, |v4|
	v_cvt_i32_f32_e32 v15, v9
	s_delay_alu instid0(VALU_DEP_2) | instskip(NEXT) | instid1(VALU_DEP_1)
	v_fmamk_f32 v8, v9, 0xb3a22168, v8
	v_fmamk_f32 v8, v9, 0xa7c234c4, v8
; %bb.13:
	s_or_b32 exec_lo, exec_lo, s0
	v_and_b32_e32 v14, 0x7fffffff, v5
                                        ; implicit-def: $vgpr16
	s_mov_b32 s1, exec_lo
	v_cmpx_ngt_f32_e64 0x48000000, |v5|
	s_xor_b32 s9, exec_lo, s1
	s_cbranch_execz .LBB9_15
; %bb.14:
	s_mov_b32 s0, 0x7fffff
	v_mov_b32_e32 v17, 0
	v_and_or_b32 v16, v14, s0, 0x800000
	s_mov_b64 s[0:1], 0xfe5163ab
	v_lshrrev_b32_e32 v9, 23, v14
	s_delay_alu instid0(VALU_DEP_2) | instskip(NEXT) | instid1(VALU_DEP_1)
	v_mul_u64_e32 v[18:19], s[0:1], v[16:17]
	v_dual_mov_b32 v20, v19 :: v_dual_mov_b32 v21, v17
	v_dual_mov_b32 v23, v17 :: v_dual_mov_b32 v25, v17
	;; [unrolled: 1-line block ×3, first 2 shown]
	s_delay_alu instid0(VALU_DEP_3) | instskip(NEXT) | instid1(VALU_DEP_1)
	v_mad_nc_u64_u32 v[20:21], 0x3c439041, v16, v[20:21]
	v_mov_b32_e32 v22, v21
	s_delay_alu instid0(VALU_DEP_1) | instskip(NEXT) | instid1(VALU_DEP_1)
	v_mad_nc_u64_u32 v[22:23], 0xdb629599, v16, v[22:23]
	v_mov_b32_e32 v24, v23
	s_delay_alu instid0(VALU_DEP_1) | instskip(NEXT) | instid1(VALU_DEP_1)
	;; [unrolled: 3-line block ×3, first 2 shown]
	v_mad_nc_u64_u32 v[26:27], 0xfc2757d1, v16, v[26:27]
	v_dual_mov_b32 v29, v17 :: v_dual_mov_b32 v28, v27
	s_delay_alu instid0(VALU_DEP_1) | instskip(NEXT) | instid1(VALU_DEP_1)
	v_mad_nc_u64_u32 v[28:29], 0x4e441529, v16, v[28:29]
	v_dual_mov_b32 v30, v29 :: v_dual_add_nc_u32 v9, 0xffffff88, v9
	s_delay_alu instid0(VALU_DEP_1) | instskip(NEXT) | instid1(VALU_DEP_2)
	v_cmp_lt_u32_e32 vcc_lo, 63, v9
	v_mad_nc_u64_u32 v[16:17], 0xa2f9836e, v16, v[30:31]
	v_cndmask_b32_e64 v19, 0, 0xffffffc0, vcc_lo
	v_dual_cndmask_b32 v21, v28, v24 :: v_dual_cndmask_b32 v18, v22, v18
	s_delay_alu instid0(VALU_DEP_2) | instskip(NEXT) | instid1(VALU_DEP_1)
	v_add_nc_u32_e32 v9, v19, v9
	v_cmp_lt_u32_e64 s0, 31, v9
	v_dual_cndmask_b32 v16, v16, v26 :: v_dual_cndmask_b32 v17, v17, v28
	s_delay_alu instid0(VALU_DEP_2) | instskip(NEXT) | instid1(VALU_DEP_1)
	v_cndmask_b32_e64 v19, 0, 0xffffffe0, s0
	v_add_nc_u32_e32 v9, v19, v9
	s_delay_alu instid0(VALU_DEP_1) | instskip(NEXT) | instid1(VALU_DEP_1)
	v_cmp_lt_u32_e64 s1, 31, v9
	v_cndmask_b32_e64 v19, 0, 0xffffffe0, s1
	s_delay_alu instid0(VALU_DEP_1) | instskip(SKIP_2) | instid1(VALU_DEP_3)
	v_dual_cndmask_b32 v23, v26, v22, vcc_lo :: v_dual_add_nc_u32 v9, v19, v9
	v_cndmask_b32_e32 v19, v24, v20, vcc_lo
	v_dual_cndmask_b32 v20, v16, v21, s0 :: v_dual_cndmask_b32 v16, v17, v16, s0
	v_dual_cndmask_b32 v17, v21, v23, s0 :: v_dual_sub_nc_u32 v21, 32, v9
	s_delay_alu instid0(VALU_DEP_3) | instskip(SKIP_1) | instid1(VALU_DEP_4)
	v_cndmask_b32_e64 v23, v23, v19, s0
	v_cmp_eq_u32_e32 vcc_lo, 0, v9
	v_cndmask_b32_e64 v16, v16, v20, s1
	s_delay_alu instid0(VALU_DEP_3) | instskip(NEXT) | instid1(VALU_DEP_1)
	v_dual_cndmask_b32 v20, v20, v17, s1 :: v_dual_cndmask_b32 v17, v17, v23, s1
	v_alignbit_b32 v24, v16, v20, v21
	s_delay_alu instid0(VALU_DEP_2) | instskip(NEXT) | instid1(VALU_DEP_2)
	v_alignbit_b32 v22, v20, v17, v21
	v_dual_cndmask_b32 v9, v24, v16, vcc_lo :: v_dual_cndmask_b32 v16, v19, v18, s0
	s_delay_alu instid0(VALU_DEP_1) | instskip(NEXT) | instid1(VALU_DEP_1)
	v_bfe_u32 v19, v9, 29, 1
	v_dual_cndmask_b32 v18, v22, v20, vcc_lo :: v_dual_sub_nc_u32 v22, 0, v19
	s_delay_alu instid0(VALU_DEP_1) | instskip(NEXT) | instid1(VALU_DEP_1)
	v_alignbit_b32 v20, v9, v18, 30
	v_dual_cndmask_b32 v16, v23, v16, s1 :: v_dual_bitop2_b32 v20, v20, v22 bitop3:0x14
	s_delay_alu instid0(VALU_DEP_1) | instskip(NEXT) | instid1(VALU_DEP_1)
	v_alignbit_b32 v21, v17, v16, v21
	v_cndmask_b32_e32 v17, v21, v17, vcc_lo
	s_delay_alu instid0(VALU_DEP_3) | instskip(NEXT) | instid1(VALU_DEP_2)
	v_clz_i32_u32_e32 v21, v20
	v_alignbit_b32 v16, v17, v16, 30
	s_delay_alu instid0(VALU_DEP_2) | instskip(NEXT) | instid1(VALU_DEP_2)
	v_min_u32_e32 v21, 32, v21
	v_xor_b32_e32 v16, v16, v22
	v_alignbit_b32 v18, v18, v17, 30
	s_delay_alu instid0(VALU_DEP_1) | instskip(SKIP_1) | instid1(VALU_DEP_1)
	v_dual_lshlrev_b32 v23, 23, v21 :: v_dual_bitop2_b32 v17, v18, v22 bitop3:0x14
	v_sub_nc_u32_e32 v18, 31, v21
	v_alignbit_b32 v20, v20, v17, v18
	v_lshrrev_b32_e32 v22, 29, v9
	v_alignbit_b32 v16, v17, v16, v18
	s_delay_alu instid0(VALU_DEP_1) | instskip(NEXT) | instid1(VALU_DEP_3)
	v_alignbit_b32 v18, v20, v16, 9
	v_dual_lshrrev_b32 v20, 9, v20 :: v_dual_lshlrev_b32 v17, 31, v22
	s_delay_alu instid0(VALU_DEP_2) | instskip(NEXT) | instid1(VALU_DEP_2)
	v_clz_i32_u32_e32 v24, v18
	v_or_b32_e32 v22, 0.5, v17
	v_or_b32_e32 v17, 0x33000000, v17
	s_delay_alu instid0(VALU_DEP_2) | instskip(NEXT) | instid1(VALU_DEP_4)
	v_sub_nc_u32_e32 v22, v22, v23
	v_min_u32_e32 v23, 32, v24
	s_delay_alu instid0(VALU_DEP_1) | instskip(NEXT) | instid1(VALU_DEP_1)
	v_add_lshl_u32 v21, v23, v21, 23
	v_dual_sub_nc_u32 v17, v17, v21 :: v_dual_bitop2_b32 v20, v20, v22 bitop3:0x54
	v_not_b32_e32 v22, v23
	s_delay_alu instid0(VALU_DEP_2) | instskip(NEXT) | instid1(VALU_DEP_2)
	v_mul_f32_e32 v24, 0x3fc90fda, v20
	v_alignbit_b32 v16, v18, v16, v22
	s_delay_alu instid0(VALU_DEP_2) | instskip(NEXT) | instid1(VALU_DEP_2)
	v_fma_f32 v18, 0x3fc90fda, v20, -v24
	v_lshrrev_b32_e32 v16, 9, v16
	s_delay_alu instid0(VALU_DEP_2) | instskip(NEXT) | instid1(VALU_DEP_2)
	v_fmamk_f32 v18, v20, 0x33a22168, v18
	v_or_b32_e32 v16, v17, v16
	s_delay_alu instid0(VALU_DEP_1) | instskip(NEXT) | instid1(VALU_DEP_1)
	v_fmac_f32_e32 v18, 0x3fc90fda, v16
	v_dual_add_f32 v9, v24, v18 :: v_dual_lshrrev_b32 v16, 30, v9
	s_delay_alu instid0(VALU_DEP_1)
	v_add_nc_u32_e32 v16, v19, v16
.LBB9_15:
	s_and_not1_saveexec_b32 s0, s9
; %bb.16:
	v_mul_f32_e64 v9, 0x3f22f983, |v5|
	s_delay_alu instid0(VALU_DEP_1) | instskip(NEXT) | instid1(VALU_DEP_1)
	v_rndne_f32_e32 v16, v9
	v_fma_f32 v9, 0xbfc90fda, v16, |v5|
	s_delay_alu instid0(VALU_DEP_1) | instskip(NEXT) | instid1(VALU_DEP_1)
	v_fmamk_f32 v9, v16, 0xb3a22168, v9
	v_fmamk_f32 v9, v16, 0xa7c234c4, v9
	v_cvt_i32_f32_e32 v16, v16
; %bb.17:
	s_or_b32 exec_lo, exec_lo, s0
	v_pk_mul_f32 v[18:19], v[6:7], v[6:7]
	s_mov_b32 s0, 0x3c0881c4
	s_mov_b32 s12, 0xb94c1982
	;; [unrolled: 1-line block ×4, first 2 shown]
	v_dual_lshlrev_b32 v26, 30, v16 :: v_dual_lshlrev_b32 v27, 30, v15
	v_dual_lshlrev_b32 v23, 30, v10 :: v_dual_bitop2_b32 v15, 1, v15 bitop3:0x40
	v_and_b32_e32 v29, 1, v10
	v_xor_b32_e32 v30, v11, v3
	v_pk_fma_f32 v[10:11], v[18:19], s[12:13], s[0:1] op_sel_hi:[1,0,0]
	v_pk_fma_f32 v[20:21], v[18:19], s[16:17], s[14:15] op_sel_hi:[1,0,0]
	s_mov_b32 s18, 0xbe2aaa9d
	s_mov_b32 s20, 0x3d2aabf7
	;; [unrolled: 1-line block ×3, first 2 shown]
	v_pk_fma_f32 v[10:11], v[18:19], v[10:11], s[18:19] op_sel_hi:[1,1,0]
	v_pk_fma_f32 v[20:21], v[18:19], v[20:21], s[20:21] op_sel_hi:[1,1,0]
	v_dual_lshlrev_b32 v22, 30, v13 :: v_dual_bitop2_b32 v28, 1, v16 bitop3:0x40
	v_pk_mul_f32 v[16:17], v[8:9], v[8:9]
	s_delay_alu instid0(VALU_DEP_4) | instskip(NEXT) | instid1(VALU_DEP_4)
	v_pk_mul_f32 v[10:11], v[18:19], v[10:11]
	v_pk_fma_f32 v[20:21], v[18:19], v[20:21], s[22:23] op_sel_hi:[1,1,0]
	v_and_b32_e32 v32, 0x80000000, v23
	v_and_b32_e32 v31, 0x80000000, v22
	v_pk_fma_f32 v[22:23], v[16:17], s[12:13], s[0:1] op_sel_hi:[1,0,0]
	v_pk_fma_f32 v[6:7], v[6:7], v[10:11], v[6:7]
	v_pk_fma_f32 v[10:11], v[18:19], v[20:21], 1.0 op_sel_hi:[1,1,0]
	v_and_b32_e32 v13, 1, v13
	v_pk_fma_f32 v[24:25], v[16:17], s[16:17], s[14:15] op_sel_hi:[1,0,0]
	v_pk_fma_f32 v[18:19], v[16:17], v[22:23], s[18:19] op_sel_hi:[1,1,0]
	v_xor_b32_e32 v1, v1, v2
	v_xor_b32_e32 v14, v14, v5
	v_cmp_eq_u32_e32 vcc_lo, 0, v13
	v_pk_fma_f32 v[20:21], v[16:17], v[24:25], s[20:21] op_sel_hi:[1,1,0]
	v_pk_mul_f32 v[18:19], v[16:17], v[18:19]
	v_xor_b32_e32 v1, v1, v32
	v_and_b32_e32 v13, 0x80000000, v26
	v_cndmask_b32_e32 v7, v11, v7, vcc_lo
	v_cmp_eq_u32_e32 vcc_lo, 0, v29
	v_pk_fma_f32 v[20:21], v[16:17], v[20:21], s[22:23] op_sel_hi:[1,1,0]
	v_xor_b32_e32 v12, v12, v4
	s_add_nc_u64 s[2:3], s[4:5], s[2:3]
	s_mov_b32 s0, 0
	v_cndmask_b32_e32 v10, v10, v6, vcc_lo
	v_xor_b32_e32 v30, v30, v31
	v_cmp_eq_u32_e32 vcc_lo, 0, v28
	s_delay_alu instid0(VALU_DEP_3) | instskip(NEXT) | instid1(VALU_DEP_3)
	v_xor_b32_e32 v1, v1, v10
	v_xor_b32_e32 v11, v30, v7
	v_pk_fma_f32 v[6:7], v[8:9], v[18:19], v[8:9]
	v_pk_fma_f32 v[8:9], v[16:17], v[20:21], 1.0 op_sel_hi:[1,1,0]
	v_and_b32_e32 v16, 0x80000000, v27
	s_delay_alu instid0(VALU_DEP_2) | instskip(SKIP_1) | instid1(VALU_DEP_3)
	v_cndmask_b32_e32 v7, v9, v7, vcc_lo
	v_cmp_eq_u32_e32 vcc_lo, 0, v15
	v_xor_b32_e32 v9, v12, v16
	v_cndmask_b32_e32 v6, v8, v6, vcc_lo
	v_cmp_class_f32_e64 vcc_lo, v3, 0x1f8
	v_xor_b32_e32 v8, v14, v13
	s_delay_alu instid0(VALU_DEP_3) | instskip(SKIP_2) | instid1(VALU_DEP_4)
	v_xor_b32_e32 v6, v9, v6
	v_cndmask_b32_e32 v3, 0x7fc00000, v11, vcc_lo
	v_cmp_class_f32_e64 vcc_lo, v2, 0x1f8
	v_xor_b32_e32 v7, v8, v7
	v_cndmask_b32_e32 v2, 0x7fc00000, v1, vcc_lo
	v_cmp_class_f32_e64 vcc_lo, v5, 0x1f8
	s_delay_alu instid0(VALU_DEP_3)
	v_cndmask_b32_e32 v5, 0x7fc00000, v7, vcc_lo
	v_cmp_class_f32_e64 vcc_lo, v4, 0x1f8
	v_cndmask_b32_e32 v4, 0x7fc00000, v6, vcc_lo
	global_store_b128 v0, v[2:5], s[2:3] scale_offset
.LBB9_18:
	s_and_b32 vcc_lo, exec_lo, s0
	s_cbranch_vccz .LBB9_51
; %bb.19:
	v_cmp_gt_i32_e32 vcc_lo, s10, v0
	s_wait_xcnt 0x0
	v_dual_mov_b32 v9, 0 :: v_dual_bitop2_b32 v5, s8, v0 bitop3:0x54
	v_or_b32_e32 v6, 0x100, v0
	v_dual_mov_b32 v10, 0 :: v_dual_mov_b32 v1, v0
	s_and_saveexec_b32 s0, vcc_lo
	s_cbranch_execz .LBB9_21
; %bb.20:
	global_load_b32 v10, v5, s[6:7] scale_offset
	v_or_b32_e32 v1, 0x100, v0
.LBB9_21:
	s_wait_xcnt 0x0
	s_or_b32 exec_lo, exec_lo, s0
	s_delay_alu instid0(SALU_CYCLE_1) | instskip(NEXT) | instid1(VALU_DEP_1)
	s_mov_b32 s1, exec_lo
	v_cmpx_gt_i32_e64 s10, v1
	s_cbranch_execz .LBB9_23
; %bb.22:
	v_add_nc_u32_e32 v2, s8, v1
	v_add_nc_u32_e32 v1, 0x100, v1
	global_load_b32 v9, v2, s[6:7] scale_offset
.LBB9_23:
	s_wait_xcnt 0x0
	s_or_b32 exec_lo, exec_lo, s1
	v_dual_mov_b32 v7, 0 :: v_dual_mov_b32 v8, 0
	s_mov_b32 s1, exec_lo
	v_cmpx_gt_i32_e64 s10, v1
	s_cbranch_execz .LBB9_25
; %bb.24:
	v_add_nc_u32_e32 v2, s8, v1
	v_add_nc_u32_e32 v1, 0x100, v1
	global_load_b32 v8, v2, s[6:7] scale_offset
.LBB9_25:
	s_wait_xcnt 0x0
	s_or_b32 exec_lo, exec_lo, s1
	s_delay_alu instid0(SALU_CYCLE_1)
	s_mov_b32 s1, exec_lo
	v_cmpx_gt_i32_e64 s10, v1
	s_cbranch_execz .LBB9_27
; %bb.26:
	v_add_nc_u32_e32 v1, s8, v1
	global_load_b32 v7, v1, s[6:7] scale_offset
.LBB9_27:
	s_wait_xcnt 0x0
	s_or_b32 exec_lo, exec_lo, s1
	v_mov_b32_e32 v2, 0
	s_delay_alu instid0(VALU_DEP_1)
	v_dual_mov_b32 v1, v2 :: v_dual_mov_b32 v4, v2
	v_mov_b32_e32 v3, v2
	s_and_saveexec_b32 s3, vcc_lo
	s_cbranch_execz .LBB9_33
; %bb.28:
	s_wait_loadcnt 0x0
	v_and_b32_e32 v1, 0x7fffffff, v10
                                        ; implicit-def: $vgpr3
                                        ; implicit-def: $vgpr2
	s_mov_b32 s1, exec_lo
	v_cmpx_ngt_f32_e64 0x48000000, |v10|
	s_xor_b32 s6, exec_lo, s1
	s_cbranch_execz .LBB9_30
; %bb.29:
	s_mov_b32 s0, 0x7fffff
	v_mov_b32_e32 v3, 0
	v_and_or_b32 v2, v1, s0, 0x800000
	s_mov_b64 s[0:1], 0xfe5163ab
	v_lshrrev_b32_e32 v4, 23, v1
	s_delay_alu instid0(VALU_DEP_2) | instskip(NEXT) | instid1(VALU_DEP_1)
	v_mul_u64_e32 v[12:13], s[0:1], v[2:3]
	v_dual_mov_b32 v14, v13 :: v_dual_mov_b32 v15, v3
	v_dual_mov_b32 v17, v3 :: v_dual_mov_b32 v19, v3
	s_delay_alu instid0(VALU_DEP_4) | instskip(SKIP_1) | instid1(VALU_DEP_4)
	v_dual_mov_b32 v21, v3 :: v_dual_add_nc_u32 v4, 0xffffff88, v4
	v_mov_b32_e32 v25, v3
	v_mad_nc_u64_u32 v[14:15], 0x3c439041, v2, v[14:15]
	s_delay_alu instid0(VALU_DEP_3) | instskip(NEXT) | instid1(VALU_DEP_1)
	v_cmp_lt_u32_e64 s0, 63, v4
	v_cndmask_b32_e64 v11, 0, 0xffffffc0, s0
	s_delay_alu instid0(VALU_DEP_3) | instskip(NEXT) | instid1(VALU_DEP_1)
	v_mov_b32_e32 v16, v15
	v_mad_nc_u64_u32 v[16:17], 0xdb629599, v2, v[16:17]
	s_delay_alu instid0(VALU_DEP_1) | instskip(NEXT) | instid1(VALU_DEP_1)
	v_dual_mov_b32 v18, v17 :: v_dual_cndmask_b32 v12, v16, v12, s0
	v_mad_nc_u64_u32 v[18:19], 0xf534ddc0, v2, v[18:19]
	s_delay_alu instid0(VALU_DEP_1) | instskip(NEXT) | instid1(VALU_DEP_1)
	v_mov_b32_e32 v20, v19
	v_mad_nc_u64_u32 v[20:21], 0xfc2757d1, v2, v[20:21]
	s_delay_alu instid0(VALU_DEP_1) | instskip(NEXT) | instid1(VALU_DEP_2)
	v_dual_mov_b32 v23, v3 :: v_dual_mov_b32 v22, v21
	v_cndmask_b32_e64 v15, v20, v16, s0
	s_delay_alu instid0(VALU_DEP_2) | instskip(NEXT) | instid1(VALU_DEP_1)
	v_mad_nc_u64_u32 v[22:23], 0x4e441529, v2, v[22:23]
	v_dual_add_nc_u32 v4, v11, v4 :: v_dual_cndmask_b32 v13, v22, v18, s0
	s_delay_alu instid0(VALU_DEP_1) | instskip(NEXT) | instid1(VALU_DEP_3)
	v_cmp_lt_u32_e64 s1, 31, v4
	v_mov_b32_e32 v24, v23
	s_delay_alu instid0(VALU_DEP_2) | instskip(NEXT) | instid1(VALU_DEP_2)
	v_cndmask_b32_e64 v11, 0, 0xffffffe0, s1
	v_mad_nc_u64_u32 v[2:3], 0xa2f9836e, v2, v[24:25]
	s_delay_alu instid0(VALU_DEP_2) | instskip(NEXT) | instid1(VALU_DEP_1)
	v_add_nc_u32_e32 v4, v11, v4
	v_cmp_lt_u32_e64 s2, 31, v4
	s_delay_alu instid0(VALU_DEP_3) | instskip(NEXT) | instid1(VALU_DEP_2)
	v_dual_cndmask_b32 v2, v2, v20, s0 :: v_dual_cndmask_b32 v3, v3, v22, s0
	v_cndmask_b32_e64 v11, 0, 0xffffffe0, s2
	s_delay_alu instid0(VALU_DEP_1) | instskip(NEXT) | instid1(VALU_DEP_3)
	v_dual_add_nc_u32 v4, v11, v4 :: v_dual_cndmask_b32 v11, v18, v14, s0
	v_dual_cndmask_b32 v14, v2, v13, s1 :: v_dual_cndmask_b32 v2, v3, v2, s1
	s_delay_alu instid0(VALU_DEP_2) | instskip(NEXT) | instid1(VALU_DEP_3)
	v_dual_cndmask_b32 v3, v13, v15, s1 :: v_dual_sub_nc_u32 v13, 32, v4
	v_cndmask_b32_e64 v15, v15, v11, s1
	v_cmp_eq_u32_e64 s0, 0, v4
	s_delay_alu instid0(VALU_DEP_4) | instskip(NEXT) | instid1(VALU_DEP_4)
	v_cndmask_b32_e64 v2, v2, v14, s2
	v_dual_cndmask_b32 v14, v14, v3, s2 :: v_dual_cndmask_b32 v4, v11, v12, s1
	s_delay_alu instid0(VALU_DEP_4) | instskip(NEXT) | instid1(VALU_DEP_2)
	v_cndmask_b32_e64 v3, v3, v15, s2
	v_alignbit_b32 v17, v2, v14, v13
	s_delay_alu instid0(VALU_DEP_3) | instskip(NEXT) | instid1(VALU_DEP_3)
	v_cndmask_b32_e64 v4, v15, v4, s2
	v_alignbit_b32 v16, v14, v3, v13
	s_delay_alu instid0(VALU_DEP_3) | instskip(NEXT) | instid1(VALU_DEP_3)
	;; [unrolled: 3-line block ×3, first 2 shown]
	v_cndmask_b32_e64 v11, v16, v14, s0
	v_bfe_u32 v12, v2, 29, 1
	s_delay_alu instid0(VALU_DEP_3) | instskip(NEXT) | instid1(VALU_DEP_3)
	v_cndmask_b32_e64 v3, v13, v3, s0
	v_alignbit_b32 v14, v2, v11, 30
	s_delay_alu instid0(VALU_DEP_3) | instskip(NEXT) | instid1(VALU_DEP_3)
	v_sub_nc_u32_e32 v15, 0, v12
	v_alignbit_b32 v11, v11, v3, 30
	v_alignbit_b32 v3, v3, v4, 30
	s_delay_alu instid0(VALU_DEP_3) | instskip(NEXT) | instid1(VALU_DEP_3)
	v_xor_b32_e32 v14, v14, v15
	v_xor_b32_e32 v4, v11, v15
	s_delay_alu instid0(VALU_DEP_3) | instskip(NEXT) | instid1(VALU_DEP_3)
	v_dual_lshrrev_b32 v15, 29, v2 :: v_dual_bitop2_b32 v3, v3, v15 bitop3:0x14
	v_clz_i32_u32_e32 v13, v14
	s_delay_alu instid0(VALU_DEP_1) | instskip(NEXT) | instid1(VALU_DEP_1)
	v_min_u32_e32 v13, 32, v13
	v_dual_sub_nc_u32 v11, 31, v13 :: v_dual_lshlrev_b32 v16, 23, v13
	s_delay_alu instid0(VALU_DEP_1) | instskip(SKIP_2) | instid1(VALU_DEP_2)
	v_alignbit_b32 v14, v14, v4, v11
	v_alignbit_b32 v3, v4, v3, v11
	v_lshlrev_b32_e32 v4, 31, v15
	v_alignbit_b32 v11, v14, v3, 9
	s_delay_alu instid0(VALU_DEP_2) | instskip(SKIP_1) | instid1(VALU_DEP_3)
	v_dual_lshrrev_b32 v14, 9, v14 :: v_dual_bitop2_b32 v15, 0.5, v4 bitop3:0x54
	v_or_b32_e32 v4, 0x33000000, v4
	v_clz_i32_u32_e32 v17, v11
	s_delay_alu instid0(VALU_DEP_3) | instskip(NEXT) | instid1(VALU_DEP_2)
	v_sub_nc_u32_e32 v15, v15, v16
	v_min_u32_e32 v16, 32, v17
	s_delay_alu instid0(VALU_DEP_1) | instskip(NEXT) | instid1(VALU_DEP_3)
	v_add_lshl_u32 v13, v16, v13, 23
	v_or_b32_e32 v14, v14, v15
	v_not_b32_e32 v15, v16
	s_delay_alu instid0(VALU_DEP_2) | instskip(NEXT) | instid1(VALU_DEP_2)
	v_dual_mul_f32 v17, 0x3fc90fda, v14 :: v_dual_sub_nc_u32 v4, v4, v13
	v_alignbit_b32 v3, v11, v3, v15
	s_delay_alu instid0(VALU_DEP_2) | instskip(NEXT) | instid1(VALU_DEP_2)
	v_fma_f32 v11, 0x3fc90fda, v14, -v17
	v_lshrrev_b32_e32 v3, 9, v3
	s_delay_alu instid0(VALU_DEP_2) | instskip(NEXT) | instid1(VALU_DEP_2)
	v_fmamk_f32 v11, v14, 0x33a22168, v11
	v_or_b32_e32 v3, v4, v3
	s_delay_alu instid0(VALU_DEP_1) | instskip(NEXT) | instid1(VALU_DEP_1)
	v_fmac_f32_e32 v11, 0x3fc90fda, v3
	v_dual_add_f32 v2, v17, v11 :: v_dual_lshrrev_b32 v3, 30, v2
	s_delay_alu instid0(VALU_DEP_1)
	v_add_nc_u32_e32 v3, v12, v3
.LBB9_30:
	s_and_not1_saveexec_b32 s0, s6
; %bb.31:
	v_mul_f32_e64 v2, 0x3f22f983, |v10|
	s_delay_alu instid0(VALU_DEP_1) | instskip(NEXT) | instid1(VALU_DEP_1)
	v_rndne_f32_e32 v3, v2
	v_fma_f32 v2, 0xbfc90fda, v3, |v10|
	s_delay_alu instid0(VALU_DEP_1) | instskip(NEXT) | instid1(VALU_DEP_1)
	v_fmamk_f32 v2, v3, 0xb3a22168, v2
	v_fmamk_f32 v2, v3, 0xa7c234c4, v2
	v_cvt_i32_f32_e32 v3, v3
; %bb.32:
	s_or_b32 exec_lo, exec_lo, s0
	s_delay_alu instid0(VALU_DEP_1) | instskip(SKIP_3) | instid1(VALU_DEP_2)
	v_dual_mul_f32 v4, v2, v2 :: v_dual_bitop2_b32 v13, 1, v3 bitop3:0x40
	s_mov_b32 s0, 0xb94c1982
	s_mov_b32 s1, 0x37d75334
	v_lshlrev_b32_e32 v3, 30, v3
	v_fmaak_f32 v11, s0, v4, 0x3c0881c4
	v_cmp_eq_u32_e64 s0, 0, v13
	s_delay_alu instid0(VALU_DEP_3) | instskip(NEXT) | instid1(VALU_DEP_3)
	v_and_b32_e32 v3, 0x80000000, v3
	v_fmaak_f32 v11, v4, v11, 0xbe2aaa9d
	s_delay_alu instid0(VALU_DEP_1) | instskip(NEXT) | instid1(VALU_DEP_1)
	v_dual_fmaak_f32 v12, s1, v4, 0xbab64f3b :: v_dual_mul_f32 v11, v4, v11
	v_fmaak_f32 v12, v4, v12, 0x3d2aabf7
	s_delay_alu instid0(VALU_DEP_2) | instskip(NEXT) | instid1(VALU_DEP_2)
	v_dual_fmac_f32 v2, v2, v11 :: v_dual_bitop2_b32 v11, v1, v10 bitop3:0x14
	v_dual_fmaak_f32 v12, v4, v12, 0xbf000004 :: v_dual_mov_b32 v1, 0
	s_delay_alu instid0(VALU_DEP_1) | instskip(NEXT) | instid1(VALU_DEP_1)
	v_fma_f32 v4, v4, v12, 1.0
	v_cndmask_b32_e64 v2, v4, v2, s0
	v_cmp_class_f32_e64 s0, v10, 0x1f8
	s_delay_alu instid0(VALU_DEP_4) | instskip(NEXT) | instid1(VALU_DEP_3)
	v_mov_b32_e32 v4, v1
	v_xor3_b32 v2, v11, v3, v2
	v_mov_b32_e32 v3, v1
	s_delay_alu instid0(VALU_DEP_2)
	v_cndmask_b32_e64 v2, 0x7fc00000, v2, s0
.LBB9_33:
	s_or_b32 exec_lo, exec_lo, s3
	s_delay_alu instid0(SALU_CYCLE_1)
	s_mov_b32 s3, exec_lo
	v_cmpx_gt_i32_e64 s10, v6
	s_cbranch_execz .LBB9_39
; %bb.34:
	s_wait_loadcnt 0x0
	v_and_b32_e32 v1, 0x7fffffff, v9
                                        ; implicit-def: $vgpr11
                                        ; implicit-def: $vgpr10
	s_mov_b32 s1, exec_lo
	v_cmpx_ngt_f32_e64 0x48000000, |v9|
	s_xor_b32 s6, exec_lo, s1
	s_cbranch_execz .LBB9_36
; %bb.35:
	s_mov_b32 s0, 0x7fffff
	v_mov_b32_e32 v11, 0
	v_and_or_b32 v10, v1, s0, 0x800000
	s_mov_b64 s[0:1], 0xfe5163ab
	s_delay_alu instid0(VALU_DEP_1) | instid1(SALU_CYCLE_1)
	v_mul_u64_e32 v[12:13], s[0:1], v[10:11]
	s_delay_alu instid0(VALU_DEP_1) | instskip(SKIP_2) | instid1(VALU_DEP_3)
	v_dual_mov_b32 v14, v13 :: v_dual_mov_b32 v15, v11
	v_dual_mov_b32 v17, v11 :: v_dual_mov_b32 v19, v11
	v_dual_mov_b32 v21, v11 :: v_dual_lshrrev_b32 v13, 23, v1
	v_mad_nc_u64_u32 v[14:15], 0x3c439041, v10, v[14:15]
	s_delay_alu instid0(VALU_DEP_1) | instskip(NEXT) | instid1(VALU_DEP_1)
	v_mov_b32_e32 v16, v15
	v_mad_nc_u64_u32 v[16:17], 0xdb629599, v10, v[16:17]
	s_delay_alu instid0(VALU_DEP_1) | instskip(NEXT) | instid1(VALU_DEP_1)
	v_mov_b32_e32 v18, v17
	;; [unrolled: 3-line block ×3, first 2 shown]
	v_mad_nc_u64_u32 v[20:21], 0xfc2757d1, v10, v[20:21]
	s_delay_alu instid0(VALU_DEP_1) | instskip(NEXT) | instid1(VALU_DEP_1)
	v_dual_mov_b32 v23, v11 :: v_dual_mov_b32 v22, v21
	v_mad_nc_u64_u32 v[22:23], 0x4e441529, v10, v[22:23]
	s_delay_alu instid0(VALU_DEP_1) | instskip(NEXT) | instid1(VALU_DEP_1)
	v_dual_mov_b32 v24, v23 :: v_dual_add_nc_u32 v13, 0xffffff88, v13
	v_cmp_lt_u32_e64 s0, 63, v13
	v_mov_b32_e32 v25, v11
	s_delay_alu instid0(VALU_DEP_2) | instskip(NEXT) | instid1(VALU_DEP_2)
	v_cndmask_b32_e64 v15, 0, 0xffffffc0, s0
	v_mad_nc_u64_u32 v[10:11], 0xa2f9836e, v10, v[24:25]
	v_dual_cndmask_b32 v17, v22, v18, s0 :: v_dual_cndmask_b32 v19, v20, v16, s0
	s_delay_alu instid0(VALU_DEP_3) | instskip(SKIP_1) | instid1(VALU_DEP_2)
	v_dual_cndmask_b32 v14, v18, v14, s0 :: v_dual_add_nc_u32 v13, v15, v13
	v_cndmask_b32_e64 v12, v16, v12, s0
	v_cmp_lt_u32_e64 s1, 31, v13
	v_dual_cndmask_b32 v10, v10, v20, s0 :: v_dual_cndmask_b32 v11, v11, v22, s0
	s_delay_alu instid0(VALU_DEP_2) | instskip(NEXT) | instid1(VALU_DEP_4)
	v_cndmask_b32_e64 v15, 0, 0xffffffe0, s1
	v_dual_cndmask_b32 v18, v19, v14, s1 :: v_dual_cndmask_b32 v12, v14, v12, s1
	s_delay_alu instid0(VALU_DEP_2) | instskip(NEXT) | instid1(VALU_DEP_1)
	v_add_nc_u32_e32 v13, v15, v13
	v_cmp_lt_u32_e64 s2, 31, v13
	s_delay_alu instid0(VALU_DEP_1) | instskip(NEXT) | instid1(VALU_DEP_1)
	v_cndmask_b32_e64 v15, 0, 0xffffffe0, s2
	v_dual_cndmask_b32 v12, v18, v12, s2 :: v_dual_add_nc_u32 v13, v15, v13
	v_dual_cndmask_b32 v15, v10, v17, s1 :: v_dual_cndmask_b32 v10, v11, v10, s1
	s_delay_alu instid0(VALU_DEP_2) | instskip(SKIP_1) | instid1(VALU_DEP_3)
	v_dual_cndmask_b32 v11, v17, v19, s1 :: v_dual_sub_nc_u32 v17, 32, v13
	v_cmp_eq_u32_e64 s0, 0, v13
	v_cndmask_b32_e64 v10, v10, v15, s2
	s_delay_alu instid0(VALU_DEP_3) | instskip(SKIP_1) | instid1(VALU_DEP_2)
	v_cndmask_b32_e64 v15, v15, v11, s2
	v_cndmask_b32_e64 v11, v11, v18, s2
	v_alignbit_b32 v19, v10, v15, v17
	s_delay_alu instid0(VALU_DEP_2) | instskip(SKIP_1) | instid1(VALU_DEP_2)
	v_alignbit_b32 v16, v15, v11, v17
	v_alignbit_b32 v17, v11, v12, v17
	v_dual_cndmask_b32 v10, v19, v10, s0 :: v_dual_cndmask_b32 v13, v16, v15, s0
	s_delay_alu instid0(VALU_DEP_2) | instskip(NEXT) | instid1(VALU_DEP_2)
	v_cndmask_b32_e64 v11, v17, v11, s0
	v_bfe_u32 v14, v10, 29, 1
	s_delay_alu instid0(VALU_DEP_3) | instskip(NEXT) | instid1(VALU_DEP_3)
	v_alignbit_b32 v15, v10, v13, 30
	v_alignbit_b32 v13, v13, v11, 30
	;; [unrolled: 1-line block ×3, first 2 shown]
	s_delay_alu instid0(VALU_DEP_4) | instskip(NEXT) | instid1(VALU_DEP_1)
	v_sub_nc_u32_e32 v16, 0, v14
	v_xor_b32_e32 v15, v15, v16
	s_delay_alu instid0(VALU_DEP_4) | instskip(NEXT) | instid1(VALU_DEP_4)
	v_xor_b32_e32 v12, v13, v16
	v_dual_lshrrev_b32 v16, 29, v10 :: v_dual_bitop2_b32 v11, v11, v16 bitop3:0x14
	s_delay_alu instid0(VALU_DEP_3) | instskip(NEXT) | instid1(VALU_DEP_1)
	v_clz_i32_u32_e32 v17, v15
	v_min_u32_e32 v17, 32, v17
	s_delay_alu instid0(VALU_DEP_1) | instskip(NEXT) | instid1(VALU_DEP_1)
	v_dual_sub_nc_u32 v13, 31, v17 :: v_dual_lshlrev_b32 v18, 23, v17
	v_alignbit_b32 v15, v15, v12, v13
	v_alignbit_b32 v11, v12, v11, v13
	v_lshlrev_b32_e32 v12, 31, v16
	s_delay_alu instid0(VALU_DEP_2) | instskip(NEXT) | instid1(VALU_DEP_2)
	v_alignbit_b32 v13, v15, v11, 9
	v_dual_lshrrev_b32 v15, 9, v15 :: v_dual_bitop2_b32 v16, 0.5, v12 bitop3:0x54
	v_or_b32_e32 v12, 0x33000000, v12
	s_delay_alu instid0(VALU_DEP_3) | instskip(NEXT) | instid1(VALU_DEP_3)
	v_clz_i32_u32_e32 v19, v13
	v_sub_nc_u32_e32 v16, v16, v18
	s_delay_alu instid0(VALU_DEP_2) | instskip(NEXT) | instid1(VALU_DEP_1)
	v_min_u32_e32 v18, 32, v19
	v_add_lshl_u32 v17, v18, v17, 23
	s_delay_alu instid0(VALU_DEP_3) | instskip(SKIP_1) | instid1(VALU_DEP_2)
	v_or_b32_e32 v15, v15, v16
	v_not_b32_e32 v16, v18
	v_dual_mul_f32 v19, 0x3fc90fda, v15 :: v_dual_sub_nc_u32 v12, v12, v17
	s_delay_alu instid0(VALU_DEP_2) | instskip(NEXT) | instid1(VALU_DEP_2)
	v_alignbit_b32 v11, v13, v11, v16
	v_fma_f32 v13, 0x3fc90fda, v15, -v19
	s_delay_alu instid0(VALU_DEP_2) | instskip(NEXT) | instid1(VALU_DEP_2)
	v_lshrrev_b32_e32 v11, 9, v11
	v_fmamk_f32 v13, v15, 0x33a22168, v13
	s_delay_alu instid0(VALU_DEP_2) | instskip(NEXT) | instid1(VALU_DEP_1)
	v_or_b32_e32 v11, v12, v11
	v_fmac_f32_e32 v13, 0x3fc90fda, v11
	s_delay_alu instid0(VALU_DEP_1) | instskip(NEXT) | instid1(VALU_DEP_1)
	v_dual_add_f32 v10, v19, v13 :: v_dual_lshrrev_b32 v11, 30, v10
	v_add_nc_u32_e32 v11, v14, v11
.LBB9_36:
	s_and_not1_saveexec_b32 s0, s6
; %bb.37:
	v_mul_f32_e64 v10, 0x3f22f983, |v9|
	s_delay_alu instid0(VALU_DEP_1) | instskip(NEXT) | instid1(VALU_DEP_1)
	v_rndne_f32_e32 v11, v10
	v_fma_f32 v10, 0xbfc90fda, v11, |v9|
	s_delay_alu instid0(VALU_DEP_1) | instskip(NEXT) | instid1(VALU_DEP_1)
	v_fmamk_f32 v10, v11, 0xb3a22168, v10
	v_fmamk_f32 v10, v11, 0xa7c234c4, v10
	v_cvt_i32_f32_e32 v11, v11
; %bb.38:
	s_or_b32 exec_lo, exec_lo, s0
	s_delay_alu instid0(VALU_DEP_1) | instskip(SKIP_3) | instid1(VALU_DEP_2)
	v_dual_mul_f32 v12, v10, v10 :: v_dual_bitop2_b32 v15, 1, v11 bitop3:0x40
	s_mov_b32 s0, 0xb94c1982
	s_mov_b32 s1, 0x37d75334
	v_lshlrev_b32_e32 v11, 30, v11
	v_fmaak_f32 v13, s0, v12, 0x3c0881c4
	v_cmp_eq_u32_e64 s0, 0, v15
	v_xor_b32_e32 v1, v1, v9
	s_delay_alu instid0(VALU_DEP_4) | instskip(NEXT) | instid1(VALU_DEP_4)
	v_and_b32_e32 v11, 0x80000000, v11
	v_fmaak_f32 v13, v12, v13, 0xbe2aaa9d
	s_delay_alu instid0(VALU_DEP_1) | instskip(NEXT) | instid1(VALU_DEP_1)
	v_dual_fmaak_f32 v14, s1, v12, 0xbab64f3b :: v_dual_mul_f32 v13, v12, v13
	v_fmaak_f32 v14, v12, v14, 0x3d2aabf7
	s_delay_alu instid0(VALU_DEP_2) | instskip(NEXT) | instid1(VALU_DEP_2)
	v_fmac_f32_e32 v10, v10, v13
	v_fmaak_f32 v14, v12, v14, 0xbf000004
	s_delay_alu instid0(VALU_DEP_1) | instskip(NEXT) | instid1(VALU_DEP_1)
	v_fma_f32 v12, v12, v14, 1.0
	v_cndmask_b32_e64 v10, v12, v10, s0
	v_cmp_class_f32_e64 s0, v9, 0x1f8
	s_delay_alu instid0(VALU_DEP_2) | instskip(NEXT) | instid1(VALU_DEP_1)
	v_xor3_b32 v1, v1, v11, v10
	v_cndmask_b32_e64 v1, 0x7fc00000, v1, s0
.LBB9_39:
	s_or_b32 exec_lo, exec_lo, s3
	s_wait_loadcnt 0x0
	v_or_b32_e32 v9, 0x200, v0
	s_mov_b32 s3, exec_lo
	s_delay_alu instid0(VALU_DEP_1)
	v_cmpx_gt_i32_e64 s10, v9
	s_cbranch_execz .LBB9_45
; %bb.40:
	v_and_b32_e32 v4, 0x7fffffff, v8
                                        ; implicit-def: $vgpr10
                                        ; implicit-def: $vgpr9
	s_mov_b32 s1, exec_lo
	v_cmpx_ngt_f32_e64 0x48000000, |v8|
	s_xor_b32 s6, exec_lo, s1
	s_cbranch_execz .LBB9_42
; %bb.41:
	s_mov_b32 s0, 0x7fffff
	v_mov_b32_e32 v11, 0
	v_and_or_b32 v10, v4, s0, 0x800000
	s_mov_b64 s[0:1], 0xfe5163ab
	v_lshrrev_b32_e32 v9, 23, v4
	s_delay_alu instid0(VALU_DEP_2) | instskip(NEXT) | instid1(VALU_DEP_1)
	v_mul_u64_e32 v[12:13], s[0:1], v[10:11]
	v_dual_mov_b32 v14, v13 :: v_dual_mov_b32 v15, v11
	v_dual_mov_b32 v17, v11 :: v_dual_mov_b32 v19, v11
	v_dual_mov_b32 v21, v11 :: v_dual_mov_b32 v25, v11
	s_delay_alu instid0(VALU_DEP_3) | instskip(NEXT) | instid1(VALU_DEP_1)
	v_mad_nc_u64_u32 v[14:15], 0x3c439041, v10, v[14:15]
	v_mov_b32_e32 v16, v15
	s_delay_alu instid0(VALU_DEP_1) | instskip(NEXT) | instid1(VALU_DEP_1)
	v_mad_nc_u64_u32 v[16:17], 0xdb629599, v10, v[16:17]
	v_mov_b32_e32 v18, v17
	s_delay_alu instid0(VALU_DEP_1) | instskip(NEXT) | instid1(VALU_DEP_1)
	;; [unrolled: 3-line block ×3, first 2 shown]
	v_mad_nc_u64_u32 v[20:21], 0xfc2757d1, v10, v[20:21]
	v_dual_mov_b32 v23, v11 :: v_dual_mov_b32 v22, v21
	s_delay_alu instid0(VALU_DEP_1) | instskip(NEXT) | instid1(VALU_DEP_1)
	v_mad_nc_u64_u32 v[22:23], 0x4e441529, v10, v[22:23]
	v_dual_mov_b32 v24, v23 :: v_dual_add_nc_u32 v9, 0xffffff88, v9
	s_delay_alu instid0(VALU_DEP_1) | instskip(NEXT) | instid1(VALU_DEP_2)
	v_cmp_lt_u32_e64 s0, 63, v9
	v_mad_nc_u64_u32 v[10:11], 0xa2f9836e, v10, v[24:25]
	s_delay_alu instid0(VALU_DEP_2) | instskip(SKIP_1) | instid1(VALU_DEP_2)
	v_cndmask_b32_e64 v13, 0, 0xffffffc0, s0
	v_dual_cndmask_b32 v15, v22, v18, s0 :: v_dual_cndmask_b32 v12, v16, v12, s0
	v_add_nc_u32_e32 v9, v13, v9
	s_delay_alu instid0(VALU_DEP_1) | instskip(SKIP_1) | instid1(VALU_DEP_2)
	v_cmp_lt_u32_e64 s1, 31, v9
	v_dual_cndmask_b32 v10, v10, v20, s0 :: v_dual_cndmask_b32 v11, v11, v22, s0
	v_cndmask_b32_e64 v13, 0, 0xffffffe0, s1
	s_delay_alu instid0(VALU_DEP_1) | instskip(NEXT) | instid1(VALU_DEP_1)
	v_add_nc_u32_e32 v9, v13, v9
	v_cmp_lt_u32_e64 s2, 31, v9
	s_delay_alu instid0(VALU_DEP_1) | instskip(NEXT) | instid1(VALU_DEP_1)
	v_cndmask_b32_e64 v13, 0, 0xffffffe0, s2
	v_dual_cndmask_b32 v17, v20, v16, s0 :: v_dual_add_nc_u32 v9, v13, v9
	v_cndmask_b32_e64 v13, v18, v14, s0
	v_dual_cndmask_b32 v14, v10, v15, s1 :: v_dual_cndmask_b32 v10, v11, v10, s1
	s_delay_alu instid0(VALU_DEP_3) | instskip(NEXT) | instid1(VALU_DEP_4)
	v_cndmask_b32_e64 v11, v15, v17, s1
	v_sub_nc_u32_e32 v15, 32, v9
	s_delay_alu instid0(VALU_DEP_4) | instskip(SKIP_2) | instid1(VALU_DEP_3)
	v_cndmask_b32_e64 v17, v17, v13, s1
	v_cmp_eq_u32_e64 s0, 0, v9
	v_cndmask_b32_e64 v10, v10, v14, s2
	v_dual_cndmask_b32 v14, v14, v11, s2 :: v_dual_cndmask_b32 v11, v11, v17, s2
	s_delay_alu instid0(VALU_DEP_1) | instskip(NEXT) | instid1(VALU_DEP_2)
	v_alignbit_b32 v18, v10, v14, v15
	v_alignbit_b32 v16, v14, v11, v15
	s_delay_alu instid0(VALU_DEP_2) | instskip(NEXT) | instid1(VALU_DEP_1)
	v_dual_cndmask_b32 v9, v18, v10, s0 :: v_dual_cndmask_b32 v10, v13, v12, s1
	v_bfe_u32 v13, v9, 29, 1
	s_delay_alu instid0(VALU_DEP_1) | instskip(NEXT) | instid1(VALU_DEP_1)
	v_dual_cndmask_b32 v12, v16, v14, s0 :: v_dual_sub_nc_u32 v16, 0, v13
	v_alignbit_b32 v14, v9, v12, 30
	s_delay_alu instid0(VALU_DEP_1) | instskip(NEXT) | instid1(VALU_DEP_1)
	v_dual_cndmask_b32 v10, v17, v10, s2 :: v_dual_bitop2_b32 v14, v14, v16 bitop3:0x14
	v_alignbit_b32 v15, v11, v10, v15
	s_delay_alu instid0(VALU_DEP_1) | instskip(NEXT) | instid1(VALU_DEP_3)
	v_cndmask_b32_e64 v11, v15, v11, s0
	v_clz_i32_u32_e32 v15, v14
	s_delay_alu instid0(VALU_DEP_2) | instskip(NEXT) | instid1(VALU_DEP_2)
	v_alignbit_b32 v10, v11, v10, 30
	v_min_u32_e32 v15, 32, v15
	s_delay_alu instid0(VALU_DEP_2) | instskip(SKIP_1) | instid1(VALU_DEP_1)
	v_xor_b32_e32 v10, v10, v16
	v_alignbit_b32 v12, v12, v11, 30
	v_dual_lshlrev_b32 v17, 23, v15 :: v_dual_bitop2_b32 v11, v12, v16 bitop3:0x14
	v_dual_sub_nc_u32 v12, 31, v15 :: v_dual_lshrrev_b32 v16, 29, v9
	s_delay_alu instid0(VALU_DEP_1) | instskip(SKIP_1) | instid1(VALU_DEP_3)
	v_alignbit_b32 v14, v14, v11, v12
	v_alignbit_b32 v10, v11, v10, v12
	v_lshlrev_b32_e32 v11, 31, v16
	s_delay_alu instid0(VALU_DEP_2) | instskip(NEXT) | instid1(VALU_DEP_2)
	v_alignbit_b32 v12, v14, v10, 9
	v_dual_lshrrev_b32 v14, 9, v14 :: v_dual_bitop2_b32 v16, 0.5, v11 bitop3:0x54
	s_delay_alu instid0(VALU_DEP_2) | instskip(NEXT) | instid1(VALU_DEP_2)
	v_clz_i32_u32_e32 v18, v12
	v_sub_nc_u32_e32 v16, v16, v17
	v_or_b32_e32 v11, 0x33000000, v11
	s_delay_alu instid0(VALU_DEP_3) | instskip(NEXT) | instid1(VALU_DEP_1)
	v_min_u32_e32 v17, 32, v18
	v_add_lshl_u32 v15, v17, v15, 23
	s_delay_alu instid0(VALU_DEP_4) | instskip(SKIP_1) | instid1(VALU_DEP_2)
	v_or_b32_e32 v14, v14, v16
	v_not_b32_e32 v16, v17
	v_dual_mul_f32 v18, 0x3fc90fda, v14 :: v_dual_sub_nc_u32 v11, v11, v15
	s_delay_alu instid0(VALU_DEP_2) | instskip(NEXT) | instid1(VALU_DEP_2)
	v_alignbit_b32 v10, v12, v10, v16
	v_fma_f32 v12, 0x3fc90fda, v14, -v18
	s_delay_alu instid0(VALU_DEP_2) | instskip(NEXT) | instid1(VALU_DEP_2)
	v_lshrrev_b32_e32 v10, 9, v10
	v_fmamk_f32 v12, v14, 0x33a22168, v12
	s_delay_alu instid0(VALU_DEP_2) | instskip(NEXT) | instid1(VALU_DEP_1)
	v_or_b32_e32 v10, v11, v10
	v_fmac_f32_e32 v12, 0x3fc90fda, v10
	s_delay_alu instid0(VALU_DEP_1) | instskip(NEXT) | instid1(VALU_DEP_1)
	v_dual_add_f32 v9, v18, v12 :: v_dual_lshrrev_b32 v10, 30, v9
	v_add_nc_u32_e32 v10, v13, v10
.LBB9_42:
	s_and_not1_saveexec_b32 s0, s6
; %bb.43:
	v_mul_f32_e64 v9, 0x3f22f983, |v8|
	s_delay_alu instid0(VALU_DEP_1) | instskip(NEXT) | instid1(VALU_DEP_1)
	v_rndne_f32_e32 v10, v9
	v_fma_f32 v9, 0xbfc90fda, v10, |v8|
	s_delay_alu instid0(VALU_DEP_1) | instskip(NEXT) | instid1(VALU_DEP_1)
	v_fmamk_f32 v9, v10, 0xb3a22168, v9
	v_fmamk_f32 v9, v10, 0xa7c234c4, v9
	v_cvt_i32_f32_e32 v10, v10
; %bb.44:
	s_or_b32 exec_lo, exec_lo, s0
	s_delay_alu instid0(VALU_DEP_1) | instskip(SKIP_3) | instid1(VALU_DEP_2)
	v_dual_mul_f32 v11, v9, v9 :: v_dual_bitop2_b32 v14, 1, v10 bitop3:0x40
	s_mov_b32 s0, 0xb94c1982
	s_mov_b32 s1, 0x37d75334
	v_lshlrev_b32_e32 v10, 30, v10
	v_fmaak_f32 v12, s0, v11, 0x3c0881c4
	v_cmp_eq_u32_e64 s0, 0, v14
	v_xor_b32_e32 v4, v4, v8
	s_delay_alu instid0(VALU_DEP_4) | instskip(NEXT) | instid1(VALU_DEP_4)
	v_and_b32_e32 v10, 0x80000000, v10
	v_fmaak_f32 v12, v11, v12, 0xbe2aaa9d
	s_delay_alu instid0(VALU_DEP_1) | instskip(NEXT) | instid1(VALU_DEP_1)
	v_dual_fmaak_f32 v13, s1, v11, 0xbab64f3b :: v_dual_mul_f32 v12, v11, v12
	v_fmaak_f32 v13, v11, v13, 0x3d2aabf7
	s_delay_alu instid0(VALU_DEP_2) | instskip(NEXT) | instid1(VALU_DEP_2)
	v_fmac_f32_e32 v9, v9, v12
	v_fmaak_f32 v13, v11, v13, 0xbf000004
	s_delay_alu instid0(VALU_DEP_1) | instskip(NEXT) | instid1(VALU_DEP_1)
	v_fma_f32 v11, v11, v13, 1.0
	v_cndmask_b32_e64 v9, v11, v9, s0
	v_cmp_class_f32_e64 s0, v8, 0x1f8
	s_delay_alu instid0(VALU_DEP_2) | instskip(NEXT) | instid1(VALU_DEP_1)
	v_xor3_b32 v4, v4, v10, v9
	v_cndmask_b32_e64 v4, 0x7fc00000, v4, s0
.LBB9_45:
	s_or_b32 exec_lo, exec_lo, s3
	v_or_b32_e32 v8, 0x300, v0
	s_mov_b32 s3, exec_lo
	s_delay_alu instid0(VALU_DEP_1)
	v_cmpx_gt_i32_e64 s10, v8
	s_cbranch_execnz .LBB9_52
; %bb.46:
	s_or_b32 exec_lo, exec_lo, s3
	s_and_saveexec_b32 s0, vcc_lo
	s_delay_alu instid0(SALU_CYCLE_1)
	s_xor_b32 s0, exec_lo, s0
	s_cbranch_execnz .LBB9_57
.LBB9_47:
	s_or_b32 exec_lo, exec_lo, s0
	s_delay_alu instid0(SALU_CYCLE_1)
	s_mov_b32 s0, exec_lo
	v_cmpx_gt_i32_e64 s10, v0
	s_cbranch_execnz .LBB9_58
.LBB9_48:
	s_or_b32 exec_lo, exec_lo, s0
	s_delay_alu instid0(SALU_CYCLE_1)
	s_mov_b32 s0, exec_lo
	v_cmpx_gt_i32_e64 s10, v0
	s_cbranch_execnz .LBB9_59
.LBB9_49:
	s_or_b32 exec_lo, exec_lo, s0
	s_delay_alu instid0(SALU_CYCLE_1)
	s_mov_b32 s0, exec_lo
	v_cmpx_gt_i32_e64 s10, v0
	s_cbranch_execz .LBB9_51
.LBB9_50:
	v_add_nc_u32_e32 v0, s8, v0
	global_store_b32 v0, v3, s[4:5] scale_offset
.LBB9_51:
	s_endpgm
.LBB9_52:
	v_and_b32_e32 v3, 0x7fffffff, v7
                                        ; implicit-def: $vgpr9
                                        ; implicit-def: $vgpr8
	s_mov_b32 s1, exec_lo
	v_cmpx_ngt_f32_e64 0x48000000, |v7|
	s_xor_b32 s6, exec_lo, s1
	s_cbranch_execz .LBB9_54
; %bb.53:
	s_mov_b32 s0, 0x7fffff
	v_mov_b32_e32 v9, 0
	v_and_or_b32 v8, v3, s0, 0x800000
	s_mov_b64 s[0:1], 0xfe5163ab
	s_delay_alu instid0(VALU_DEP_1) | instid1(SALU_CYCLE_1)
	v_mul_u64_e32 v[10:11], s[0:1], v[8:9]
	s_delay_alu instid0(VALU_DEP_1) | instskip(SKIP_2) | instid1(VALU_DEP_3)
	v_dual_mov_b32 v12, v11 :: v_dual_mov_b32 v13, v9
	v_dual_mov_b32 v15, v9 :: v_dual_mov_b32 v17, v9
	v_dual_mov_b32 v19, v9 :: v_dual_lshrrev_b32 v11, 23, v3
	v_mad_nc_u64_u32 v[12:13], 0x3c439041, v8, v[12:13]
	s_delay_alu instid0(VALU_DEP_1) | instskip(NEXT) | instid1(VALU_DEP_1)
	v_mov_b32_e32 v14, v13
	v_mad_nc_u64_u32 v[14:15], 0xdb629599, v8, v[14:15]
	s_delay_alu instid0(VALU_DEP_1) | instskip(NEXT) | instid1(VALU_DEP_1)
	v_mov_b32_e32 v16, v15
	v_mad_nc_u64_u32 v[16:17], 0xf534ddc0, v8, v[16:17]
	s_delay_alu instid0(VALU_DEP_1) | instskip(NEXT) | instid1(VALU_DEP_1)
	v_mov_b32_e32 v18, v17
	v_mad_nc_u64_u32 v[18:19], 0xfc2757d1, v8, v[18:19]
	s_delay_alu instid0(VALU_DEP_1) | instskip(NEXT) | instid1(VALU_DEP_1)
	v_dual_mov_b32 v21, v9 :: v_dual_mov_b32 v20, v19
	v_mad_nc_u64_u32 v[20:21], 0x4e441529, v8, v[20:21]
	s_delay_alu instid0(VALU_DEP_1) | instskip(NEXT) | instid1(VALU_DEP_1)
	v_dual_mov_b32 v22, v21 :: v_dual_add_nc_u32 v11, 0xffffff88, v11
	v_cmp_lt_u32_e64 s0, 63, v11
	v_mov_b32_e32 v23, v9
	s_delay_alu instid0(VALU_DEP_2) | instskip(NEXT) | instid1(VALU_DEP_2)
	v_cndmask_b32_e64 v13, 0, 0xffffffc0, s0
	v_mad_nc_u64_u32 v[8:9], 0xa2f9836e, v8, v[22:23]
	v_dual_cndmask_b32 v15, v20, v16, s0 :: v_dual_cndmask_b32 v17, v18, v14, s0
	s_delay_alu instid0(VALU_DEP_3) | instskip(SKIP_1) | instid1(VALU_DEP_2)
	v_dual_cndmask_b32 v12, v16, v12, s0 :: v_dual_add_nc_u32 v11, v13, v11
	v_cndmask_b32_e64 v10, v14, v10, s0
	v_cmp_lt_u32_e64 s1, 31, v11
	v_dual_cndmask_b32 v8, v8, v18, s0 :: v_dual_cndmask_b32 v9, v9, v20, s0
	s_delay_alu instid0(VALU_DEP_2) | instskip(NEXT) | instid1(VALU_DEP_4)
	v_cndmask_b32_e64 v13, 0, 0xffffffe0, s1
	v_dual_cndmask_b32 v16, v17, v12, s1 :: v_dual_cndmask_b32 v10, v12, v10, s1
	s_delay_alu instid0(VALU_DEP_2) | instskip(NEXT) | instid1(VALU_DEP_1)
	v_add_nc_u32_e32 v11, v13, v11
	v_cmp_lt_u32_e64 s2, 31, v11
	s_delay_alu instid0(VALU_DEP_1) | instskip(NEXT) | instid1(VALU_DEP_1)
	v_cndmask_b32_e64 v13, 0, 0xffffffe0, s2
	v_dual_cndmask_b32 v10, v16, v10, s2 :: v_dual_add_nc_u32 v11, v13, v11
	v_dual_cndmask_b32 v13, v8, v15, s1 :: v_dual_cndmask_b32 v8, v9, v8, s1
	s_delay_alu instid0(VALU_DEP_2) | instskip(SKIP_1) | instid1(VALU_DEP_3)
	v_dual_cndmask_b32 v9, v15, v17, s1 :: v_dual_sub_nc_u32 v15, 32, v11
	v_cmp_eq_u32_e64 s0, 0, v11
	v_cndmask_b32_e64 v8, v8, v13, s2
	s_delay_alu instid0(VALU_DEP_3) | instskip(SKIP_1) | instid1(VALU_DEP_2)
	v_cndmask_b32_e64 v13, v13, v9, s2
	v_cndmask_b32_e64 v9, v9, v16, s2
	v_alignbit_b32 v17, v8, v13, v15
	s_delay_alu instid0(VALU_DEP_2) | instskip(SKIP_1) | instid1(VALU_DEP_2)
	v_alignbit_b32 v14, v13, v9, v15
	v_alignbit_b32 v15, v9, v10, v15
	v_dual_cndmask_b32 v8, v17, v8, s0 :: v_dual_cndmask_b32 v11, v14, v13, s0
	s_delay_alu instid0(VALU_DEP_2) | instskip(NEXT) | instid1(VALU_DEP_2)
	v_cndmask_b32_e64 v9, v15, v9, s0
	v_bfe_u32 v12, v8, 29, 1
	s_delay_alu instid0(VALU_DEP_3) | instskip(NEXT) | instid1(VALU_DEP_3)
	v_alignbit_b32 v13, v8, v11, 30
	v_alignbit_b32 v11, v11, v9, 30
	;; [unrolled: 1-line block ×3, first 2 shown]
	s_delay_alu instid0(VALU_DEP_4) | instskip(NEXT) | instid1(VALU_DEP_1)
	v_sub_nc_u32_e32 v14, 0, v12
	v_xor_b32_e32 v13, v13, v14
	s_delay_alu instid0(VALU_DEP_4) | instskip(NEXT) | instid1(VALU_DEP_4)
	v_xor_b32_e32 v10, v11, v14
	v_dual_lshrrev_b32 v14, 29, v8 :: v_dual_bitop2_b32 v9, v9, v14 bitop3:0x14
	s_delay_alu instid0(VALU_DEP_3) | instskip(NEXT) | instid1(VALU_DEP_1)
	v_clz_i32_u32_e32 v15, v13
	v_min_u32_e32 v15, 32, v15
	s_delay_alu instid0(VALU_DEP_1) | instskip(NEXT) | instid1(VALU_DEP_1)
	v_dual_sub_nc_u32 v11, 31, v15 :: v_dual_lshlrev_b32 v16, 23, v15
	v_alignbit_b32 v13, v13, v10, v11
	v_alignbit_b32 v9, v10, v9, v11
	v_lshlrev_b32_e32 v10, 31, v14
	s_delay_alu instid0(VALU_DEP_2) | instskip(NEXT) | instid1(VALU_DEP_2)
	v_alignbit_b32 v11, v13, v9, 9
	v_dual_lshrrev_b32 v13, 9, v13 :: v_dual_bitop2_b32 v14, 0.5, v10 bitop3:0x54
	v_or_b32_e32 v10, 0x33000000, v10
	s_delay_alu instid0(VALU_DEP_3) | instskip(NEXT) | instid1(VALU_DEP_3)
	v_clz_i32_u32_e32 v17, v11
	v_sub_nc_u32_e32 v14, v14, v16
	s_delay_alu instid0(VALU_DEP_2) | instskip(NEXT) | instid1(VALU_DEP_1)
	v_min_u32_e32 v16, 32, v17
	v_add_lshl_u32 v15, v16, v15, 23
	s_delay_alu instid0(VALU_DEP_3) | instskip(SKIP_1) | instid1(VALU_DEP_2)
	v_or_b32_e32 v13, v13, v14
	v_not_b32_e32 v14, v16
	v_dual_mul_f32 v17, 0x3fc90fda, v13 :: v_dual_sub_nc_u32 v10, v10, v15
	s_delay_alu instid0(VALU_DEP_2) | instskip(NEXT) | instid1(VALU_DEP_2)
	v_alignbit_b32 v9, v11, v9, v14
	v_fma_f32 v11, 0x3fc90fda, v13, -v17
	s_delay_alu instid0(VALU_DEP_2) | instskip(NEXT) | instid1(VALU_DEP_2)
	v_lshrrev_b32_e32 v9, 9, v9
	v_fmamk_f32 v11, v13, 0x33a22168, v11
	s_delay_alu instid0(VALU_DEP_2) | instskip(NEXT) | instid1(VALU_DEP_1)
	v_or_b32_e32 v9, v10, v9
	v_fmac_f32_e32 v11, 0x3fc90fda, v9
	s_delay_alu instid0(VALU_DEP_1) | instskip(NEXT) | instid1(VALU_DEP_1)
	v_dual_add_f32 v8, v17, v11 :: v_dual_lshrrev_b32 v9, 30, v8
	v_add_nc_u32_e32 v9, v12, v9
.LBB9_54:
	s_and_not1_saveexec_b32 s0, s6
; %bb.55:
	v_mul_f32_e64 v8, 0x3f22f983, |v7|
	s_delay_alu instid0(VALU_DEP_1) | instskip(NEXT) | instid1(VALU_DEP_1)
	v_rndne_f32_e32 v9, v8
	v_fma_f32 v8, 0xbfc90fda, v9, |v7|
	s_delay_alu instid0(VALU_DEP_1) | instskip(NEXT) | instid1(VALU_DEP_1)
	v_fmamk_f32 v8, v9, 0xb3a22168, v8
	v_fmamk_f32 v8, v9, 0xa7c234c4, v8
	v_cvt_i32_f32_e32 v9, v9
; %bb.56:
	s_or_b32 exec_lo, exec_lo, s0
	s_delay_alu instid0(VALU_DEP_1) | instskip(SKIP_3) | instid1(VALU_DEP_2)
	v_dual_mul_f32 v10, v8, v8 :: v_dual_bitop2_b32 v13, 1, v9 bitop3:0x40
	s_mov_b32 s0, 0xb94c1982
	s_mov_b32 s1, 0x37d75334
	v_lshlrev_b32_e32 v9, 30, v9
	v_fmaak_f32 v11, s0, v10, 0x3c0881c4
	v_cmp_eq_u32_e64 s0, 0, v13
	v_xor_b32_e32 v3, v3, v7
	s_delay_alu instid0(VALU_DEP_4) | instskip(NEXT) | instid1(VALU_DEP_4)
	v_and_b32_e32 v9, 0x80000000, v9
	v_fmaak_f32 v11, v10, v11, 0xbe2aaa9d
	s_delay_alu instid0(VALU_DEP_1) | instskip(NEXT) | instid1(VALU_DEP_1)
	v_dual_fmaak_f32 v12, s1, v10, 0xbab64f3b :: v_dual_mul_f32 v11, v10, v11
	v_fmaak_f32 v12, v10, v12, 0x3d2aabf7
	s_delay_alu instid0(VALU_DEP_2) | instskip(NEXT) | instid1(VALU_DEP_2)
	v_fmac_f32_e32 v8, v8, v11
	v_fmaak_f32 v12, v10, v12, 0xbf000004
	s_delay_alu instid0(VALU_DEP_1) | instskip(NEXT) | instid1(VALU_DEP_1)
	v_fma_f32 v10, v10, v12, 1.0
	v_cndmask_b32_e64 v8, v10, v8, s0
	v_cmp_class_f32_e64 s0, v7, 0x1f8
	s_delay_alu instid0(VALU_DEP_2) | instskip(NEXT) | instid1(VALU_DEP_1)
	v_xor3_b32 v3, v3, v9, v8
	v_cndmask_b32_e64 v3, 0x7fc00000, v3, s0
	s_or_b32 exec_lo, exec_lo, s3
	s_and_saveexec_b32 s0, vcc_lo
	s_delay_alu instid0(SALU_CYCLE_1)
	s_xor_b32 s0, exec_lo, s0
	s_cbranch_execz .LBB9_47
.LBB9_57:
	v_mov_b32_e32 v0, v6
	global_store_b32 v5, v2, s[4:5] scale_offset
	s_wait_xcnt 0x0
	s_or_b32 exec_lo, exec_lo, s0
	s_delay_alu instid0(SALU_CYCLE_1)
	s_mov_b32 s0, exec_lo
	v_cmpx_gt_i32_e64 s10, v0
	s_cbranch_execz .LBB9_48
.LBB9_58:
	v_add_nc_u32_e32 v2, s8, v0
	v_add_nc_u32_e32 v0, 0x100, v0
	global_store_b32 v2, v1, s[4:5] scale_offset
	s_wait_xcnt 0x0
	s_or_b32 exec_lo, exec_lo, s0
	s_delay_alu instid0(SALU_CYCLE_1)
	s_mov_b32 s0, exec_lo
	v_cmpx_gt_i32_e64 s10, v0
	s_cbranch_execz .LBB9_49
.LBB9_59:
	v_add_nc_u32_e32 v1, s8, v0
	v_add_nc_u32_e32 v0, 0x100, v0
	global_store_b32 v1, v4, s[4:5] scale_offset
	s_wait_xcnt 0x0
	s_or_b32 exec_lo, exec_lo, s0
	s_delay_alu instid0(SALU_CYCLE_1)
	s_mov_b32 s0, exec_lo
	v_cmpx_gt_i32_e64 s10, v0
	s_cbranch_execnz .LBB9_50
	s_branch .LBB9_51
	.section	.rodata,"a",@progbits
	.p2align	6, 0x0
	.amdhsa_kernel _ZN2at6native29vectorized_elementwise_kernelILi8EZZZNS0_15sin_kernel_cudaERNS_18TensorIteratorBaseEENKUlvE0_clEvENKUlvE0_clEvEUlfE_St5arrayIPcLm2EEEEviT0_T1_
		.amdhsa_group_segment_fixed_size 0
		.amdhsa_private_segment_fixed_size 0
		.amdhsa_kernarg_size 24
		.amdhsa_user_sgpr_count 2
		.amdhsa_user_sgpr_dispatch_ptr 0
		.amdhsa_user_sgpr_queue_ptr 0
		.amdhsa_user_sgpr_kernarg_segment_ptr 1
		.amdhsa_user_sgpr_dispatch_id 0
		.amdhsa_user_sgpr_kernarg_preload_length 0
		.amdhsa_user_sgpr_kernarg_preload_offset 0
		.amdhsa_user_sgpr_private_segment_size 0
		.amdhsa_wavefront_size32 1
		.amdhsa_uses_dynamic_stack 0
		.amdhsa_enable_private_segment 0
		.amdhsa_system_sgpr_workgroup_id_x 1
		.amdhsa_system_sgpr_workgroup_id_y 0
		.amdhsa_system_sgpr_workgroup_id_z 0
		.amdhsa_system_sgpr_workgroup_info 0
		.amdhsa_system_vgpr_workitem_id 0
		.amdhsa_next_free_vgpr 33
		.amdhsa_next_free_sgpr 24
		.amdhsa_named_barrier_count 0
		.amdhsa_reserve_vcc 1
		.amdhsa_float_round_mode_32 0
		.amdhsa_float_round_mode_16_64 0
		.amdhsa_float_denorm_mode_32 3
		.amdhsa_float_denorm_mode_16_64 3
		.amdhsa_fp16_overflow 0
		.amdhsa_memory_ordered 1
		.amdhsa_forward_progress 1
		.amdhsa_inst_pref_size 68
		.amdhsa_round_robin_scheduling 0
		.amdhsa_exception_fp_ieee_invalid_op 0
		.amdhsa_exception_fp_denorm_src 0
		.amdhsa_exception_fp_ieee_div_zero 0
		.amdhsa_exception_fp_ieee_overflow 0
		.amdhsa_exception_fp_ieee_underflow 0
		.amdhsa_exception_fp_ieee_inexact 0
		.amdhsa_exception_int_div_zero 0
	.end_amdhsa_kernel
	.section	.text._ZN2at6native29vectorized_elementwise_kernelILi8EZZZNS0_15sin_kernel_cudaERNS_18TensorIteratorBaseEENKUlvE0_clEvENKUlvE0_clEvEUlfE_St5arrayIPcLm2EEEEviT0_T1_,"axG",@progbits,_ZN2at6native29vectorized_elementwise_kernelILi8EZZZNS0_15sin_kernel_cudaERNS_18TensorIteratorBaseEENKUlvE0_clEvENKUlvE0_clEvEUlfE_St5arrayIPcLm2EEEEviT0_T1_,comdat
.Lfunc_end9:
	.size	_ZN2at6native29vectorized_elementwise_kernelILi8EZZZNS0_15sin_kernel_cudaERNS_18TensorIteratorBaseEENKUlvE0_clEvENKUlvE0_clEvEUlfE_St5arrayIPcLm2EEEEviT0_T1_, .Lfunc_end9-_ZN2at6native29vectorized_elementwise_kernelILi8EZZZNS0_15sin_kernel_cudaERNS_18TensorIteratorBaseEENKUlvE0_clEvENKUlvE0_clEvEUlfE_St5arrayIPcLm2EEEEviT0_T1_
                                        ; -- End function
	.set _ZN2at6native29vectorized_elementwise_kernelILi8EZZZNS0_15sin_kernel_cudaERNS_18TensorIteratorBaseEENKUlvE0_clEvENKUlvE0_clEvEUlfE_St5arrayIPcLm2EEEEviT0_T1_.num_vgpr, 33
	.set _ZN2at6native29vectorized_elementwise_kernelILi8EZZZNS0_15sin_kernel_cudaERNS_18TensorIteratorBaseEENKUlvE0_clEvENKUlvE0_clEvEUlfE_St5arrayIPcLm2EEEEviT0_T1_.num_agpr, 0
	.set _ZN2at6native29vectorized_elementwise_kernelILi8EZZZNS0_15sin_kernel_cudaERNS_18TensorIteratorBaseEENKUlvE0_clEvENKUlvE0_clEvEUlfE_St5arrayIPcLm2EEEEviT0_T1_.numbered_sgpr, 24
	.set _ZN2at6native29vectorized_elementwise_kernelILi8EZZZNS0_15sin_kernel_cudaERNS_18TensorIteratorBaseEENKUlvE0_clEvENKUlvE0_clEvEUlfE_St5arrayIPcLm2EEEEviT0_T1_.num_named_barrier, 0
	.set _ZN2at6native29vectorized_elementwise_kernelILi8EZZZNS0_15sin_kernel_cudaERNS_18TensorIteratorBaseEENKUlvE0_clEvENKUlvE0_clEvEUlfE_St5arrayIPcLm2EEEEviT0_T1_.private_seg_size, 0
	.set _ZN2at6native29vectorized_elementwise_kernelILi8EZZZNS0_15sin_kernel_cudaERNS_18TensorIteratorBaseEENKUlvE0_clEvENKUlvE0_clEvEUlfE_St5arrayIPcLm2EEEEviT0_T1_.uses_vcc, 1
	.set _ZN2at6native29vectorized_elementwise_kernelILi8EZZZNS0_15sin_kernel_cudaERNS_18TensorIteratorBaseEENKUlvE0_clEvENKUlvE0_clEvEUlfE_St5arrayIPcLm2EEEEviT0_T1_.uses_flat_scratch, 0
	.set _ZN2at6native29vectorized_elementwise_kernelILi8EZZZNS0_15sin_kernel_cudaERNS_18TensorIteratorBaseEENKUlvE0_clEvENKUlvE0_clEvEUlfE_St5arrayIPcLm2EEEEviT0_T1_.has_dyn_sized_stack, 0
	.set _ZN2at6native29vectorized_elementwise_kernelILi8EZZZNS0_15sin_kernel_cudaERNS_18TensorIteratorBaseEENKUlvE0_clEvENKUlvE0_clEvEUlfE_St5arrayIPcLm2EEEEviT0_T1_.has_recursion, 0
	.set _ZN2at6native29vectorized_elementwise_kernelILi8EZZZNS0_15sin_kernel_cudaERNS_18TensorIteratorBaseEENKUlvE0_clEvENKUlvE0_clEvEUlfE_St5arrayIPcLm2EEEEviT0_T1_.has_indirect_call, 0
	.section	.AMDGPU.csdata,"",@progbits
; Kernel info:
; codeLenInByte = 8600
; TotalNumSgprs: 26
; NumVgprs: 33
; ScratchSize: 0
; MemoryBound: 0
; FloatMode: 240
; IeeeMode: 1
; LDSByteSize: 0 bytes/workgroup (compile time only)
; SGPRBlocks: 0
; VGPRBlocks: 2
; NumSGPRsForWavesPerEU: 26
; NumVGPRsForWavesPerEU: 33
; NamedBarCnt: 0
; Occupancy: 16
; WaveLimiterHint : 0
; COMPUTE_PGM_RSRC2:SCRATCH_EN: 0
; COMPUTE_PGM_RSRC2:USER_SGPR: 2
; COMPUTE_PGM_RSRC2:TRAP_HANDLER: 0
; COMPUTE_PGM_RSRC2:TGID_X_EN: 1
; COMPUTE_PGM_RSRC2:TGID_Y_EN: 0
; COMPUTE_PGM_RSRC2:TGID_Z_EN: 0
; COMPUTE_PGM_RSRC2:TIDIG_COMP_CNT: 0
	.section	.text._ZN2at6native29vectorized_elementwise_kernelILi4EZZZNS0_15sin_kernel_cudaERNS_18TensorIteratorBaseEENKUlvE0_clEvENKUlvE0_clEvEUlfE_St5arrayIPcLm2EEEEviT0_T1_,"axG",@progbits,_ZN2at6native29vectorized_elementwise_kernelILi4EZZZNS0_15sin_kernel_cudaERNS_18TensorIteratorBaseEENKUlvE0_clEvENKUlvE0_clEvEUlfE_St5arrayIPcLm2EEEEviT0_T1_,comdat
	.globl	_ZN2at6native29vectorized_elementwise_kernelILi4EZZZNS0_15sin_kernel_cudaERNS_18TensorIteratorBaseEENKUlvE0_clEvENKUlvE0_clEvEUlfE_St5arrayIPcLm2EEEEviT0_T1_ ; -- Begin function _ZN2at6native29vectorized_elementwise_kernelILi4EZZZNS0_15sin_kernel_cudaERNS_18TensorIteratorBaseEENKUlvE0_clEvENKUlvE0_clEvEUlfE_St5arrayIPcLm2EEEEviT0_T1_
	.p2align	8
	.type	_ZN2at6native29vectorized_elementwise_kernelILi4EZZZNS0_15sin_kernel_cudaERNS_18TensorIteratorBaseEENKUlvE0_clEvENKUlvE0_clEvEUlfE_St5arrayIPcLm2EEEEviT0_T1_,@function
_ZN2at6native29vectorized_elementwise_kernelILi4EZZZNS0_15sin_kernel_cudaERNS_18TensorIteratorBaseEENKUlvE0_clEvENKUlvE0_clEvEUlfE_St5arrayIPcLm2EEEEviT0_T1_: ; @_ZN2at6native29vectorized_elementwise_kernelILi4EZZZNS0_15sin_kernel_cudaERNS_18TensorIteratorBaseEENKUlvE0_clEvENKUlvE0_clEvEUlfE_St5arrayIPcLm2EEEEviT0_T1_
; %bb.0:
	s_clause 0x1
	s_load_b32 s2, s[0:1], 0x0
	s_load_b128 s[4:7], s[0:1], 0x8
	s_wait_xcnt 0x0
	s_bfe_u32 s0, ttmp6, 0x4000c
	s_and_b32 s1, ttmp6, 15
	s_add_co_i32 s0, s0, 1
	s_getreg_b32 s3, hwreg(HW_REG_IB_STS2, 6, 4)
	s_mul_i32 s0, ttmp9, s0
	s_delay_alu instid0(SALU_CYCLE_1) | instskip(SKIP_2) | instid1(SALU_CYCLE_1)
	s_add_co_i32 s1, s1, s0
	s_cmp_eq_u32 s3, 0
	s_cselect_b32 s0, ttmp9, s1
	s_lshl_b32 s8, s0, 10
	s_mov_b32 s0, -1
	s_wait_kmcnt 0x0
	s_sub_co_i32 s10, s2, s8
	s_delay_alu instid0(SALU_CYCLE_1)
	s_cmp_gt_i32 s10, 0x3ff
	s_cbranch_scc0 .LBB10_18
; %bb.1:
	s_ashr_i32 s9, s8, 31
	v_mov_b32_e32 v7, 0
	s_lshl_b64 s[2:3], s[8:9], 2
                                        ; implicit-def: $vgpr10
                                        ; implicit-def: $vgpr6
	s_delay_alu instid0(SALU_CYCLE_1)
	s_add_nc_u64 s[0:1], s[6:7], s[2:3]
	global_load_b128 v[2:5], v0, s[0:1] scale_offset
	s_wait_xcnt 0x0
	s_mov_b32 s1, exec_lo
	s_wait_loadcnt 0x0
	v_and_b32_e32 v1, 0x7fffffff, v2
	v_cmpx_ngt_f32_e64 0x48000000, |v2|
	s_xor_b32 s9, exec_lo, s1
	s_cbranch_execz .LBB10_3
; %bb.2:
	s_mov_b32 s0, 0x7fffff
	v_mov_b32_e32 v19, v7
	v_and_or_b32 v6, v1, s0, 0x800000
	s_mov_b64 s[0:1], 0xfe5163ab
	s_delay_alu instid0(VALU_DEP_1) | instid1(SALU_CYCLE_1)
	v_mul_u64_e32 v[8:9], s[0:1], v[6:7]
	s_delay_alu instid0(VALU_DEP_1) | instskip(SKIP_1) | instid1(VALU_DEP_2)
	v_dual_mov_b32 v11, v7 :: v_dual_mov_b32 v10, v9
	v_lshrrev_b32_e32 v9, 23, v1
	v_mad_nc_u64_u32 v[10:11], 0x3c439041, v6, v[10:11]
	v_mov_b32_e32 v13, v7
	s_delay_alu instid0(VALU_DEP_3) | instskip(NEXT) | instid1(VALU_DEP_1)
	v_add_nc_u32_e32 v9, 0xffffff88, v9
	v_cmp_lt_u32_e32 vcc_lo, 63, v9
	s_delay_alu instid0(VALU_DEP_4) | instskip(SKIP_1) | instid1(VALU_DEP_2)
	v_mov_b32_e32 v12, v11
	v_cndmask_b32_e64 v11, 0, 0xffffffc0, vcc_lo
	v_mad_nc_u64_u32 v[12:13], 0xdb629599, v6, v[12:13]
	s_delay_alu instid0(VALU_DEP_1) | instskip(NEXT) | instid1(VALU_DEP_2)
	v_dual_mov_b32 v15, v7 :: v_dual_mov_b32 v14, v13
	v_cndmask_b32_e32 v8, v12, v8, vcc_lo
	s_delay_alu instid0(VALU_DEP_2) | instskip(NEXT) | instid1(VALU_DEP_1)
	v_mad_nc_u64_u32 v[14:15], 0xf534ddc0, v6, v[14:15]
	v_dual_mov_b32 v17, v7 :: v_dual_mov_b32 v16, v15
	s_delay_alu instid0(VALU_DEP_2) | instskip(NEXT) | instid1(VALU_DEP_2)
	v_cndmask_b32_e32 v10, v14, v10, vcc_lo
	v_mad_nc_u64_u32 v[16:17], 0xfc2757d1, v6, v[16:17]
	s_delay_alu instid0(VALU_DEP_1) | instskip(NEXT) | instid1(VALU_DEP_1)
	v_dual_mov_b32 v18, v17 :: v_dual_cndmask_b32 v15, v16, v12
	v_mad_nc_u64_u32 v[18:19], 0x4e441529, v6, v[18:19]
	v_add_nc_u32_e32 v9, v11, v9
	s_delay_alu instid0(VALU_DEP_2) | instskip(NEXT) | instid1(VALU_DEP_3)
	v_dual_mov_b32 v21, v7 :: v_dual_mov_b32 v20, v19
	v_cndmask_b32_e32 v13, v18, v14, vcc_lo
	s_delay_alu instid0(VALU_DEP_3) | instskip(NEXT) | instid1(VALU_DEP_3)
	v_cmp_lt_u32_e64 s0, 31, v9
	v_mad_nc_u64_u32 v[6:7], 0xa2f9836e, v6, v[20:21]
	s_delay_alu instid0(VALU_DEP_2) | instskip(NEXT) | instid1(VALU_DEP_1)
	v_cndmask_b32_e64 v11, 0, 0xffffffe0, s0
	v_dual_cndmask_b32 v8, v10, v8, s0 :: v_dual_add_nc_u32 v9, v11, v9
	s_delay_alu instid0(VALU_DEP_3) | instskip(NEXT) | instid1(VALU_DEP_2)
	v_cndmask_b32_e32 v6, v6, v16, vcc_lo
	v_cmp_lt_u32_e64 s1, 31, v9
	v_cndmask_b32_e32 v7, v7, v18, vcc_lo
	s_delay_alu instid0(VALU_DEP_2) | instskip(NEXT) | instid1(VALU_DEP_1)
	v_cndmask_b32_e64 v11, 0, 0xffffffe0, s1
	v_add_nc_u32_e32 v9, v11, v9
	s_delay_alu instid0(VALU_DEP_3) | instskip(SKIP_1) | instid1(VALU_DEP_3)
	v_dual_cndmask_b32 v11, v6, v13, s0 :: v_dual_cndmask_b32 v6, v7, v6, s0
	v_dual_cndmask_b32 v7, v13, v15, s0 :: v_dual_cndmask_b32 v14, v15, v10, s0
	v_sub_nc_u32_e32 v13, 32, v9
	v_cmp_eq_u32_e32 vcc_lo, 0, v9
	s_delay_alu instid0(VALU_DEP_4) | instskip(NEXT) | instid1(VALU_DEP_4)
	v_cndmask_b32_e64 v6, v6, v11, s1
	v_cndmask_b32_e64 v11, v11, v7, s1
	;; [unrolled: 1-line block ×3, first 2 shown]
	s_delay_alu instid0(VALU_DEP_2) | instskip(NEXT) | instid1(VALU_DEP_2)
	v_alignbit_b32 v15, v6, v11, v13
	v_alignbit_b32 v12, v11, v7, v13
	s_delay_alu instid0(VALU_DEP_1) | instskip(NEXT) | instid1(VALU_DEP_1)
	v_dual_cndmask_b32 v6, v15, v6 :: v_dual_cndmask_b32 v9, v12, v11
	v_bfe_u32 v10, v6, 29, 1
	v_cndmask_b32_e64 v8, v14, v8, s1
	s_delay_alu instid0(VALU_DEP_3) | instskip(NEXT) | instid1(VALU_DEP_3)
	v_alignbit_b32 v11, v6, v9, 30
	v_sub_nc_u32_e32 v12, 0, v10
	s_delay_alu instid0(VALU_DEP_3) | instskip(NEXT) | instid1(VALU_DEP_1)
	v_alignbit_b32 v13, v7, v8, v13
	v_dual_cndmask_b32 v7, v13, v7, vcc_lo :: v_dual_bitop2_b32 v11, v11, v12 bitop3:0x14
	s_delay_alu instid0(VALU_DEP_1) | instskip(NEXT) | instid1(VALU_DEP_2)
	v_clz_i32_u32_e32 v13, v11
	v_alignbit_b32 v9, v9, v7, 30
	v_alignbit_b32 v7, v7, v8, 30
	s_delay_alu instid0(VALU_DEP_3) | instskip(NEXT) | instid1(VALU_DEP_3)
	v_min_u32_e32 v13, 32, v13
	v_xor_b32_e32 v8, v9, v12
	s_delay_alu instid0(VALU_DEP_3) | instskip(NEXT) | instid1(VALU_DEP_3)
	v_dual_lshrrev_b32 v12, 29, v6 :: v_dual_bitop2_b32 v7, v7, v12 bitop3:0x14
	v_dual_sub_nc_u32 v9, 31, v13 :: v_dual_lshlrev_b32 v14, 23, v13
	s_delay_alu instid0(VALU_DEP_1) | instskip(NEXT) | instid1(VALU_DEP_3)
	v_alignbit_b32 v11, v11, v8, v9
	v_alignbit_b32 v7, v8, v7, v9
	s_delay_alu instid0(VALU_DEP_4) | instskip(NEXT) | instid1(VALU_DEP_2)
	v_lshlrev_b32_e32 v8, 31, v12
	v_alignbit_b32 v9, v11, v7, 9
	s_delay_alu instid0(VALU_DEP_2) | instskip(SKIP_1) | instid1(VALU_DEP_3)
	v_dual_lshrrev_b32 v11, 9, v11 :: v_dual_bitop2_b32 v12, 0.5, v8 bitop3:0x54
	v_or_b32_e32 v8, 0x33000000, v8
	v_clz_i32_u32_e32 v15, v9
	s_delay_alu instid0(VALU_DEP_3) | instskip(NEXT) | instid1(VALU_DEP_2)
	v_sub_nc_u32_e32 v12, v12, v14
	v_min_u32_e32 v14, 32, v15
	s_delay_alu instid0(VALU_DEP_1) | instskip(NEXT) | instid1(VALU_DEP_3)
	v_add_lshl_u32 v13, v14, v13, 23
	v_or_b32_e32 v11, v11, v12
	v_not_b32_e32 v12, v14
	s_delay_alu instid0(VALU_DEP_2) | instskip(NEXT) | instid1(VALU_DEP_2)
	v_dual_mul_f32 v15, 0x3fc90fda, v11 :: v_dual_sub_nc_u32 v8, v8, v13
	v_alignbit_b32 v7, v9, v7, v12
	s_delay_alu instid0(VALU_DEP_2) | instskip(NEXT) | instid1(VALU_DEP_2)
	v_fma_f32 v9, 0x3fc90fda, v11, -v15
	v_lshrrev_b32_e32 v7, 9, v7
	s_delay_alu instid0(VALU_DEP_2) | instskip(NEXT) | instid1(VALU_DEP_2)
	v_fmamk_f32 v9, v11, 0x33a22168, v9
	v_or_b32_e32 v7, v8, v7
	s_delay_alu instid0(VALU_DEP_1) | instskip(NEXT) | instid1(VALU_DEP_1)
	v_fmac_f32_e32 v9, 0x3fc90fda, v7
	v_dual_add_f32 v6, v15, v9 :: v_dual_lshrrev_b32 v7, 30, v6
	s_delay_alu instid0(VALU_DEP_1)
	v_add_nc_u32_e32 v10, v10, v7
.LBB10_3:
	s_and_not1_saveexec_b32 s0, s9
; %bb.4:
	v_mul_f32_e64 v6, 0x3f22f983, |v2|
	s_delay_alu instid0(VALU_DEP_1) | instskip(NEXT) | instid1(VALU_DEP_1)
	v_rndne_f32_e32 v7, v6
	v_fma_f32 v6, 0xbfc90fda, v7, |v2|
	v_cvt_i32_f32_e32 v10, v7
	s_delay_alu instid0(VALU_DEP_2) | instskip(NEXT) | instid1(VALU_DEP_1)
	v_fmamk_f32 v6, v7, 0xb3a22168, v6
	v_fmamk_f32 v6, v7, 0xa7c234c4, v6
; %bb.5:
	s_or_b32 exec_lo, exec_lo, s0
	v_and_b32_e32 v11, 0x7fffffff, v3
                                        ; implicit-def: $vgpr13
	s_mov_b32 s1, exec_lo
	v_cmpx_ngt_f32_e64 0x48000000, |v3|
	s_xor_b32 s9, exec_lo, s1
	s_cbranch_execz .LBB10_7
; %bb.6:
	s_mov_b32 s0, 0x7fffff
	v_mov_b32_e32 v9, 0
	v_and_or_b32 v8, v11, s0, 0x800000
	s_mov_b64 s[0:1], 0xfe5163ab
	v_lshrrev_b32_e32 v7, 23, v11
	s_delay_alu instid0(VALU_DEP_2) | instskip(NEXT) | instid1(VALU_DEP_1)
	v_mul_u64_e32 v[12:13], s[0:1], v[8:9]
	v_dual_mov_b32 v14, v13 :: v_dual_mov_b32 v15, v9
	v_dual_mov_b32 v17, v9 :: v_dual_mov_b32 v19, v9
	v_mov_b32_e32 v21, v9
	s_delay_alu instid0(VALU_DEP_3) | instskip(NEXT) | instid1(VALU_DEP_1)
	v_mad_nc_u64_u32 v[14:15], 0x3c439041, v8, v[14:15]
	v_mov_b32_e32 v16, v15
	s_delay_alu instid0(VALU_DEP_1) | instskip(NEXT) | instid1(VALU_DEP_1)
	v_mad_nc_u64_u32 v[16:17], 0xdb629599, v8, v[16:17]
	v_mov_b32_e32 v18, v17
	s_delay_alu instid0(VALU_DEP_1) | instskip(NEXT) | instid1(VALU_DEP_1)
	;; [unrolled: 3-line block ×3, first 2 shown]
	v_mad_nc_u64_u32 v[20:21], 0xfc2757d1, v8, v[20:21]
	v_dual_mov_b32 v23, v9 :: v_dual_mov_b32 v22, v21
	s_delay_alu instid0(VALU_DEP_1) | instskip(NEXT) | instid1(VALU_DEP_1)
	v_mad_nc_u64_u32 v[22:23], 0x4e441529, v8, v[22:23]
	v_dual_mov_b32 v24, v23 :: v_dual_add_nc_u32 v7, 0xffffff88, v7
	s_delay_alu instid0(VALU_DEP_1) | instskip(SKIP_2) | instid1(VALU_DEP_2)
	v_cmp_lt_u32_e32 vcc_lo, 63, v7
	v_mov_b32_e32 v25, v9
	v_cndmask_b32_e64 v13, 0, 0xffffffc0, vcc_lo
	v_mad_nc_u64_u32 v[8:9], 0xa2f9836e, v8, v[24:25]
	v_dual_cndmask_b32 v15, v22, v18, vcc_lo :: v_dual_cndmask_b32 v17, v20, v16, vcc_lo
	s_delay_alu instid0(VALU_DEP_3) | instskip(NEXT) | instid1(VALU_DEP_1)
	v_dual_cndmask_b32 v12, v16, v12 :: v_dual_add_nc_u32 v7, v13, v7
	v_cmp_lt_u32_e64 s0, 31, v7
	s_delay_alu instid0(VALU_DEP_4) | instskip(NEXT) | instid1(VALU_DEP_2)
	v_dual_cndmask_b32 v8, v8, v20 :: v_dual_cndmask_b32 v9, v9, v22
	v_cndmask_b32_e64 v13, 0, 0xffffffe0, s0
	s_delay_alu instid0(VALU_DEP_1) | instskip(NEXT) | instid1(VALU_DEP_1)
	v_add_nc_u32_e32 v7, v13, v7
	v_cmp_lt_u32_e64 s1, 31, v7
	s_delay_alu instid0(VALU_DEP_1) | instskip(NEXT) | instid1(VALU_DEP_1)
	v_cndmask_b32_e64 v13, 0, 0xffffffe0, s1
	v_dual_add_nc_u32 v7, v13, v7 :: v_dual_cndmask_b32 v13, v18, v14, vcc_lo
	v_dual_cndmask_b32 v14, v8, v15, s0 :: v_dual_cndmask_b32 v8, v9, v8, s0
	s_delay_alu instid0(VALU_DEP_2) | instskip(NEXT) | instid1(VALU_DEP_3)
	v_dual_cndmask_b32 v9, v15, v17, s0 :: v_dual_sub_nc_u32 v15, 32, v7
	v_cndmask_b32_e64 v17, v17, v13, s0
	v_cmp_eq_u32_e32 vcc_lo, 0, v7
	s_delay_alu instid0(VALU_DEP_3) | instskip(NEXT) | instid1(VALU_DEP_3)
	v_dual_cndmask_b32 v8, v8, v14, s1 :: v_dual_cndmask_b32 v14, v14, v9, s1
	v_cndmask_b32_e64 v9, v9, v17, s1
	s_delay_alu instid0(VALU_DEP_2) | instskip(NEXT) | instid1(VALU_DEP_2)
	v_alignbit_b32 v18, v8, v14, v15
	v_alignbit_b32 v16, v14, v9, v15
	s_delay_alu instid0(VALU_DEP_2) | instskip(NEXT) | instid1(VALU_DEP_2)
	v_cndmask_b32_e32 v7, v18, v8, vcc_lo
	v_dual_cndmask_b32 v8, v13, v12, s0 :: v_dual_cndmask_b32 v12, v16, v14, vcc_lo
	s_delay_alu instid0(VALU_DEP_2) | instskip(NEXT) | instid1(VALU_DEP_2)
	v_bfe_u32 v13, v7, 29, 1
	v_alignbit_b32 v14, v7, v12, 30
	s_delay_alu instid0(VALU_DEP_2) | instskip(NEXT) | instid1(VALU_DEP_1)
	v_dual_sub_nc_u32 v16, 0, v13 :: v_dual_cndmask_b32 v8, v17, v8, s1
	v_xor_b32_e32 v14, v14, v16
	s_delay_alu instid0(VALU_DEP_2) | instskip(NEXT) | instid1(VALU_DEP_1)
	v_alignbit_b32 v15, v9, v8, v15
	v_cndmask_b32_e32 v9, v15, v9, vcc_lo
	s_delay_alu instid0(VALU_DEP_3) | instskip(NEXT) | instid1(VALU_DEP_2)
	v_clz_i32_u32_e32 v15, v14
	v_alignbit_b32 v12, v12, v9, 30
	s_delay_alu instid0(VALU_DEP_2) | instskip(SKIP_1) | instid1(VALU_DEP_2)
	v_min_u32_e32 v15, 32, v15
	v_alignbit_b32 v8, v9, v8, 30
	v_dual_sub_nc_u32 v12, 31, v15 :: v_dual_bitop2_b32 v9, v12, v16 bitop3:0x14
	s_delay_alu instid0(VALU_DEP_2) | instskip(SKIP_1) | instid1(VALU_DEP_3)
	v_dual_lshrrev_b32 v16, 29, v7 :: v_dual_bitop2_b32 v8, v8, v16 bitop3:0x14
	v_lshlrev_b32_e32 v17, 23, v15
	v_alignbit_b32 v14, v14, v9, v12
	s_delay_alu instid0(VALU_DEP_3) | instskip(NEXT) | instid1(VALU_DEP_4)
	v_alignbit_b32 v8, v9, v8, v12
	v_lshlrev_b32_e32 v9, 31, v16
	s_delay_alu instid0(VALU_DEP_2) | instskip(NEXT) | instid1(VALU_DEP_2)
	v_alignbit_b32 v12, v14, v8, 9
	v_dual_lshrrev_b32 v14, 9, v14 :: v_dual_bitop2_b32 v16, 0.5, v9 bitop3:0x54
	v_or_b32_e32 v9, 0x33000000, v9
	s_delay_alu instid0(VALU_DEP_3) | instskip(NEXT) | instid1(VALU_DEP_3)
	v_clz_i32_u32_e32 v18, v12
	v_sub_nc_u32_e32 v16, v16, v17
	s_delay_alu instid0(VALU_DEP_2) | instskip(NEXT) | instid1(VALU_DEP_1)
	v_min_u32_e32 v17, 32, v18
	v_add_lshl_u32 v15, v17, v15, 23
	s_delay_alu instid0(VALU_DEP_3) | instskip(SKIP_1) | instid1(VALU_DEP_2)
	v_or_b32_e32 v14, v14, v16
	v_not_b32_e32 v16, v17
	v_dual_mul_f32 v18, 0x3fc90fda, v14 :: v_dual_sub_nc_u32 v9, v9, v15
	s_delay_alu instid0(VALU_DEP_2) | instskip(NEXT) | instid1(VALU_DEP_2)
	v_alignbit_b32 v8, v12, v8, v16
	v_fma_f32 v12, 0x3fc90fda, v14, -v18
	s_delay_alu instid0(VALU_DEP_2) | instskip(NEXT) | instid1(VALU_DEP_2)
	v_lshrrev_b32_e32 v8, 9, v8
	v_fmamk_f32 v12, v14, 0x33a22168, v12
	s_delay_alu instid0(VALU_DEP_2) | instskip(NEXT) | instid1(VALU_DEP_1)
	v_or_b32_e32 v8, v9, v8
	v_fmac_f32_e32 v12, 0x3fc90fda, v8
	v_lshrrev_b32_e32 v8, 30, v7
	s_delay_alu instid0(VALU_DEP_1) | instskip(NEXT) | instid1(VALU_DEP_3)
	v_add_nc_u32_e32 v13, v13, v8
	v_add_f32_e32 v7, v18, v12
.LBB10_7:
	s_and_not1_saveexec_b32 s0, s9
; %bb.8:
	v_mul_f32_e64 v7, 0x3f22f983, |v3|
	s_delay_alu instid0(VALU_DEP_1) | instskip(NEXT) | instid1(VALU_DEP_1)
	v_rndne_f32_e32 v8, v7
	v_fma_f32 v7, 0xbfc90fda, v8, |v3|
	v_cvt_i32_f32_e32 v13, v8
	s_delay_alu instid0(VALU_DEP_2) | instskip(NEXT) | instid1(VALU_DEP_1)
	v_fmamk_f32 v7, v8, 0xb3a22168, v7
	v_fmamk_f32 v7, v8, 0xa7c234c4, v7
; %bb.9:
	s_or_b32 exec_lo, exec_lo, s0
	v_and_b32_e32 v12, 0x7fffffff, v4
                                        ; implicit-def: $vgpr15
                                        ; implicit-def: $vgpr8
	s_mov_b32 s1, exec_lo
	v_cmpx_ngt_f32_e64 0x48000000, |v4|
	s_xor_b32 s9, exec_lo, s1
	s_cbranch_execz .LBB10_11
; %bb.10:
	s_mov_b32 s0, 0x7fffff
	v_mov_b32_e32 v9, 0
	v_and_or_b32 v8, v12, s0, 0x800000
	s_mov_b64 s[0:1], 0xfe5163ab
	s_delay_alu instid0(VALU_DEP_1) | instid1(SALU_CYCLE_1)
	v_mul_u64_e32 v[14:15], s[0:1], v[8:9]
	s_delay_alu instid0(VALU_DEP_1) | instskip(SKIP_2) | instid1(VALU_DEP_3)
	v_dual_mov_b32 v16, v15 :: v_dual_mov_b32 v17, v9
	v_dual_mov_b32 v19, v9 :: v_dual_mov_b32 v21, v9
	v_dual_mov_b32 v23, v9 :: v_dual_lshrrev_b32 v15, 23, v12
	v_mad_nc_u64_u32 v[16:17], 0x3c439041, v8, v[16:17]
	s_delay_alu instid0(VALU_DEP_1) | instskip(NEXT) | instid1(VALU_DEP_1)
	v_mov_b32_e32 v18, v17
	v_mad_nc_u64_u32 v[18:19], 0xdb629599, v8, v[18:19]
	s_delay_alu instid0(VALU_DEP_1) | instskip(NEXT) | instid1(VALU_DEP_1)
	v_mov_b32_e32 v20, v19
	;; [unrolled: 3-line block ×3, first 2 shown]
	v_mad_nc_u64_u32 v[22:23], 0xfc2757d1, v8, v[22:23]
	s_delay_alu instid0(VALU_DEP_1) | instskip(NEXT) | instid1(VALU_DEP_1)
	v_dual_mov_b32 v25, v9 :: v_dual_mov_b32 v24, v23
	v_mad_nc_u64_u32 v[24:25], 0x4e441529, v8, v[24:25]
	s_delay_alu instid0(VALU_DEP_1) | instskip(NEXT) | instid1(VALU_DEP_1)
	v_dual_mov_b32 v26, v25 :: v_dual_add_nc_u32 v15, 0xffffff88, v15
	v_cmp_lt_u32_e32 vcc_lo, 63, v15
	v_mov_b32_e32 v27, v9
	v_cndmask_b32_e64 v17, 0, 0xffffffc0, vcc_lo
	s_delay_alu instid0(VALU_DEP_2) | instskip(SKIP_1) | instid1(VALU_DEP_3)
	v_mad_nc_u64_u32 v[8:9], 0xa2f9836e, v8, v[26:27]
	v_dual_cndmask_b32 v19, v24, v20, vcc_lo :: v_dual_cndmask_b32 v21, v22, v18, vcc_lo
	v_dual_cndmask_b32 v16, v20, v16 :: v_dual_add_nc_u32 v15, v17, v15
	v_cndmask_b32_e32 v14, v18, v14, vcc_lo
	s_delay_alu instid0(VALU_DEP_2) | instskip(SKIP_1) | instid1(VALU_DEP_2)
	v_cmp_lt_u32_e64 s0, 31, v15
	v_dual_cndmask_b32 v8, v8, v22 :: v_dual_cndmask_b32 v9, v9, v24
	v_cndmask_b32_e64 v17, 0, 0xffffffe0, s0
	s_delay_alu instid0(VALU_DEP_4) | instskip(NEXT) | instid1(VALU_DEP_2)
	v_dual_cndmask_b32 v20, v21, v16, s0 :: v_dual_cndmask_b32 v14, v16, v14, s0
	v_add_nc_u32_e32 v15, v17, v15
	s_delay_alu instid0(VALU_DEP_1) | instskip(NEXT) | instid1(VALU_DEP_1)
	v_cmp_lt_u32_e64 s1, 31, v15
	v_cndmask_b32_e64 v17, 0, 0xffffffe0, s1
	s_delay_alu instid0(VALU_DEP_1) | instskip(SKIP_1) | instid1(VALU_DEP_2)
	v_dual_cndmask_b32 v14, v20, v14, s1 :: v_dual_add_nc_u32 v15, v17, v15
	v_dual_cndmask_b32 v17, v8, v19, s0 :: v_dual_cndmask_b32 v8, v9, v8, s0
	v_dual_cndmask_b32 v9, v19, v21, s0 :: v_dual_sub_nc_u32 v19, 32, v15
	v_cmp_eq_u32_e32 vcc_lo, 0, v15
	s_delay_alu instid0(VALU_DEP_3) | instskip(NEXT) | instid1(VALU_DEP_3)
	v_cndmask_b32_e64 v8, v8, v17, s1
	v_cndmask_b32_e64 v17, v17, v9, s1
	;; [unrolled: 1-line block ×3, first 2 shown]
	s_delay_alu instid0(VALU_DEP_2) | instskip(NEXT) | instid1(VALU_DEP_2)
	v_alignbit_b32 v21, v8, v17, v19
	v_alignbit_b32 v18, v17, v9, v19
	v_alignbit_b32 v19, v9, v14, v19
	s_delay_alu instid0(VALU_DEP_2) | instskip(NEXT) | instid1(VALU_DEP_2)
	v_dual_cndmask_b32 v8, v21, v8 :: v_dual_cndmask_b32 v15, v18, v17
	v_cndmask_b32_e32 v9, v19, v9, vcc_lo
	s_delay_alu instid0(VALU_DEP_2) | instskip(NEXT) | instid1(VALU_DEP_3)
	v_bfe_u32 v16, v8, 29, 1
	v_alignbit_b32 v17, v8, v15, 30
	s_delay_alu instid0(VALU_DEP_3) | instskip(SKIP_1) | instid1(VALU_DEP_4)
	v_alignbit_b32 v15, v15, v9, 30
	v_alignbit_b32 v9, v9, v14, 30
	v_sub_nc_u32_e32 v18, 0, v16
	s_delay_alu instid0(VALU_DEP_1) | instskip(NEXT) | instid1(VALU_DEP_4)
	v_xor_b32_e32 v17, v17, v18
	v_xor_b32_e32 v14, v15, v18
	s_delay_alu instid0(VALU_DEP_4) | instskip(NEXT) | instid1(VALU_DEP_3)
	v_dual_lshrrev_b32 v18, 29, v8 :: v_dual_bitop2_b32 v9, v9, v18 bitop3:0x14
	v_clz_i32_u32_e32 v19, v17
	s_delay_alu instid0(VALU_DEP_1) | instskip(NEXT) | instid1(VALU_DEP_1)
	v_min_u32_e32 v19, 32, v19
	v_dual_sub_nc_u32 v15, 31, v19 :: v_dual_lshlrev_b32 v20, 23, v19
	s_delay_alu instid0(VALU_DEP_1) | instskip(SKIP_2) | instid1(VALU_DEP_2)
	v_alignbit_b32 v17, v17, v14, v15
	v_alignbit_b32 v9, v14, v9, v15
	v_lshlrev_b32_e32 v14, 31, v18
	v_alignbit_b32 v15, v17, v9, 9
	s_delay_alu instid0(VALU_DEP_2) | instskip(SKIP_1) | instid1(VALU_DEP_3)
	v_dual_lshrrev_b32 v17, 9, v17 :: v_dual_bitop2_b32 v18, 0.5, v14 bitop3:0x54
	v_or_b32_e32 v14, 0x33000000, v14
	v_clz_i32_u32_e32 v21, v15
	s_delay_alu instid0(VALU_DEP_3) | instskip(NEXT) | instid1(VALU_DEP_2)
	v_sub_nc_u32_e32 v18, v18, v20
	v_min_u32_e32 v20, 32, v21
	s_delay_alu instid0(VALU_DEP_1) | instskip(NEXT) | instid1(VALU_DEP_3)
	v_add_lshl_u32 v19, v20, v19, 23
	v_or_b32_e32 v17, v17, v18
	v_not_b32_e32 v18, v20
	s_delay_alu instid0(VALU_DEP_2) | instskip(NEXT) | instid1(VALU_DEP_2)
	v_dual_mul_f32 v21, 0x3fc90fda, v17 :: v_dual_sub_nc_u32 v14, v14, v19
	v_alignbit_b32 v9, v15, v9, v18
	s_delay_alu instid0(VALU_DEP_2) | instskip(NEXT) | instid1(VALU_DEP_2)
	v_fma_f32 v15, 0x3fc90fda, v17, -v21
	v_lshrrev_b32_e32 v9, 9, v9
	s_delay_alu instid0(VALU_DEP_2) | instskip(NEXT) | instid1(VALU_DEP_2)
	v_fmamk_f32 v15, v17, 0x33a22168, v15
	v_or_b32_e32 v9, v14, v9
	s_delay_alu instid0(VALU_DEP_1) | instskip(NEXT) | instid1(VALU_DEP_1)
	v_fmac_f32_e32 v15, 0x3fc90fda, v9
	v_dual_add_f32 v8, v21, v15 :: v_dual_lshrrev_b32 v9, 30, v8
	s_delay_alu instid0(VALU_DEP_1)
	v_add_nc_u32_e32 v15, v16, v9
.LBB10_11:
	s_and_not1_saveexec_b32 s0, s9
; %bb.12:
	v_mul_f32_e64 v8, 0x3f22f983, |v4|
	s_delay_alu instid0(VALU_DEP_1) | instskip(NEXT) | instid1(VALU_DEP_1)
	v_rndne_f32_e32 v9, v8
	v_fma_f32 v8, 0xbfc90fda, v9, |v4|
	v_cvt_i32_f32_e32 v15, v9
	s_delay_alu instid0(VALU_DEP_2) | instskip(NEXT) | instid1(VALU_DEP_1)
	v_fmamk_f32 v8, v9, 0xb3a22168, v8
	v_fmamk_f32 v8, v9, 0xa7c234c4, v8
; %bb.13:
	s_or_b32 exec_lo, exec_lo, s0
	v_and_b32_e32 v14, 0x7fffffff, v5
                                        ; implicit-def: $vgpr16
	s_mov_b32 s1, exec_lo
	v_cmpx_ngt_f32_e64 0x48000000, |v5|
	s_xor_b32 s9, exec_lo, s1
	s_cbranch_execz .LBB10_15
; %bb.14:
	s_mov_b32 s0, 0x7fffff
	v_mov_b32_e32 v17, 0
	v_and_or_b32 v16, v14, s0, 0x800000
	s_mov_b64 s[0:1], 0xfe5163ab
	v_lshrrev_b32_e32 v9, 23, v14
	s_delay_alu instid0(VALU_DEP_2) | instskip(NEXT) | instid1(VALU_DEP_1)
	v_mul_u64_e32 v[18:19], s[0:1], v[16:17]
	v_dual_mov_b32 v20, v19 :: v_dual_mov_b32 v21, v17
	v_dual_mov_b32 v23, v17 :: v_dual_mov_b32 v25, v17
	;; [unrolled: 1-line block ×3, first 2 shown]
	s_delay_alu instid0(VALU_DEP_3) | instskip(NEXT) | instid1(VALU_DEP_1)
	v_mad_nc_u64_u32 v[20:21], 0x3c439041, v16, v[20:21]
	v_mov_b32_e32 v22, v21
	s_delay_alu instid0(VALU_DEP_1) | instskip(NEXT) | instid1(VALU_DEP_1)
	v_mad_nc_u64_u32 v[22:23], 0xdb629599, v16, v[22:23]
	v_mov_b32_e32 v24, v23
	s_delay_alu instid0(VALU_DEP_1) | instskip(NEXT) | instid1(VALU_DEP_1)
	v_mad_nc_u64_u32 v[24:25], 0xf534ddc0, v16, v[24:25]
	v_mov_b32_e32 v26, v25
	s_delay_alu instid0(VALU_DEP_1) | instskip(NEXT) | instid1(VALU_DEP_1)
	v_mad_nc_u64_u32 v[26:27], 0xfc2757d1, v16, v[26:27]
	v_dual_mov_b32 v29, v17 :: v_dual_mov_b32 v28, v27
	s_delay_alu instid0(VALU_DEP_1) | instskip(NEXT) | instid1(VALU_DEP_1)
	v_mad_nc_u64_u32 v[28:29], 0x4e441529, v16, v[28:29]
	v_dual_mov_b32 v30, v29 :: v_dual_add_nc_u32 v9, 0xffffff88, v9
	s_delay_alu instid0(VALU_DEP_1) | instskip(NEXT) | instid1(VALU_DEP_2)
	v_cmp_lt_u32_e32 vcc_lo, 63, v9
	v_mad_nc_u64_u32 v[16:17], 0xa2f9836e, v16, v[30:31]
	v_cndmask_b32_e64 v19, 0, 0xffffffc0, vcc_lo
	v_dual_cndmask_b32 v21, v28, v24 :: v_dual_cndmask_b32 v18, v22, v18
	s_delay_alu instid0(VALU_DEP_2) | instskip(NEXT) | instid1(VALU_DEP_1)
	v_add_nc_u32_e32 v9, v19, v9
	v_cmp_lt_u32_e64 s0, 31, v9
	v_dual_cndmask_b32 v16, v16, v26 :: v_dual_cndmask_b32 v17, v17, v28
	s_delay_alu instid0(VALU_DEP_2) | instskip(NEXT) | instid1(VALU_DEP_1)
	v_cndmask_b32_e64 v19, 0, 0xffffffe0, s0
	v_add_nc_u32_e32 v9, v19, v9
	s_delay_alu instid0(VALU_DEP_1) | instskip(NEXT) | instid1(VALU_DEP_1)
	v_cmp_lt_u32_e64 s1, 31, v9
	v_cndmask_b32_e64 v19, 0, 0xffffffe0, s1
	s_delay_alu instid0(VALU_DEP_1) | instskip(SKIP_2) | instid1(VALU_DEP_3)
	v_dual_cndmask_b32 v23, v26, v22, vcc_lo :: v_dual_add_nc_u32 v9, v19, v9
	v_cndmask_b32_e32 v19, v24, v20, vcc_lo
	v_dual_cndmask_b32 v20, v16, v21, s0 :: v_dual_cndmask_b32 v16, v17, v16, s0
	v_dual_cndmask_b32 v17, v21, v23, s0 :: v_dual_sub_nc_u32 v21, 32, v9
	s_delay_alu instid0(VALU_DEP_3) | instskip(SKIP_1) | instid1(VALU_DEP_4)
	v_cndmask_b32_e64 v23, v23, v19, s0
	v_cmp_eq_u32_e32 vcc_lo, 0, v9
	v_cndmask_b32_e64 v16, v16, v20, s1
	s_delay_alu instid0(VALU_DEP_3) | instskip(NEXT) | instid1(VALU_DEP_1)
	v_dual_cndmask_b32 v20, v20, v17, s1 :: v_dual_cndmask_b32 v17, v17, v23, s1
	v_alignbit_b32 v24, v16, v20, v21
	s_delay_alu instid0(VALU_DEP_2) | instskip(NEXT) | instid1(VALU_DEP_2)
	v_alignbit_b32 v22, v20, v17, v21
	v_dual_cndmask_b32 v9, v24, v16, vcc_lo :: v_dual_cndmask_b32 v16, v19, v18, s0
	s_delay_alu instid0(VALU_DEP_1) | instskip(NEXT) | instid1(VALU_DEP_1)
	v_bfe_u32 v19, v9, 29, 1
	v_dual_cndmask_b32 v18, v22, v20, vcc_lo :: v_dual_sub_nc_u32 v22, 0, v19
	s_delay_alu instid0(VALU_DEP_1) | instskip(NEXT) | instid1(VALU_DEP_1)
	v_alignbit_b32 v20, v9, v18, 30
	v_dual_cndmask_b32 v16, v23, v16, s1 :: v_dual_bitop2_b32 v20, v20, v22 bitop3:0x14
	s_delay_alu instid0(VALU_DEP_1) | instskip(NEXT) | instid1(VALU_DEP_1)
	v_alignbit_b32 v21, v17, v16, v21
	v_cndmask_b32_e32 v17, v21, v17, vcc_lo
	s_delay_alu instid0(VALU_DEP_3) | instskip(NEXT) | instid1(VALU_DEP_2)
	v_clz_i32_u32_e32 v21, v20
	v_alignbit_b32 v16, v17, v16, 30
	s_delay_alu instid0(VALU_DEP_2) | instskip(NEXT) | instid1(VALU_DEP_2)
	v_min_u32_e32 v21, 32, v21
	v_xor_b32_e32 v16, v16, v22
	v_alignbit_b32 v18, v18, v17, 30
	s_delay_alu instid0(VALU_DEP_1) | instskip(SKIP_1) | instid1(VALU_DEP_1)
	v_dual_lshlrev_b32 v23, 23, v21 :: v_dual_bitop2_b32 v17, v18, v22 bitop3:0x14
	v_sub_nc_u32_e32 v18, 31, v21
	v_alignbit_b32 v20, v20, v17, v18
	v_lshrrev_b32_e32 v22, 29, v9
	v_alignbit_b32 v16, v17, v16, v18
	s_delay_alu instid0(VALU_DEP_1) | instskip(NEXT) | instid1(VALU_DEP_3)
	v_alignbit_b32 v18, v20, v16, 9
	v_dual_lshrrev_b32 v20, 9, v20 :: v_dual_lshlrev_b32 v17, 31, v22
	s_delay_alu instid0(VALU_DEP_2) | instskip(NEXT) | instid1(VALU_DEP_2)
	v_clz_i32_u32_e32 v24, v18
	v_or_b32_e32 v22, 0.5, v17
	v_or_b32_e32 v17, 0x33000000, v17
	s_delay_alu instid0(VALU_DEP_2) | instskip(NEXT) | instid1(VALU_DEP_4)
	v_sub_nc_u32_e32 v22, v22, v23
	v_min_u32_e32 v23, 32, v24
	s_delay_alu instid0(VALU_DEP_1) | instskip(NEXT) | instid1(VALU_DEP_1)
	v_add_lshl_u32 v21, v23, v21, 23
	v_dual_sub_nc_u32 v17, v17, v21 :: v_dual_bitop2_b32 v20, v20, v22 bitop3:0x54
	v_not_b32_e32 v22, v23
	s_delay_alu instid0(VALU_DEP_2) | instskip(NEXT) | instid1(VALU_DEP_2)
	v_mul_f32_e32 v24, 0x3fc90fda, v20
	v_alignbit_b32 v16, v18, v16, v22
	s_delay_alu instid0(VALU_DEP_2) | instskip(NEXT) | instid1(VALU_DEP_2)
	v_fma_f32 v18, 0x3fc90fda, v20, -v24
	v_lshrrev_b32_e32 v16, 9, v16
	s_delay_alu instid0(VALU_DEP_2) | instskip(NEXT) | instid1(VALU_DEP_2)
	v_fmamk_f32 v18, v20, 0x33a22168, v18
	v_or_b32_e32 v16, v17, v16
	s_delay_alu instid0(VALU_DEP_1) | instskip(NEXT) | instid1(VALU_DEP_1)
	v_fmac_f32_e32 v18, 0x3fc90fda, v16
	v_dual_add_f32 v9, v24, v18 :: v_dual_lshrrev_b32 v16, 30, v9
	s_delay_alu instid0(VALU_DEP_1)
	v_add_nc_u32_e32 v16, v19, v16
.LBB10_15:
	s_and_not1_saveexec_b32 s0, s9
; %bb.16:
	v_mul_f32_e64 v9, 0x3f22f983, |v5|
	s_delay_alu instid0(VALU_DEP_1) | instskip(NEXT) | instid1(VALU_DEP_1)
	v_rndne_f32_e32 v16, v9
	v_fma_f32 v9, 0xbfc90fda, v16, |v5|
	s_delay_alu instid0(VALU_DEP_1) | instskip(NEXT) | instid1(VALU_DEP_1)
	v_fmamk_f32 v9, v16, 0xb3a22168, v9
	v_fmamk_f32 v9, v16, 0xa7c234c4, v9
	v_cvt_i32_f32_e32 v16, v16
; %bb.17:
	s_or_b32 exec_lo, exec_lo, s0
	v_pk_mul_f32 v[18:19], v[6:7], v[6:7]
	s_mov_b32 s0, 0x3c0881c4
	s_mov_b32 s12, 0xb94c1982
	;; [unrolled: 1-line block ×4, first 2 shown]
	v_dual_lshlrev_b32 v26, 30, v16 :: v_dual_lshlrev_b32 v27, 30, v15
	v_dual_lshlrev_b32 v23, 30, v10 :: v_dual_bitop2_b32 v15, 1, v15 bitop3:0x40
	v_and_b32_e32 v29, 1, v10
	v_xor_b32_e32 v30, v11, v3
	v_pk_fma_f32 v[10:11], v[18:19], s[12:13], s[0:1] op_sel_hi:[1,0,0]
	v_pk_fma_f32 v[20:21], v[18:19], s[16:17], s[14:15] op_sel_hi:[1,0,0]
	s_mov_b32 s18, 0xbe2aaa9d
	s_mov_b32 s20, 0x3d2aabf7
	;; [unrolled: 1-line block ×3, first 2 shown]
	v_pk_fma_f32 v[10:11], v[18:19], v[10:11], s[18:19] op_sel_hi:[1,1,0]
	v_pk_fma_f32 v[20:21], v[18:19], v[20:21], s[20:21] op_sel_hi:[1,1,0]
	v_dual_lshlrev_b32 v22, 30, v13 :: v_dual_bitop2_b32 v28, 1, v16 bitop3:0x40
	v_pk_mul_f32 v[16:17], v[8:9], v[8:9]
	s_delay_alu instid0(VALU_DEP_4) | instskip(NEXT) | instid1(VALU_DEP_4)
	v_pk_mul_f32 v[10:11], v[18:19], v[10:11]
	v_pk_fma_f32 v[20:21], v[18:19], v[20:21], s[22:23] op_sel_hi:[1,1,0]
	v_and_b32_e32 v32, 0x80000000, v23
	v_and_b32_e32 v31, 0x80000000, v22
	v_pk_fma_f32 v[22:23], v[16:17], s[12:13], s[0:1] op_sel_hi:[1,0,0]
	v_pk_fma_f32 v[6:7], v[6:7], v[10:11], v[6:7]
	v_pk_fma_f32 v[10:11], v[18:19], v[20:21], 1.0 op_sel_hi:[1,1,0]
	v_and_b32_e32 v13, 1, v13
	v_pk_fma_f32 v[24:25], v[16:17], s[16:17], s[14:15] op_sel_hi:[1,0,0]
	v_pk_fma_f32 v[18:19], v[16:17], v[22:23], s[18:19] op_sel_hi:[1,1,0]
	v_xor_b32_e32 v1, v1, v2
	v_xor_b32_e32 v14, v14, v5
	v_cmp_eq_u32_e32 vcc_lo, 0, v13
	v_pk_fma_f32 v[20:21], v[16:17], v[24:25], s[20:21] op_sel_hi:[1,1,0]
	v_pk_mul_f32 v[18:19], v[16:17], v[18:19]
	v_xor_b32_e32 v1, v1, v32
	v_and_b32_e32 v13, 0x80000000, v26
	v_cndmask_b32_e32 v7, v11, v7, vcc_lo
	v_cmp_eq_u32_e32 vcc_lo, 0, v29
	v_pk_fma_f32 v[20:21], v[16:17], v[20:21], s[22:23] op_sel_hi:[1,1,0]
	v_xor_b32_e32 v12, v12, v4
	s_add_nc_u64 s[2:3], s[4:5], s[2:3]
	s_mov_b32 s0, 0
	v_cndmask_b32_e32 v10, v10, v6, vcc_lo
	v_xor_b32_e32 v30, v30, v31
	v_cmp_eq_u32_e32 vcc_lo, 0, v28
	s_delay_alu instid0(VALU_DEP_3) | instskip(NEXT) | instid1(VALU_DEP_3)
	v_xor_b32_e32 v1, v1, v10
	v_xor_b32_e32 v11, v30, v7
	v_pk_fma_f32 v[6:7], v[8:9], v[18:19], v[8:9]
	v_pk_fma_f32 v[8:9], v[16:17], v[20:21], 1.0 op_sel_hi:[1,1,0]
	v_and_b32_e32 v16, 0x80000000, v27
	s_delay_alu instid0(VALU_DEP_2) | instskip(SKIP_1) | instid1(VALU_DEP_3)
	v_cndmask_b32_e32 v7, v9, v7, vcc_lo
	v_cmp_eq_u32_e32 vcc_lo, 0, v15
	v_xor_b32_e32 v9, v12, v16
	v_cndmask_b32_e32 v6, v8, v6, vcc_lo
	v_cmp_class_f32_e64 vcc_lo, v3, 0x1f8
	v_xor_b32_e32 v8, v14, v13
	s_delay_alu instid0(VALU_DEP_3) | instskip(SKIP_2) | instid1(VALU_DEP_4)
	v_xor_b32_e32 v6, v9, v6
	v_cndmask_b32_e32 v3, 0x7fc00000, v11, vcc_lo
	v_cmp_class_f32_e64 vcc_lo, v2, 0x1f8
	v_xor_b32_e32 v7, v8, v7
	v_cndmask_b32_e32 v2, 0x7fc00000, v1, vcc_lo
	v_cmp_class_f32_e64 vcc_lo, v5, 0x1f8
	s_delay_alu instid0(VALU_DEP_3)
	v_cndmask_b32_e32 v5, 0x7fc00000, v7, vcc_lo
	v_cmp_class_f32_e64 vcc_lo, v4, 0x1f8
	v_cndmask_b32_e32 v4, 0x7fc00000, v6, vcc_lo
	global_store_b128 v0, v[2:5], s[2:3] scale_offset
.LBB10_18:
	s_and_b32 vcc_lo, exec_lo, s0
	s_cbranch_vccz .LBB10_51
; %bb.19:
	v_cmp_gt_i32_e32 vcc_lo, s10, v0
	s_wait_xcnt 0x0
	v_dual_mov_b32 v9, 0 :: v_dual_bitop2_b32 v5, s8, v0 bitop3:0x54
	v_or_b32_e32 v6, 0x100, v0
	v_dual_mov_b32 v10, 0 :: v_dual_mov_b32 v1, v0
	s_and_saveexec_b32 s0, vcc_lo
	s_cbranch_execz .LBB10_21
; %bb.20:
	global_load_b32 v10, v5, s[6:7] scale_offset
	v_or_b32_e32 v1, 0x100, v0
.LBB10_21:
	s_wait_xcnt 0x0
	s_or_b32 exec_lo, exec_lo, s0
	s_delay_alu instid0(SALU_CYCLE_1) | instskip(NEXT) | instid1(VALU_DEP_1)
	s_mov_b32 s1, exec_lo
	v_cmpx_gt_i32_e64 s10, v1
	s_cbranch_execz .LBB10_23
; %bb.22:
	v_add_nc_u32_e32 v2, s8, v1
	v_add_nc_u32_e32 v1, 0x100, v1
	global_load_b32 v9, v2, s[6:7] scale_offset
.LBB10_23:
	s_wait_xcnt 0x0
	s_or_b32 exec_lo, exec_lo, s1
	v_dual_mov_b32 v7, 0 :: v_dual_mov_b32 v8, 0
	s_mov_b32 s1, exec_lo
	v_cmpx_gt_i32_e64 s10, v1
	s_cbranch_execz .LBB10_25
; %bb.24:
	v_add_nc_u32_e32 v2, s8, v1
	v_add_nc_u32_e32 v1, 0x100, v1
	global_load_b32 v8, v2, s[6:7] scale_offset
.LBB10_25:
	s_wait_xcnt 0x0
	s_or_b32 exec_lo, exec_lo, s1
	s_delay_alu instid0(SALU_CYCLE_1)
	s_mov_b32 s1, exec_lo
	v_cmpx_gt_i32_e64 s10, v1
	s_cbranch_execz .LBB10_27
; %bb.26:
	v_add_nc_u32_e32 v1, s8, v1
	global_load_b32 v7, v1, s[6:7] scale_offset
.LBB10_27:
	s_wait_xcnt 0x0
	s_or_b32 exec_lo, exec_lo, s1
	v_mov_b32_e32 v2, 0
	s_delay_alu instid0(VALU_DEP_1)
	v_dual_mov_b32 v1, v2 :: v_dual_mov_b32 v4, v2
	v_mov_b32_e32 v3, v2
	s_and_saveexec_b32 s3, vcc_lo
	s_cbranch_execz .LBB10_33
; %bb.28:
	s_wait_loadcnt 0x0
	v_and_b32_e32 v1, 0x7fffffff, v10
                                        ; implicit-def: $vgpr3
                                        ; implicit-def: $vgpr2
	s_mov_b32 s1, exec_lo
	v_cmpx_ngt_f32_e64 0x48000000, |v10|
	s_xor_b32 s6, exec_lo, s1
	s_cbranch_execz .LBB10_30
; %bb.29:
	s_mov_b32 s0, 0x7fffff
	v_mov_b32_e32 v3, 0
	v_and_or_b32 v2, v1, s0, 0x800000
	s_mov_b64 s[0:1], 0xfe5163ab
	v_lshrrev_b32_e32 v4, 23, v1
	s_delay_alu instid0(VALU_DEP_2) | instskip(NEXT) | instid1(VALU_DEP_1)
	v_mul_u64_e32 v[12:13], s[0:1], v[2:3]
	v_dual_mov_b32 v14, v13 :: v_dual_mov_b32 v15, v3
	v_dual_mov_b32 v17, v3 :: v_dual_mov_b32 v19, v3
	s_delay_alu instid0(VALU_DEP_4) | instskip(SKIP_1) | instid1(VALU_DEP_4)
	v_dual_mov_b32 v21, v3 :: v_dual_add_nc_u32 v4, 0xffffff88, v4
	v_mov_b32_e32 v25, v3
	v_mad_nc_u64_u32 v[14:15], 0x3c439041, v2, v[14:15]
	s_delay_alu instid0(VALU_DEP_3) | instskip(NEXT) | instid1(VALU_DEP_1)
	v_cmp_lt_u32_e64 s0, 63, v4
	v_cndmask_b32_e64 v11, 0, 0xffffffc0, s0
	s_delay_alu instid0(VALU_DEP_3) | instskip(NEXT) | instid1(VALU_DEP_1)
	v_mov_b32_e32 v16, v15
	v_mad_nc_u64_u32 v[16:17], 0xdb629599, v2, v[16:17]
	s_delay_alu instid0(VALU_DEP_1) | instskip(NEXT) | instid1(VALU_DEP_1)
	v_dual_mov_b32 v18, v17 :: v_dual_cndmask_b32 v12, v16, v12, s0
	v_mad_nc_u64_u32 v[18:19], 0xf534ddc0, v2, v[18:19]
	s_delay_alu instid0(VALU_DEP_1) | instskip(NEXT) | instid1(VALU_DEP_1)
	v_mov_b32_e32 v20, v19
	v_mad_nc_u64_u32 v[20:21], 0xfc2757d1, v2, v[20:21]
	s_delay_alu instid0(VALU_DEP_1) | instskip(NEXT) | instid1(VALU_DEP_2)
	v_dual_mov_b32 v23, v3 :: v_dual_mov_b32 v22, v21
	v_cndmask_b32_e64 v15, v20, v16, s0
	s_delay_alu instid0(VALU_DEP_2) | instskip(NEXT) | instid1(VALU_DEP_1)
	v_mad_nc_u64_u32 v[22:23], 0x4e441529, v2, v[22:23]
	v_dual_add_nc_u32 v4, v11, v4 :: v_dual_cndmask_b32 v13, v22, v18, s0
	s_delay_alu instid0(VALU_DEP_1) | instskip(NEXT) | instid1(VALU_DEP_3)
	v_cmp_lt_u32_e64 s1, 31, v4
	v_mov_b32_e32 v24, v23
	s_delay_alu instid0(VALU_DEP_2) | instskip(NEXT) | instid1(VALU_DEP_2)
	v_cndmask_b32_e64 v11, 0, 0xffffffe0, s1
	v_mad_nc_u64_u32 v[2:3], 0xa2f9836e, v2, v[24:25]
	s_delay_alu instid0(VALU_DEP_2) | instskip(NEXT) | instid1(VALU_DEP_1)
	v_add_nc_u32_e32 v4, v11, v4
	v_cmp_lt_u32_e64 s2, 31, v4
	s_delay_alu instid0(VALU_DEP_3) | instskip(NEXT) | instid1(VALU_DEP_2)
	v_dual_cndmask_b32 v2, v2, v20, s0 :: v_dual_cndmask_b32 v3, v3, v22, s0
	v_cndmask_b32_e64 v11, 0, 0xffffffe0, s2
	s_delay_alu instid0(VALU_DEP_1) | instskip(NEXT) | instid1(VALU_DEP_3)
	v_dual_add_nc_u32 v4, v11, v4 :: v_dual_cndmask_b32 v11, v18, v14, s0
	v_dual_cndmask_b32 v14, v2, v13, s1 :: v_dual_cndmask_b32 v2, v3, v2, s1
	s_delay_alu instid0(VALU_DEP_2) | instskip(NEXT) | instid1(VALU_DEP_3)
	v_dual_cndmask_b32 v3, v13, v15, s1 :: v_dual_sub_nc_u32 v13, 32, v4
	v_cndmask_b32_e64 v15, v15, v11, s1
	v_cmp_eq_u32_e64 s0, 0, v4
	s_delay_alu instid0(VALU_DEP_4) | instskip(NEXT) | instid1(VALU_DEP_4)
	v_cndmask_b32_e64 v2, v2, v14, s2
	v_dual_cndmask_b32 v14, v14, v3, s2 :: v_dual_cndmask_b32 v4, v11, v12, s1
	s_delay_alu instid0(VALU_DEP_4) | instskip(NEXT) | instid1(VALU_DEP_2)
	v_cndmask_b32_e64 v3, v3, v15, s2
	v_alignbit_b32 v17, v2, v14, v13
	s_delay_alu instid0(VALU_DEP_3) | instskip(NEXT) | instid1(VALU_DEP_3)
	v_cndmask_b32_e64 v4, v15, v4, s2
	v_alignbit_b32 v16, v14, v3, v13
	s_delay_alu instid0(VALU_DEP_3) | instskip(NEXT) | instid1(VALU_DEP_3)
	;; [unrolled: 3-line block ×3, first 2 shown]
	v_cndmask_b32_e64 v11, v16, v14, s0
	v_bfe_u32 v12, v2, 29, 1
	s_delay_alu instid0(VALU_DEP_3) | instskip(NEXT) | instid1(VALU_DEP_3)
	v_cndmask_b32_e64 v3, v13, v3, s0
	v_alignbit_b32 v14, v2, v11, 30
	s_delay_alu instid0(VALU_DEP_3) | instskip(NEXT) | instid1(VALU_DEP_3)
	v_sub_nc_u32_e32 v15, 0, v12
	v_alignbit_b32 v11, v11, v3, 30
	v_alignbit_b32 v3, v3, v4, 30
	s_delay_alu instid0(VALU_DEP_3) | instskip(NEXT) | instid1(VALU_DEP_3)
	v_xor_b32_e32 v14, v14, v15
	v_xor_b32_e32 v4, v11, v15
	s_delay_alu instid0(VALU_DEP_3) | instskip(NEXT) | instid1(VALU_DEP_3)
	v_dual_lshrrev_b32 v15, 29, v2 :: v_dual_bitop2_b32 v3, v3, v15 bitop3:0x14
	v_clz_i32_u32_e32 v13, v14
	s_delay_alu instid0(VALU_DEP_1) | instskip(NEXT) | instid1(VALU_DEP_1)
	v_min_u32_e32 v13, 32, v13
	v_dual_sub_nc_u32 v11, 31, v13 :: v_dual_lshlrev_b32 v16, 23, v13
	s_delay_alu instid0(VALU_DEP_1) | instskip(SKIP_2) | instid1(VALU_DEP_2)
	v_alignbit_b32 v14, v14, v4, v11
	v_alignbit_b32 v3, v4, v3, v11
	v_lshlrev_b32_e32 v4, 31, v15
	v_alignbit_b32 v11, v14, v3, 9
	s_delay_alu instid0(VALU_DEP_2) | instskip(SKIP_1) | instid1(VALU_DEP_3)
	v_dual_lshrrev_b32 v14, 9, v14 :: v_dual_bitop2_b32 v15, 0.5, v4 bitop3:0x54
	v_or_b32_e32 v4, 0x33000000, v4
	v_clz_i32_u32_e32 v17, v11
	s_delay_alu instid0(VALU_DEP_3) | instskip(NEXT) | instid1(VALU_DEP_2)
	v_sub_nc_u32_e32 v15, v15, v16
	v_min_u32_e32 v16, 32, v17
	s_delay_alu instid0(VALU_DEP_1) | instskip(NEXT) | instid1(VALU_DEP_3)
	v_add_lshl_u32 v13, v16, v13, 23
	v_or_b32_e32 v14, v14, v15
	v_not_b32_e32 v15, v16
	s_delay_alu instid0(VALU_DEP_2) | instskip(NEXT) | instid1(VALU_DEP_2)
	v_dual_mul_f32 v17, 0x3fc90fda, v14 :: v_dual_sub_nc_u32 v4, v4, v13
	v_alignbit_b32 v3, v11, v3, v15
	s_delay_alu instid0(VALU_DEP_2) | instskip(NEXT) | instid1(VALU_DEP_2)
	v_fma_f32 v11, 0x3fc90fda, v14, -v17
	v_lshrrev_b32_e32 v3, 9, v3
	s_delay_alu instid0(VALU_DEP_2) | instskip(NEXT) | instid1(VALU_DEP_2)
	v_fmamk_f32 v11, v14, 0x33a22168, v11
	v_or_b32_e32 v3, v4, v3
	s_delay_alu instid0(VALU_DEP_1) | instskip(NEXT) | instid1(VALU_DEP_1)
	v_fmac_f32_e32 v11, 0x3fc90fda, v3
	v_dual_add_f32 v2, v17, v11 :: v_dual_lshrrev_b32 v3, 30, v2
	s_delay_alu instid0(VALU_DEP_1)
	v_add_nc_u32_e32 v3, v12, v3
.LBB10_30:
	s_and_not1_saveexec_b32 s0, s6
; %bb.31:
	v_mul_f32_e64 v2, 0x3f22f983, |v10|
	s_delay_alu instid0(VALU_DEP_1) | instskip(NEXT) | instid1(VALU_DEP_1)
	v_rndne_f32_e32 v3, v2
	v_fma_f32 v2, 0xbfc90fda, v3, |v10|
	s_delay_alu instid0(VALU_DEP_1) | instskip(NEXT) | instid1(VALU_DEP_1)
	v_fmamk_f32 v2, v3, 0xb3a22168, v2
	v_fmamk_f32 v2, v3, 0xa7c234c4, v2
	v_cvt_i32_f32_e32 v3, v3
; %bb.32:
	s_or_b32 exec_lo, exec_lo, s0
	s_delay_alu instid0(VALU_DEP_1) | instskip(SKIP_3) | instid1(VALU_DEP_2)
	v_dual_mul_f32 v4, v2, v2 :: v_dual_bitop2_b32 v13, 1, v3 bitop3:0x40
	s_mov_b32 s0, 0xb94c1982
	s_mov_b32 s1, 0x37d75334
	v_lshlrev_b32_e32 v3, 30, v3
	v_fmaak_f32 v11, s0, v4, 0x3c0881c4
	v_cmp_eq_u32_e64 s0, 0, v13
	s_delay_alu instid0(VALU_DEP_3) | instskip(NEXT) | instid1(VALU_DEP_3)
	v_and_b32_e32 v3, 0x80000000, v3
	v_fmaak_f32 v11, v4, v11, 0xbe2aaa9d
	s_delay_alu instid0(VALU_DEP_1) | instskip(NEXT) | instid1(VALU_DEP_1)
	v_dual_fmaak_f32 v12, s1, v4, 0xbab64f3b :: v_dual_mul_f32 v11, v4, v11
	v_fmaak_f32 v12, v4, v12, 0x3d2aabf7
	s_delay_alu instid0(VALU_DEP_2) | instskip(NEXT) | instid1(VALU_DEP_2)
	v_dual_fmac_f32 v2, v2, v11 :: v_dual_bitop2_b32 v11, v1, v10 bitop3:0x14
	v_dual_fmaak_f32 v12, v4, v12, 0xbf000004 :: v_dual_mov_b32 v1, 0
	s_delay_alu instid0(VALU_DEP_1) | instskip(NEXT) | instid1(VALU_DEP_1)
	v_fma_f32 v4, v4, v12, 1.0
	v_cndmask_b32_e64 v2, v4, v2, s0
	v_cmp_class_f32_e64 s0, v10, 0x1f8
	s_delay_alu instid0(VALU_DEP_4) | instskip(NEXT) | instid1(VALU_DEP_3)
	v_mov_b32_e32 v4, v1
	v_xor3_b32 v2, v11, v3, v2
	v_mov_b32_e32 v3, v1
	s_delay_alu instid0(VALU_DEP_2)
	v_cndmask_b32_e64 v2, 0x7fc00000, v2, s0
.LBB10_33:
	s_or_b32 exec_lo, exec_lo, s3
	s_delay_alu instid0(SALU_CYCLE_1)
	s_mov_b32 s3, exec_lo
	v_cmpx_gt_i32_e64 s10, v6
	s_cbranch_execz .LBB10_39
; %bb.34:
	s_wait_loadcnt 0x0
	v_and_b32_e32 v1, 0x7fffffff, v9
                                        ; implicit-def: $vgpr11
                                        ; implicit-def: $vgpr10
	s_mov_b32 s1, exec_lo
	v_cmpx_ngt_f32_e64 0x48000000, |v9|
	s_xor_b32 s6, exec_lo, s1
	s_cbranch_execz .LBB10_36
; %bb.35:
	s_mov_b32 s0, 0x7fffff
	v_mov_b32_e32 v11, 0
	v_and_or_b32 v10, v1, s0, 0x800000
	s_mov_b64 s[0:1], 0xfe5163ab
	s_delay_alu instid0(VALU_DEP_1) | instid1(SALU_CYCLE_1)
	v_mul_u64_e32 v[12:13], s[0:1], v[10:11]
	s_delay_alu instid0(VALU_DEP_1) | instskip(SKIP_2) | instid1(VALU_DEP_3)
	v_dual_mov_b32 v14, v13 :: v_dual_mov_b32 v15, v11
	v_dual_mov_b32 v17, v11 :: v_dual_mov_b32 v19, v11
	v_dual_mov_b32 v21, v11 :: v_dual_lshrrev_b32 v13, 23, v1
	v_mad_nc_u64_u32 v[14:15], 0x3c439041, v10, v[14:15]
	s_delay_alu instid0(VALU_DEP_1) | instskip(NEXT) | instid1(VALU_DEP_1)
	v_mov_b32_e32 v16, v15
	v_mad_nc_u64_u32 v[16:17], 0xdb629599, v10, v[16:17]
	s_delay_alu instid0(VALU_DEP_1) | instskip(NEXT) | instid1(VALU_DEP_1)
	v_mov_b32_e32 v18, v17
	;; [unrolled: 3-line block ×3, first 2 shown]
	v_mad_nc_u64_u32 v[20:21], 0xfc2757d1, v10, v[20:21]
	s_delay_alu instid0(VALU_DEP_1) | instskip(NEXT) | instid1(VALU_DEP_1)
	v_dual_mov_b32 v23, v11 :: v_dual_mov_b32 v22, v21
	v_mad_nc_u64_u32 v[22:23], 0x4e441529, v10, v[22:23]
	s_delay_alu instid0(VALU_DEP_1) | instskip(NEXT) | instid1(VALU_DEP_1)
	v_dual_mov_b32 v24, v23 :: v_dual_add_nc_u32 v13, 0xffffff88, v13
	v_cmp_lt_u32_e64 s0, 63, v13
	v_mov_b32_e32 v25, v11
	s_delay_alu instid0(VALU_DEP_2) | instskip(NEXT) | instid1(VALU_DEP_2)
	v_cndmask_b32_e64 v15, 0, 0xffffffc0, s0
	v_mad_nc_u64_u32 v[10:11], 0xa2f9836e, v10, v[24:25]
	v_dual_cndmask_b32 v17, v22, v18, s0 :: v_dual_cndmask_b32 v19, v20, v16, s0
	s_delay_alu instid0(VALU_DEP_3) | instskip(SKIP_1) | instid1(VALU_DEP_2)
	v_dual_cndmask_b32 v14, v18, v14, s0 :: v_dual_add_nc_u32 v13, v15, v13
	v_cndmask_b32_e64 v12, v16, v12, s0
	v_cmp_lt_u32_e64 s1, 31, v13
	v_dual_cndmask_b32 v10, v10, v20, s0 :: v_dual_cndmask_b32 v11, v11, v22, s0
	s_delay_alu instid0(VALU_DEP_2) | instskip(NEXT) | instid1(VALU_DEP_4)
	v_cndmask_b32_e64 v15, 0, 0xffffffe0, s1
	v_dual_cndmask_b32 v18, v19, v14, s1 :: v_dual_cndmask_b32 v12, v14, v12, s1
	s_delay_alu instid0(VALU_DEP_2) | instskip(NEXT) | instid1(VALU_DEP_1)
	v_add_nc_u32_e32 v13, v15, v13
	v_cmp_lt_u32_e64 s2, 31, v13
	s_delay_alu instid0(VALU_DEP_1) | instskip(NEXT) | instid1(VALU_DEP_1)
	v_cndmask_b32_e64 v15, 0, 0xffffffe0, s2
	v_dual_cndmask_b32 v12, v18, v12, s2 :: v_dual_add_nc_u32 v13, v15, v13
	v_dual_cndmask_b32 v15, v10, v17, s1 :: v_dual_cndmask_b32 v10, v11, v10, s1
	s_delay_alu instid0(VALU_DEP_2) | instskip(SKIP_1) | instid1(VALU_DEP_3)
	v_dual_cndmask_b32 v11, v17, v19, s1 :: v_dual_sub_nc_u32 v17, 32, v13
	v_cmp_eq_u32_e64 s0, 0, v13
	v_cndmask_b32_e64 v10, v10, v15, s2
	s_delay_alu instid0(VALU_DEP_3) | instskip(SKIP_1) | instid1(VALU_DEP_2)
	v_cndmask_b32_e64 v15, v15, v11, s2
	v_cndmask_b32_e64 v11, v11, v18, s2
	v_alignbit_b32 v19, v10, v15, v17
	s_delay_alu instid0(VALU_DEP_2) | instskip(SKIP_1) | instid1(VALU_DEP_2)
	v_alignbit_b32 v16, v15, v11, v17
	v_alignbit_b32 v17, v11, v12, v17
	v_dual_cndmask_b32 v10, v19, v10, s0 :: v_dual_cndmask_b32 v13, v16, v15, s0
	s_delay_alu instid0(VALU_DEP_2) | instskip(NEXT) | instid1(VALU_DEP_2)
	v_cndmask_b32_e64 v11, v17, v11, s0
	v_bfe_u32 v14, v10, 29, 1
	s_delay_alu instid0(VALU_DEP_3) | instskip(NEXT) | instid1(VALU_DEP_3)
	v_alignbit_b32 v15, v10, v13, 30
	v_alignbit_b32 v13, v13, v11, 30
	;; [unrolled: 1-line block ×3, first 2 shown]
	s_delay_alu instid0(VALU_DEP_4) | instskip(NEXT) | instid1(VALU_DEP_1)
	v_sub_nc_u32_e32 v16, 0, v14
	v_xor_b32_e32 v15, v15, v16
	s_delay_alu instid0(VALU_DEP_4) | instskip(NEXT) | instid1(VALU_DEP_4)
	v_xor_b32_e32 v12, v13, v16
	v_dual_lshrrev_b32 v16, 29, v10 :: v_dual_bitop2_b32 v11, v11, v16 bitop3:0x14
	s_delay_alu instid0(VALU_DEP_3) | instskip(NEXT) | instid1(VALU_DEP_1)
	v_clz_i32_u32_e32 v17, v15
	v_min_u32_e32 v17, 32, v17
	s_delay_alu instid0(VALU_DEP_1) | instskip(NEXT) | instid1(VALU_DEP_1)
	v_dual_sub_nc_u32 v13, 31, v17 :: v_dual_lshlrev_b32 v18, 23, v17
	v_alignbit_b32 v15, v15, v12, v13
	v_alignbit_b32 v11, v12, v11, v13
	v_lshlrev_b32_e32 v12, 31, v16
	s_delay_alu instid0(VALU_DEP_2) | instskip(NEXT) | instid1(VALU_DEP_2)
	v_alignbit_b32 v13, v15, v11, 9
	v_dual_lshrrev_b32 v15, 9, v15 :: v_dual_bitop2_b32 v16, 0.5, v12 bitop3:0x54
	v_or_b32_e32 v12, 0x33000000, v12
	s_delay_alu instid0(VALU_DEP_3) | instskip(NEXT) | instid1(VALU_DEP_3)
	v_clz_i32_u32_e32 v19, v13
	v_sub_nc_u32_e32 v16, v16, v18
	s_delay_alu instid0(VALU_DEP_2) | instskip(NEXT) | instid1(VALU_DEP_1)
	v_min_u32_e32 v18, 32, v19
	v_add_lshl_u32 v17, v18, v17, 23
	s_delay_alu instid0(VALU_DEP_3) | instskip(SKIP_1) | instid1(VALU_DEP_2)
	v_or_b32_e32 v15, v15, v16
	v_not_b32_e32 v16, v18
	v_dual_mul_f32 v19, 0x3fc90fda, v15 :: v_dual_sub_nc_u32 v12, v12, v17
	s_delay_alu instid0(VALU_DEP_2) | instskip(NEXT) | instid1(VALU_DEP_2)
	v_alignbit_b32 v11, v13, v11, v16
	v_fma_f32 v13, 0x3fc90fda, v15, -v19
	s_delay_alu instid0(VALU_DEP_2) | instskip(NEXT) | instid1(VALU_DEP_2)
	v_lshrrev_b32_e32 v11, 9, v11
	v_fmamk_f32 v13, v15, 0x33a22168, v13
	s_delay_alu instid0(VALU_DEP_2) | instskip(NEXT) | instid1(VALU_DEP_1)
	v_or_b32_e32 v11, v12, v11
	v_fmac_f32_e32 v13, 0x3fc90fda, v11
	s_delay_alu instid0(VALU_DEP_1) | instskip(NEXT) | instid1(VALU_DEP_1)
	v_dual_add_f32 v10, v19, v13 :: v_dual_lshrrev_b32 v11, 30, v10
	v_add_nc_u32_e32 v11, v14, v11
.LBB10_36:
	s_and_not1_saveexec_b32 s0, s6
; %bb.37:
	v_mul_f32_e64 v10, 0x3f22f983, |v9|
	s_delay_alu instid0(VALU_DEP_1) | instskip(NEXT) | instid1(VALU_DEP_1)
	v_rndne_f32_e32 v11, v10
	v_fma_f32 v10, 0xbfc90fda, v11, |v9|
	s_delay_alu instid0(VALU_DEP_1) | instskip(NEXT) | instid1(VALU_DEP_1)
	v_fmamk_f32 v10, v11, 0xb3a22168, v10
	v_fmamk_f32 v10, v11, 0xa7c234c4, v10
	v_cvt_i32_f32_e32 v11, v11
; %bb.38:
	s_or_b32 exec_lo, exec_lo, s0
	s_delay_alu instid0(VALU_DEP_1) | instskip(SKIP_3) | instid1(VALU_DEP_2)
	v_dual_mul_f32 v12, v10, v10 :: v_dual_bitop2_b32 v15, 1, v11 bitop3:0x40
	s_mov_b32 s0, 0xb94c1982
	s_mov_b32 s1, 0x37d75334
	v_lshlrev_b32_e32 v11, 30, v11
	v_fmaak_f32 v13, s0, v12, 0x3c0881c4
	v_cmp_eq_u32_e64 s0, 0, v15
	v_xor_b32_e32 v1, v1, v9
	s_delay_alu instid0(VALU_DEP_4) | instskip(NEXT) | instid1(VALU_DEP_4)
	v_and_b32_e32 v11, 0x80000000, v11
	v_fmaak_f32 v13, v12, v13, 0xbe2aaa9d
	s_delay_alu instid0(VALU_DEP_1) | instskip(NEXT) | instid1(VALU_DEP_1)
	v_dual_fmaak_f32 v14, s1, v12, 0xbab64f3b :: v_dual_mul_f32 v13, v12, v13
	v_fmaak_f32 v14, v12, v14, 0x3d2aabf7
	s_delay_alu instid0(VALU_DEP_2) | instskip(NEXT) | instid1(VALU_DEP_2)
	v_fmac_f32_e32 v10, v10, v13
	v_fmaak_f32 v14, v12, v14, 0xbf000004
	s_delay_alu instid0(VALU_DEP_1) | instskip(NEXT) | instid1(VALU_DEP_1)
	v_fma_f32 v12, v12, v14, 1.0
	v_cndmask_b32_e64 v10, v12, v10, s0
	v_cmp_class_f32_e64 s0, v9, 0x1f8
	s_delay_alu instid0(VALU_DEP_2) | instskip(NEXT) | instid1(VALU_DEP_1)
	v_xor3_b32 v1, v1, v11, v10
	v_cndmask_b32_e64 v1, 0x7fc00000, v1, s0
.LBB10_39:
	s_or_b32 exec_lo, exec_lo, s3
	s_wait_loadcnt 0x0
	v_or_b32_e32 v9, 0x200, v0
	s_mov_b32 s3, exec_lo
	s_delay_alu instid0(VALU_DEP_1)
	v_cmpx_gt_i32_e64 s10, v9
	s_cbranch_execz .LBB10_45
; %bb.40:
	v_and_b32_e32 v4, 0x7fffffff, v8
                                        ; implicit-def: $vgpr10
                                        ; implicit-def: $vgpr9
	s_mov_b32 s1, exec_lo
	v_cmpx_ngt_f32_e64 0x48000000, |v8|
	s_xor_b32 s6, exec_lo, s1
	s_cbranch_execz .LBB10_42
; %bb.41:
	s_mov_b32 s0, 0x7fffff
	v_mov_b32_e32 v11, 0
	v_and_or_b32 v10, v4, s0, 0x800000
	s_mov_b64 s[0:1], 0xfe5163ab
	v_lshrrev_b32_e32 v9, 23, v4
	s_delay_alu instid0(VALU_DEP_2) | instskip(NEXT) | instid1(VALU_DEP_1)
	v_mul_u64_e32 v[12:13], s[0:1], v[10:11]
	v_dual_mov_b32 v14, v13 :: v_dual_mov_b32 v15, v11
	v_dual_mov_b32 v17, v11 :: v_dual_mov_b32 v19, v11
	;; [unrolled: 1-line block ×3, first 2 shown]
	s_delay_alu instid0(VALU_DEP_3) | instskip(NEXT) | instid1(VALU_DEP_1)
	v_mad_nc_u64_u32 v[14:15], 0x3c439041, v10, v[14:15]
	v_mov_b32_e32 v16, v15
	s_delay_alu instid0(VALU_DEP_1) | instskip(NEXT) | instid1(VALU_DEP_1)
	v_mad_nc_u64_u32 v[16:17], 0xdb629599, v10, v[16:17]
	v_mov_b32_e32 v18, v17
	s_delay_alu instid0(VALU_DEP_1) | instskip(NEXT) | instid1(VALU_DEP_1)
	;; [unrolled: 3-line block ×3, first 2 shown]
	v_mad_nc_u64_u32 v[20:21], 0xfc2757d1, v10, v[20:21]
	v_dual_mov_b32 v23, v11 :: v_dual_mov_b32 v22, v21
	s_delay_alu instid0(VALU_DEP_1) | instskip(NEXT) | instid1(VALU_DEP_1)
	v_mad_nc_u64_u32 v[22:23], 0x4e441529, v10, v[22:23]
	v_dual_mov_b32 v24, v23 :: v_dual_add_nc_u32 v9, 0xffffff88, v9
	s_delay_alu instid0(VALU_DEP_1) | instskip(NEXT) | instid1(VALU_DEP_2)
	v_cmp_lt_u32_e64 s0, 63, v9
	v_mad_nc_u64_u32 v[10:11], 0xa2f9836e, v10, v[24:25]
	s_delay_alu instid0(VALU_DEP_2) | instskip(SKIP_1) | instid1(VALU_DEP_2)
	v_cndmask_b32_e64 v13, 0, 0xffffffc0, s0
	v_dual_cndmask_b32 v15, v22, v18, s0 :: v_dual_cndmask_b32 v12, v16, v12, s0
	v_add_nc_u32_e32 v9, v13, v9
	s_delay_alu instid0(VALU_DEP_1) | instskip(SKIP_1) | instid1(VALU_DEP_2)
	v_cmp_lt_u32_e64 s1, 31, v9
	v_dual_cndmask_b32 v10, v10, v20, s0 :: v_dual_cndmask_b32 v11, v11, v22, s0
	v_cndmask_b32_e64 v13, 0, 0xffffffe0, s1
	s_delay_alu instid0(VALU_DEP_1) | instskip(NEXT) | instid1(VALU_DEP_1)
	v_add_nc_u32_e32 v9, v13, v9
	v_cmp_lt_u32_e64 s2, 31, v9
	s_delay_alu instid0(VALU_DEP_1) | instskip(NEXT) | instid1(VALU_DEP_1)
	v_cndmask_b32_e64 v13, 0, 0xffffffe0, s2
	v_dual_cndmask_b32 v17, v20, v16, s0 :: v_dual_add_nc_u32 v9, v13, v9
	v_cndmask_b32_e64 v13, v18, v14, s0
	v_dual_cndmask_b32 v14, v10, v15, s1 :: v_dual_cndmask_b32 v10, v11, v10, s1
	s_delay_alu instid0(VALU_DEP_3) | instskip(NEXT) | instid1(VALU_DEP_4)
	v_cndmask_b32_e64 v11, v15, v17, s1
	v_sub_nc_u32_e32 v15, 32, v9
	s_delay_alu instid0(VALU_DEP_4) | instskip(SKIP_2) | instid1(VALU_DEP_3)
	v_cndmask_b32_e64 v17, v17, v13, s1
	v_cmp_eq_u32_e64 s0, 0, v9
	v_cndmask_b32_e64 v10, v10, v14, s2
	v_dual_cndmask_b32 v14, v14, v11, s2 :: v_dual_cndmask_b32 v11, v11, v17, s2
	s_delay_alu instid0(VALU_DEP_1) | instskip(NEXT) | instid1(VALU_DEP_2)
	v_alignbit_b32 v18, v10, v14, v15
	v_alignbit_b32 v16, v14, v11, v15
	s_delay_alu instid0(VALU_DEP_2) | instskip(NEXT) | instid1(VALU_DEP_1)
	v_dual_cndmask_b32 v9, v18, v10, s0 :: v_dual_cndmask_b32 v10, v13, v12, s1
	v_bfe_u32 v13, v9, 29, 1
	s_delay_alu instid0(VALU_DEP_1) | instskip(NEXT) | instid1(VALU_DEP_1)
	v_dual_cndmask_b32 v12, v16, v14, s0 :: v_dual_sub_nc_u32 v16, 0, v13
	v_alignbit_b32 v14, v9, v12, 30
	s_delay_alu instid0(VALU_DEP_1) | instskip(NEXT) | instid1(VALU_DEP_1)
	v_dual_cndmask_b32 v10, v17, v10, s2 :: v_dual_bitop2_b32 v14, v14, v16 bitop3:0x14
	v_alignbit_b32 v15, v11, v10, v15
	s_delay_alu instid0(VALU_DEP_1) | instskip(NEXT) | instid1(VALU_DEP_3)
	v_cndmask_b32_e64 v11, v15, v11, s0
	v_clz_i32_u32_e32 v15, v14
	s_delay_alu instid0(VALU_DEP_2) | instskip(NEXT) | instid1(VALU_DEP_2)
	v_alignbit_b32 v10, v11, v10, 30
	v_min_u32_e32 v15, 32, v15
	s_delay_alu instid0(VALU_DEP_2) | instskip(SKIP_1) | instid1(VALU_DEP_1)
	v_xor_b32_e32 v10, v10, v16
	v_alignbit_b32 v12, v12, v11, 30
	v_dual_lshlrev_b32 v17, 23, v15 :: v_dual_bitop2_b32 v11, v12, v16 bitop3:0x14
	v_dual_sub_nc_u32 v12, 31, v15 :: v_dual_lshrrev_b32 v16, 29, v9
	s_delay_alu instid0(VALU_DEP_1) | instskip(SKIP_1) | instid1(VALU_DEP_3)
	v_alignbit_b32 v14, v14, v11, v12
	v_alignbit_b32 v10, v11, v10, v12
	v_lshlrev_b32_e32 v11, 31, v16
	s_delay_alu instid0(VALU_DEP_2) | instskip(NEXT) | instid1(VALU_DEP_2)
	v_alignbit_b32 v12, v14, v10, 9
	v_dual_lshrrev_b32 v14, 9, v14 :: v_dual_bitop2_b32 v16, 0.5, v11 bitop3:0x54
	s_delay_alu instid0(VALU_DEP_2) | instskip(NEXT) | instid1(VALU_DEP_2)
	v_clz_i32_u32_e32 v18, v12
	v_sub_nc_u32_e32 v16, v16, v17
	v_or_b32_e32 v11, 0x33000000, v11
	s_delay_alu instid0(VALU_DEP_3) | instskip(NEXT) | instid1(VALU_DEP_1)
	v_min_u32_e32 v17, 32, v18
	v_add_lshl_u32 v15, v17, v15, 23
	s_delay_alu instid0(VALU_DEP_4) | instskip(SKIP_1) | instid1(VALU_DEP_2)
	v_or_b32_e32 v14, v14, v16
	v_not_b32_e32 v16, v17
	v_dual_mul_f32 v18, 0x3fc90fda, v14 :: v_dual_sub_nc_u32 v11, v11, v15
	s_delay_alu instid0(VALU_DEP_2) | instskip(NEXT) | instid1(VALU_DEP_2)
	v_alignbit_b32 v10, v12, v10, v16
	v_fma_f32 v12, 0x3fc90fda, v14, -v18
	s_delay_alu instid0(VALU_DEP_2) | instskip(NEXT) | instid1(VALU_DEP_2)
	v_lshrrev_b32_e32 v10, 9, v10
	v_fmamk_f32 v12, v14, 0x33a22168, v12
	s_delay_alu instid0(VALU_DEP_2) | instskip(NEXT) | instid1(VALU_DEP_1)
	v_or_b32_e32 v10, v11, v10
	v_fmac_f32_e32 v12, 0x3fc90fda, v10
	s_delay_alu instid0(VALU_DEP_1) | instskip(NEXT) | instid1(VALU_DEP_1)
	v_dual_add_f32 v9, v18, v12 :: v_dual_lshrrev_b32 v10, 30, v9
	v_add_nc_u32_e32 v10, v13, v10
.LBB10_42:
	s_and_not1_saveexec_b32 s0, s6
; %bb.43:
	v_mul_f32_e64 v9, 0x3f22f983, |v8|
	s_delay_alu instid0(VALU_DEP_1) | instskip(NEXT) | instid1(VALU_DEP_1)
	v_rndne_f32_e32 v10, v9
	v_fma_f32 v9, 0xbfc90fda, v10, |v8|
	s_delay_alu instid0(VALU_DEP_1) | instskip(NEXT) | instid1(VALU_DEP_1)
	v_fmamk_f32 v9, v10, 0xb3a22168, v9
	v_fmamk_f32 v9, v10, 0xa7c234c4, v9
	v_cvt_i32_f32_e32 v10, v10
; %bb.44:
	s_or_b32 exec_lo, exec_lo, s0
	s_delay_alu instid0(VALU_DEP_1) | instskip(SKIP_3) | instid1(VALU_DEP_2)
	v_dual_mul_f32 v11, v9, v9 :: v_dual_bitop2_b32 v14, 1, v10 bitop3:0x40
	s_mov_b32 s0, 0xb94c1982
	s_mov_b32 s1, 0x37d75334
	v_lshlrev_b32_e32 v10, 30, v10
	v_fmaak_f32 v12, s0, v11, 0x3c0881c4
	v_cmp_eq_u32_e64 s0, 0, v14
	v_xor_b32_e32 v4, v4, v8
	s_delay_alu instid0(VALU_DEP_4) | instskip(NEXT) | instid1(VALU_DEP_4)
	v_and_b32_e32 v10, 0x80000000, v10
	v_fmaak_f32 v12, v11, v12, 0xbe2aaa9d
	s_delay_alu instid0(VALU_DEP_1) | instskip(NEXT) | instid1(VALU_DEP_1)
	v_dual_fmaak_f32 v13, s1, v11, 0xbab64f3b :: v_dual_mul_f32 v12, v11, v12
	v_fmaak_f32 v13, v11, v13, 0x3d2aabf7
	s_delay_alu instid0(VALU_DEP_2) | instskip(NEXT) | instid1(VALU_DEP_2)
	v_fmac_f32_e32 v9, v9, v12
	v_fmaak_f32 v13, v11, v13, 0xbf000004
	s_delay_alu instid0(VALU_DEP_1) | instskip(NEXT) | instid1(VALU_DEP_1)
	v_fma_f32 v11, v11, v13, 1.0
	v_cndmask_b32_e64 v9, v11, v9, s0
	v_cmp_class_f32_e64 s0, v8, 0x1f8
	s_delay_alu instid0(VALU_DEP_2) | instskip(NEXT) | instid1(VALU_DEP_1)
	v_xor3_b32 v4, v4, v10, v9
	v_cndmask_b32_e64 v4, 0x7fc00000, v4, s0
.LBB10_45:
	s_or_b32 exec_lo, exec_lo, s3
	v_or_b32_e32 v8, 0x300, v0
	s_mov_b32 s3, exec_lo
	s_delay_alu instid0(VALU_DEP_1)
	v_cmpx_gt_i32_e64 s10, v8
	s_cbranch_execnz .LBB10_52
; %bb.46:
	s_or_b32 exec_lo, exec_lo, s3
	s_and_saveexec_b32 s0, vcc_lo
	s_delay_alu instid0(SALU_CYCLE_1)
	s_xor_b32 s0, exec_lo, s0
	s_cbranch_execnz .LBB10_57
.LBB10_47:
	s_or_b32 exec_lo, exec_lo, s0
	s_delay_alu instid0(SALU_CYCLE_1)
	s_mov_b32 s0, exec_lo
	v_cmpx_gt_i32_e64 s10, v0
	s_cbranch_execnz .LBB10_58
.LBB10_48:
	s_or_b32 exec_lo, exec_lo, s0
	s_delay_alu instid0(SALU_CYCLE_1)
	s_mov_b32 s0, exec_lo
	v_cmpx_gt_i32_e64 s10, v0
	s_cbranch_execnz .LBB10_59
.LBB10_49:
	s_or_b32 exec_lo, exec_lo, s0
	s_delay_alu instid0(SALU_CYCLE_1)
	s_mov_b32 s0, exec_lo
	v_cmpx_gt_i32_e64 s10, v0
	s_cbranch_execz .LBB10_51
.LBB10_50:
	v_add_nc_u32_e32 v0, s8, v0
	global_store_b32 v0, v3, s[4:5] scale_offset
.LBB10_51:
	s_endpgm
.LBB10_52:
	v_and_b32_e32 v3, 0x7fffffff, v7
                                        ; implicit-def: $vgpr9
                                        ; implicit-def: $vgpr8
	s_mov_b32 s1, exec_lo
	v_cmpx_ngt_f32_e64 0x48000000, |v7|
	s_xor_b32 s6, exec_lo, s1
	s_cbranch_execz .LBB10_54
; %bb.53:
	s_mov_b32 s0, 0x7fffff
	v_mov_b32_e32 v9, 0
	v_and_or_b32 v8, v3, s0, 0x800000
	s_mov_b64 s[0:1], 0xfe5163ab
	s_delay_alu instid0(VALU_DEP_1) | instid1(SALU_CYCLE_1)
	v_mul_u64_e32 v[10:11], s[0:1], v[8:9]
	s_delay_alu instid0(VALU_DEP_1) | instskip(SKIP_2) | instid1(VALU_DEP_3)
	v_dual_mov_b32 v12, v11 :: v_dual_mov_b32 v13, v9
	v_dual_mov_b32 v15, v9 :: v_dual_mov_b32 v17, v9
	v_dual_mov_b32 v19, v9 :: v_dual_lshrrev_b32 v11, 23, v3
	v_mad_nc_u64_u32 v[12:13], 0x3c439041, v8, v[12:13]
	s_delay_alu instid0(VALU_DEP_1) | instskip(NEXT) | instid1(VALU_DEP_1)
	v_mov_b32_e32 v14, v13
	v_mad_nc_u64_u32 v[14:15], 0xdb629599, v8, v[14:15]
	s_delay_alu instid0(VALU_DEP_1) | instskip(NEXT) | instid1(VALU_DEP_1)
	v_mov_b32_e32 v16, v15
	;; [unrolled: 3-line block ×3, first 2 shown]
	v_mad_nc_u64_u32 v[18:19], 0xfc2757d1, v8, v[18:19]
	s_delay_alu instid0(VALU_DEP_1) | instskip(NEXT) | instid1(VALU_DEP_1)
	v_dual_mov_b32 v21, v9 :: v_dual_mov_b32 v20, v19
	v_mad_nc_u64_u32 v[20:21], 0x4e441529, v8, v[20:21]
	s_delay_alu instid0(VALU_DEP_1) | instskip(NEXT) | instid1(VALU_DEP_1)
	v_dual_mov_b32 v22, v21 :: v_dual_add_nc_u32 v11, 0xffffff88, v11
	v_cmp_lt_u32_e64 s0, 63, v11
	v_mov_b32_e32 v23, v9
	s_delay_alu instid0(VALU_DEP_2) | instskip(NEXT) | instid1(VALU_DEP_2)
	v_cndmask_b32_e64 v13, 0, 0xffffffc0, s0
	v_mad_nc_u64_u32 v[8:9], 0xa2f9836e, v8, v[22:23]
	v_dual_cndmask_b32 v15, v20, v16, s0 :: v_dual_cndmask_b32 v17, v18, v14, s0
	s_delay_alu instid0(VALU_DEP_3) | instskip(SKIP_1) | instid1(VALU_DEP_2)
	v_dual_cndmask_b32 v12, v16, v12, s0 :: v_dual_add_nc_u32 v11, v13, v11
	v_cndmask_b32_e64 v10, v14, v10, s0
	v_cmp_lt_u32_e64 s1, 31, v11
	v_dual_cndmask_b32 v8, v8, v18, s0 :: v_dual_cndmask_b32 v9, v9, v20, s0
	s_delay_alu instid0(VALU_DEP_2) | instskip(NEXT) | instid1(VALU_DEP_4)
	v_cndmask_b32_e64 v13, 0, 0xffffffe0, s1
	v_dual_cndmask_b32 v16, v17, v12, s1 :: v_dual_cndmask_b32 v10, v12, v10, s1
	s_delay_alu instid0(VALU_DEP_2) | instskip(NEXT) | instid1(VALU_DEP_1)
	v_add_nc_u32_e32 v11, v13, v11
	v_cmp_lt_u32_e64 s2, 31, v11
	s_delay_alu instid0(VALU_DEP_1) | instskip(NEXT) | instid1(VALU_DEP_1)
	v_cndmask_b32_e64 v13, 0, 0xffffffe0, s2
	v_dual_cndmask_b32 v10, v16, v10, s2 :: v_dual_add_nc_u32 v11, v13, v11
	v_dual_cndmask_b32 v13, v8, v15, s1 :: v_dual_cndmask_b32 v8, v9, v8, s1
	s_delay_alu instid0(VALU_DEP_2) | instskip(SKIP_1) | instid1(VALU_DEP_3)
	v_dual_cndmask_b32 v9, v15, v17, s1 :: v_dual_sub_nc_u32 v15, 32, v11
	v_cmp_eq_u32_e64 s0, 0, v11
	v_cndmask_b32_e64 v8, v8, v13, s2
	s_delay_alu instid0(VALU_DEP_3) | instskip(SKIP_1) | instid1(VALU_DEP_2)
	v_cndmask_b32_e64 v13, v13, v9, s2
	v_cndmask_b32_e64 v9, v9, v16, s2
	v_alignbit_b32 v17, v8, v13, v15
	s_delay_alu instid0(VALU_DEP_2) | instskip(SKIP_1) | instid1(VALU_DEP_2)
	v_alignbit_b32 v14, v13, v9, v15
	v_alignbit_b32 v15, v9, v10, v15
	v_dual_cndmask_b32 v8, v17, v8, s0 :: v_dual_cndmask_b32 v11, v14, v13, s0
	s_delay_alu instid0(VALU_DEP_2) | instskip(NEXT) | instid1(VALU_DEP_2)
	v_cndmask_b32_e64 v9, v15, v9, s0
	v_bfe_u32 v12, v8, 29, 1
	s_delay_alu instid0(VALU_DEP_3) | instskip(NEXT) | instid1(VALU_DEP_3)
	v_alignbit_b32 v13, v8, v11, 30
	v_alignbit_b32 v11, v11, v9, 30
	;; [unrolled: 1-line block ×3, first 2 shown]
	s_delay_alu instid0(VALU_DEP_4) | instskip(NEXT) | instid1(VALU_DEP_1)
	v_sub_nc_u32_e32 v14, 0, v12
	v_xor_b32_e32 v13, v13, v14
	s_delay_alu instid0(VALU_DEP_4) | instskip(NEXT) | instid1(VALU_DEP_4)
	v_xor_b32_e32 v10, v11, v14
	v_dual_lshrrev_b32 v14, 29, v8 :: v_dual_bitop2_b32 v9, v9, v14 bitop3:0x14
	s_delay_alu instid0(VALU_DEP_3) | instskip(NEXT) | instid1(VALU_DEP_1)
	v_clz_i32_u32_e32 v15, v13
	v_min_u32_e32 v15, 32, v15
	s_delay_alu instid0(VALU_DEP_1) | instskip(NEXT) | instid1(VALU_DEP_1)
	v_dual_sub_nc_u32 v11, 31, v15 :: v_dual_lshlrev_b32 v16, 23, v15
	v_alignbit_b32 v13, v13, v10, v11
	v_alignbit_b32 v9, v10, v9, v11
	v_lshlrev_b32_e32 v10, 31, v14
	s_delay_alu instid0(VALU_DEP_2) | instskip(NEXT) | instid1(VALU_DEP_2)
	v_alignbit_b32 v11, v13, v9, 9
	v_dual_lshrrev_b32 v13, 9, v13 :: v_dual_bitop2_b32 v14, 0.5, v10 bitop3:0x54
	v_or_b32_e32 v10, 0x33000000, v10
	s_delay_alu instid0(VALU_DEP_3) | instskip(NEXT) | instid1(VALU_DEP_3)
	v_clz_i32_u32_e32 v17, v11
	v_sub_nc_u32_e32 v14, v14, v16
	s_delay_alu instid0(VALU_DEP_2) | instskip(NEXT) | instid1(VALU_DEP_1)
	v_min_u32_e32 v16, 32, v17
	v_add_lshl_u32 v15, v16, v15, 23
	s_delay_alu instid0(VALU_DEP_3) | instskip(SKIP_1) | instid1(VALU_DEP_2)
	v_or_b32_e32 v13, v13, v14
	v_not_b32_e32 v14, v16
	v_dual_mul_f32 v17, 0x3fc90fda, v13 :: v_dual_sub_nc_u32 v10, v10, v15
	s_delay_alu instid0(VALU_DEP_2) | instskip(NEXT) | instid1(VALU_DEP_2)
	v_alignbit_b32 v9, v11, v9, v14
	v_fma_f32 v11, 0x3fc90fda, v13, -v17
	s_delay_alu instid0(VALU_DEP_2) | instskip(NEXT) | instid1(VALU_DEP_2)
	v_lshrrev_b32_e32 v9, 9, v9
	v_fmamk_f32 v11, v13, 0x33a22168, v11
	s_delay_alu instid0(VALU_DEP_2) | instskip(NEXT) | instid1(VALU_DEP_1)
	v_or_b32_e32 v9, v10, v9
	v_fmac_f32_e32 v11, 0x3fc90fda, v9
	s_delay_alu instid0(VALU_DEP_1) | instskip(NEXT) | instid1(VALU_DEP_1)
	v_dual_add_f32 v8, v17, v11 :: v_dual_lshrrev_b32 v9, 30, v8
	v_add_nc_u32_e32 v9, v12, v9
.LBB10_54:
	s_and_not1_saveexec_b32 s0, s6
; %bb.55:
	v_mul_f32_e64 v8, 0x3f22f983, |v7|
	s_delay_alu instid0(VALU_DEP_1) | instskip(NEXT) | instid1(VALU_DEP_1)
	v_rndne_f32_e32 v9, v8
	v_fma_f32 v8, 0xbfc90fda, v9, |v7|
	s_delay_alu instid0(VALU_DEP_1) | instskip(NEXT) | instid1(VALU_DEP_1)
	v_fmamk_f32 v8, v9, 0xb3a22168, v8
	v_fmamk_f32 v8, v9, 0xa7c234c4, v8
	v_cvt_i32_f32_e32 v9, v9
; %bb.56:
	s_or_b32 exec_lo, exec_lo, s0
	s_delay_alu instid0(VALU_DEP_1) | instskip(SKIP_3) | instid1(VALU_DEP_2)
	v_dual_mul_f32 v10, v8, v8 :: v_dual_bitop2_b32 v13, 1, v9 bitop3:0x40
	s_mov_b32 s0, 0xb94c1982
	s_mov_b32 s1, 0x37d75334
	v_lshlrev_b32_e32 v9, 30, v9
	v_fmaak_f32 v11, s0, v10, 0x3c0881c4
	v_cmp_eq_u32_e64 s0, 0, v13
	v_xor_b32_e32 v3, v3, v7
	s_delay_alu instid0(VALU_DEP_4) | instskip(NEXT) | instid1(VALU_DEP_4)
	v_and_b32_e32 v9, 0x80000000, v9
	v_fmaak_f32 v11, v10, v11, 0xbe2aaa9d
	s_delay_alu instid0(VALU_DEP_1) | instskip(NEXT) | instid1(VALU_DEP_1)
	v_dual_fmaak_f32 v12, s1, v10, 0xbab64f3b :: v_dual_mul_f32 v11, v10, v11
	v_fmaak_f32 v12, v10, v12, 0x3d2aabf7
	s_delay_alu instid0(VALU_DEP_2) | instskip(NEXT) | instid1(VALU_DEP_2)
	v_fmac_f32_e32 v8, v8, v11
	v_fmaak_f32 v12, v10, v12, 0xbf000004
	s_delay_alu instid0(VALU_DEP_1) | instskip(NEXT) | instid1(VALU_DEP_1)
	v_fma_f32 v10, v10, v12, 1.0
	v_cndmask_b32_e64 v8, v10, v8, s0
	v_cmp_class_f32_e64 s0, v7, 0x1f8
	s_delay_alu instid0(VALU_DEP_2) | instskip(NEXT) | instid1(VALU_DEP_1)
	v_xor3_b32 v3, v3, v9, v8
	v_cndmask_b32_e64 v3, 0x7fc00000, v3, s0
	s_or_b32 exec_lo, exec_lo, s3
	s_and_saveexec_b32 s0, vcc_lo
	s_delay_alu instid0(SALU_CYCLE_1)
	s_xor_b32 s0, exec_lo, s0
	s_cbranch_execz .LBB10_47
.LBB10_57:
	v_mov_b32_e32 v0, v6
	global_store_b32 v5, v2, s[4:5] scale_offset
	s_wait_xcnt 0x0
	s_or_b32 exec_lo, exec_lo, s0
	s_delay_alu instid0(SALU_CYCLE_1)
	s_mov_b32 s0, exec_lo
	v_cmpx_gt_i32_e64 s10, v0
	s_cbranch_execz .LBB10_48
.LBB10_58:
	v_add_nc_u32_e32 v2, s8, v0
	v_add_nc_u32_e32 v0, 0x100, v0
	global_store_b32 v2, v1, s[4:5] scale_offset
	s_wait_xcnt 0x0
	s_or_b32 exec_lo, exec_lo, s0
	s_delay_alu instid0(SALU_CYCLE_1)
	s_mov_b32 s0, exec_lo
	v_cmpx_gt_i32_e64 s10, v0
	s_cbranch_execz .LBB10_49
.LBB10_59:
	v_add_nc_u32_e32 v1, s8, v0
	v_add_nc_u32_e32 v0, 0x100, v0
	global_store_b32 v1, v4, s[4:5] scale_offset
	s_wait_xcnt 0x0
	s_or_b32 exec_lo, exec_lo, s0
	s_delay_alu instid0(SALU_CYCLE_1)
	s_mov_b32 s0, exec_lo
	v_cmpx_gt_i32_e64 s10, v0
	s_cbranch_execnz .LBB10_50
	s_branch .LBB10_51
	.section	.rodata,"a",@progbits
	.p2align	6, 0x0
	.amdhsa_kernel _ZN2at6native29vectorized_elementwise_kernelILi4EZZZNS0_15sin_kernel_cudaERNS_18TensorIteratorBaseEENKUlvE0_clEvENKUlvE0_clEvEUlfE_St5arrayIPcLm2EEEEviT0_T1_
		.amdhsa_group_segment_fixed_size 0
		.amdhsa_private_segment_fixed_size 0
		.amdhsa_kernarg_size 24
		.amdhsa_user_sgpr_count 2
		.amdhsa_user_sgpr_dispatch_ptr 0
		.amdhsa_user_sgpr_queue_ptr 0
		.amdhsa_user_sgpr_kernarg_segment_ptr 1
		.amdhsa_user_sgpr_dispatch_id 0
		.amdhsa_user_sgpr_kernarg_preload_length 0
		.amdhsa_user_sgpr_kernarg_preload_offset 0
		.amdhsa_user_sgpr_private_segment_size 0
		.amdhsa_wavefront_size32 1
		.amdhsa_uses_dynamic_stack 0
		.amdhsa_enable_private_segment 0
		.amdhsa_system_sgpr_workgroup_id_x 1
		.amdhsa_system_sgpr_workgroup_id_y 0
		.amdhsa_system_sgpr_workgroup_id_z 0
		.amdhsa_system_sgpr_workgroup_info 0
		.amdhsa_system_vgpr_workitem_id 0
		.amdhsa_next_free_vgpr 33
		.amdhsa_next_free_sgpr 24
		.amdhsa_named_barrier_count 0
		.amdhsa_reserve_vcc 1
		.amdhsa_float_round_mode_32 0
		.amdhsa_float_round_mode_16_64 0
		.amdhsa_float_denorm_mode_32 3
		.amdhsa_float_denorm_mode_16_64 3
		.amdhsa_fp16_overflow 0
		.amdhsa_memory_ordered 1
		.amdhsa_forward_progress 1
		.amdhsa_inst_pref_size 68
		.amdhsa_round_robin_scheduling 0
		.amdhsa_exception_fp_ieee_invalid_op 0
		.amdhsa_exception_fp_denorm_src 0
		.amdhsa_exception_fp_ieee_div_zero 0
		.amdhsa_exception_fp_ieee_overflow 0
		.amdhsa_exception_fp_ieee_underflow 0
		.amdhsa_exception_fp_ieee_inexact 0
		.amdhsa_exception_int_div_zero 0
	.end_amdhsa_kernel
	.section	.text._ZN2at6native29vectorized_elementwise_kernelILi4EZZZNS0_15sin_kernel_cudaERNS_18TensorIteratorBaseEENKUlvE0_clEvENKUlvE0_clEvEUlfE_St5arrayIPcLm2EEEEviT0_T1_,"axG",@progbits,_ZN2at6native29vectorized_elementwise_kernelILi4EZZZNS0_15sin_kernel_cudaERNS_18TensorIteratorBaseEENKUlvE0_clEvENKUlvE0_clEvEUlfE_St5arrayIPcLm2EEEEviT0_T1_,comdat
.Lfunc_end10:
	.size	_ZN2at6native29vectorized_elementwise_kernelILi4EZZZNS0_15sin_kernel_cudaERNS_18TensorIteratorBaseEENKUlvE0_clEvENKUlvE0_clEvEUlfE_St5arrayIPcLm2EEEEviT0_T1_, .Lfunc_end10-_ZN2at6native29vectorized_elementwise_kernelILi4EZZZNS0_15sin_kernel_cudaERNS_18TensorIteratorBaseEENKUlvE0_clEvENKUlvE0_clEvEUlfE_St5arrayIPcLm2EEEEviT0_T1_
                                        ; -- End function
	.set _ZN2at6native29vectorized_elementwise_kernelILi4EZZZNS0_15sin_kernel_cudaERNS_18TensorIteratorBaseEENKUlvE0_clEvENKUlvE0_clEvEUlfE_St5arrayIPcLm2EEEEviT0_T1_.num_vgpr, 33
	.set _ZN2at6native29vectorized_elementwise_kernelILi4EZZZNS0_15sin_kernel_cudaERNS_18TensorIteratorBaseEENKUlvE0_clEvENKUlvE0_clEvEUlfE_St5arrayIPcLm2EEEEviT0_T1_.num_agpr, 0
	.set _ZN2at6native29vectorized_elementwise_kernelILi4EZZZNS0_15sin_kernel_cudaERNS_18TensorIteratorBaseEENKUlvE0_clEvENKUlvE0_clEvEUlfE_St5arrayIPcLm2EEEEviT0_T1_.numbered_sgpr, 24
	.set _ZN2at6native29vectorized_elementwise_kernelILi4EZZZNS0_15sin_kernel_cudaERNS_18TensorIteratorBaseEENKUlvE0_clEvENKUlvE0_clEvEUlfE_St5arrayIPcLm2EEEEviT0_T1_.num_named_barrier, 0
	.set _ZN2at6native29vectorized_elementwise_kernelILi4EZZZNS0_15sin_kernel_cudaERNS_18TensorIteratorBaseEENKUlvE0_clEvENKUlvE0_clEvEUlfE_St5arrayIPcLm2EEEEviT0_T1_.private_seg_size, 0
	.set _ZN2at6native29vectorized_elementwise_kernelILi4EZZZNS0_15sin_kernel_cudaERNS_18TensorIteratorBaseEENKUlvE0_clEvENKUlvE0_clEvEUlfE_St5arrayIPcLm2EEEEviT0_T1_.uses_vcc, 1
	.set _ZN2at6native29vectorized_elementwise_kernelILi4EZZZNS0_15sin_kernel_cudaERNS_18TensorIteratorBaseEENKUlvE0_clEvENKUlvE0_clEvEUlfE_St5arrayIPcLm2EEEEviT0_T1_.uses_flat_scratch, 0
	.set _ZN2at6native29vectorized_elementwise_kernelILi4EZZZNS0_15sin_kernel_cudaERNS_18TensorIteratorBaseEENKUlvE0_clEvENKUlvE0_clEvEUlfE_St5arrayIPcLm2EEEEviT0_T1_.has_dyn_sized_stack, 0
	.set _ZN2at6native29vectorized_elementwise_kernelILi4EZZZNS0_15sin_kernel_cudaERNS_18TensorIteratorBaseEENKUlvE0_clEvENKUlvE0_clEvEUlfE_St5arrayIPcLm2EEEEviT0_T1_.has_recursion, 0
	.set _ZN2at6native29vectorized_elementwise_kernelILi4EZZZNS0_15sin_kernel_cudaERNS_18TensorIteratorBaseEENKUlvE0_clEvENKUlvE0_clEvEUlfE_St5arrayIPcLm2EEEEviT0_T1_.has_indirect_call, 0
	.section	.AMDGPU.csdata,"",@progbits
; Kernel info:
; codeLenInByte = 8600
; TotalNumSgprs: 26
; NumVgprs: 33
; ScratchSize: 0
; MemoryBound: 0
; FloatMode: 240
; IeeeMode: 1
; LDSByteSize: 0 bytes/workgroup (compile time only)
; SGPRBlocks: 0
; VGPRBlocks: 2
; NumSGPRsForWavesPerEU: 26
; NumVGPRsForWavesPerEU: 33
; NamedBarCnt: 0
; Occupancy: 16
; WaveLimiterHint : 0
; COMPUTE_PGM_RSRC2:SCRATCH_EN: 0
; COMPUTE_PGM_RSRC2:USER_SGPR: 2
; COMPUTE_PGM_RSRC2:TRAP_HANDLER: 0
; COMPUTE_PGM_RSRC2:TGID_X_EN: 1
; COMPUTE_PGM_RSRC2:TGID_Y_EN: 0
; COMPUTE_PGM_RSRC2:TGID_Z_EN: 0
; COMPUTE_PGM_RSRC2:TIDIG_COMP_CNT: 0
	.section	.text._ZN2at6native29vectorized_elementwise_kernelILi2EZZZNS0_15sin_kernel_cudaERNS_18TensorIteratorBaseEENKUlvE0_clEvENKUlvE0_clEvEUlfE_St5arrayIPcLm2EEEEviT0_T1_,"axG",@progbits,_ZN2at6native29vectorized_elementwise_kernelILi2EZZZNS0_15sin_kernel_cudaERNS_18TensorIteratorBaseEENKUlvE0_clEvENKUlvE0_clEvEUlfE_St5arrayIPcLm2EEEEviT0_T1_,comdat
	.globl	_ZN2at6native29vectorized_elementwise_kernelILi2EZZZNS0_15sin_kernel_cudaERNS_18TensorIteratorBaseEENKUlvE0_clEvENKUlvE0_clEvEUlfE_St5arrayIPcLm2EEEEviT0_T1_ ; -- Begin function _ZN2at6native29vectorized_elementwise_kernelILi2EZZZNS0_15sin_kernel_cudaERNS_18TensorIteratorBaseEENKUlvE0_clEvENKUlvE0_clEvEUlfE_St5arrayIPcLm2EEEEviT0_T1_
	.p2align	8
	.type	_ZN2at6native29vectorized_elementwise_kernelILi2EZZZNS0_15sin_kernel_cudaERNS_18TensorIteratorBaseEENKUlvE0_clEvENKUlvE0_clEvEUlfE_St5arrayIPcLm2EEEEviT0_T1_,@function
_ZN2at6native29vectorized_elementwise_kernelILi2EZZZNS0_15sin_kernel_cudaERNS_18TensorIteratorBaseEENKUlvE0_clEvENKUlvE0_clEvEUlfE_St5arrayIPcLm2EEEEviT0_T1_: ; @_ZN2at6native29vectorized_elementwise_kernelILi2EZZZNS0_15sin_kernel_cudaERNS_18TensorIteratorBaseEENKUlvE0_clEvENKUlvE0_clEvEUlfE_St5arrayIPcLm2EEEEviT0_T1_
; %bb.0:
	s_clause 0x1
	s_load_b32 s2, s[0:1], 0x0
	s_load_b128 s[4:7], s[0:1], 0x8
	s_wait_xcnt 0x0
	s_bfe_u32 s0, ttmp6, 0x4000c
	s_and_b32 s1, ttmp6, 15
	s_add_co_i32 s0, s0, 1
	s_getreg_b32 s3, hwreg(HW_REG_IB_STS2, 6, 4)
	s_mul_i32 s0, ttmp9, s0
	s_delay_alu instid0(SALU_CYCLE_1) | instskip(SKIP_2) | instid1(SALU_CYCLE_1)
	s_add_co_i32 s1, s1, s0
	s_cmp_eq_u32 s3, 0
	s_cselect_b32 s0, ttmp9, s1
	s_lshl_b32 s8, s0, 10
	s_mov_b32 s0, -1
	s_wait_kmcnt 0x0
	s_sub_co_i32 s10, s2, s8
	s_delay_alu instid0(SALU_CYCLE_1)
	s_cmp_gt_i32 s10, 0x3ff
	s_cbranch_scc0 .LBB11_18
; %bb.1:
	s_ashr_i32 s9, s8, 31
	v_mov_b32_e32 v7, 0
	s_lshl_b64 s[2:3], s[8:9], 2
                                        ; implicit-def: $vgpr10
                                        ; implicit-def: $vgpr6
	s_delay_alu instid0(SALU_CYCLE_1)
	s_add_nc_u64 s[0:1], s[6:7], s[2:3]
	s_clause 0x1
	global_load_b64 v[4:5], v0, s[0:1] scale_offset
	global_load_b64 v[2:3], v0, s[0:1] offset:2048 scale_offset
	s_wait_xcnt 0x0
	s_mov_b32 s1, exec_lo
	s_wait_loadcnt 0x1
	v_and_b32_e32 v1, 0x7fffffff, v4
	v_cmpx_ngt_f32_e64 0x48000000, |v4|
	s_xor_b32 s9, exec_lo, s1
	s_cbranch_execz .LBB11_3
; %bb.2:
	s_mov_b32 s0, 0x7fffff
	v_mov_b32_e32 v19, v7
	v_and_or_b32 v6, v1, s0, 0x800000
	s_mov_b64 s[0:1], 0xfe5163ab
	s_delay_alu instid0(VALU_DEP_1) | instid1(SALU_CYCLE_1)
	v_mul_u64_e32 v[8:9], s[0:1], v[6:7]
	s_delay_alu instid0(VALU_DEP_1) | instskip(SKIP_1) | instid1(VALU_DEP_2)
	v_dual_mov_b32 v11, v7 :: v_dual_mov_b32 v10, v9
	v_lshrrev_b32_e32 v9, 23, v1
	v_mad_nc_u64_u32 v[10:11], 0x3c439041, v6, v[10:11]
	v_mov_b32_e32 v13, v7
	s_delay_alu instid0(VALU_DEP_3) | instskip(NEXT) | instid1(VALU_DEP_1)
	v_add_nc_u32_e32 v9, 0xffffff88, v9
	v_cmp_lt_u32_e32 vcc_lo, 63, v9
	s_delay_alu instid0(VALU_DEP_4) | instskip(SKIP_1) | instid1(VALU_DEP_2)
	v_mov_b32_e32 v12, v11
	v_cndmask_b32_e64 v11, 0, 0xffffffc0, vcc_lo
	v_mad_nc_u64_u32 v[12:13], 0xdb629599, v6, v[12:13]
	s_delay_alu instid0(VALU_DEP_1) | instskip(NEXT) | instid1(VALU_DEP_2)
	v_dual_mov_b32 v15, v7 :: v_dual_mov_b32 v14, v13
	v_cndmask_b32_e32 v8, v12, v8, vcc_lo
	s_delay_alu instid0(VALU_DEP_2) | instskip(NEXT) | instid1(VALU_DEP_1)
	v_mad_nc_u64_u32 v[14:15], 0xf534ddc0, v6, v[14:15]
	v_dual_mov_b32 v17, v7 :: v_dual_mov_b32 v16, v15
	s_delay_alu instid0(VALU_DEP_2) | instskip(NEXT) | instid1(VALU_DEP_2)
	v_cndmask_b32_e32 v10, v14, v10, vcc_lo
	v_mad_nc_u64_u32 v[16:17], 0xfc2757d1, v6, v[16:17]
	s_delay_alu instid0(VALU_DEP_1) | instskip(NEXT) | instid1(VALU_DEP_1)
	v_dual_mov_b32 v18, v17 :: v_dual_cndmask_b32 v15, v16, v12
	v_mad_nc_u64_u32 v[18:19], 0x4e441529, v6, v[18:19]
	v_add_nc_u32_e32 v9, v11, v9
	s_delay_alu instid0(VALU_DEP_2) | instskip(NEXT) | instid1(VALU_DEP_3)
	v_dual_mov_b32 v21, v7 :: v_dual_mov_b32 v20, v19
	v_cndmask_b32_e32 v13, v18, v14, vcc_lo
	s_delay_alu instid0(VALU_DEP_3) | instskip(NEXT) | instid1(VALU_DEP_3)
	v_cmp_lt_u32_e64 s0, 31, v9
	v_mad_nc_u64_u32 v[6:7], 0xa2f9836e, v6, v[20:21]
	s_delay_alu instid0(VALU_DEP_2) | instskip(NEXT) | instid1(VALU_DEP_1)
	v_cndmask_b32_e64 v11, 0, 0xffffffe0, s0
	v_dual_cndmask_b32 v8, v10, v8, s0 :: v_dual_add_nc_u32 v9, v11, v9
	s_delay_alu instid0(VALU_DEP_3) | instskip(NEXT) | instid1(VALU_DEP_2)
	v_cndmask_b32_e32 v6, v6, v16, vcc_lo
	v_cmp_lt_u32_e64 s1, 31, v9
	v_cndmask_b32_e32 v7, v7, v18, vcc_lo
	s_delay_alu instid0(VALU_DEP_2) | instskip(NEXT) | instid1(VALU_DEP_1)
	v_cndmask_b32_e64 v11, 0, 0xffffffe0, s1
	v_add_nc_u32_e32 v9, v11, v9
	s_delay_alu instid0(VALU_DEP_3) | instskip(SKIP_1) | instid1(VALU_DEP_3)
	v_dual_cndmask_b32 v11, v6, v13, s0 :: v_dual_cndmask_b32 v6, v7, v6, s0
	v_dual_cndmask_b32 v7, v13, v15, s0 :: v_dual_cndmask_b32 v14, v15, v10, s0
	v_sub_nc_u32_e32 v13, 32, v9
	v_cmp_eq_u32_e32 vcc_lo, 0, v9
	s_delay_alu instid0(VALU_DEP_4) | instskip(NEXT) | instid1(VALU_DEP_4)
	v_cndmask_b32_e64 v6, v6, v11, s1
	v_cndmask_b32_e64 v11, v11, v7, s1
	;; [unrolled: 1-line block ×3, first 2 shown]
	s_delay_alu instid0(VALU_DEP_2) | instskip(NEXT) | instid1(VALU_DEP_2)
	v_alignbit_b32 v15, v6, v11, v13
	v_alignbit_b32 v12, v11, v7, v13
	s_delay_alu instid0(VALU_DEP_1) | instskip(NEXT) | instid1(VALU_DEP_1)
	v_dual_cndmask_b32 v6, v15, v6 :: v_dual_cndmask_b32 v9, v12, v11
	v_bfe_u32 v10, v6, 29, 1
	v_cndmask_b32_e64 v8, v14, v8, s1
	s_delay_alu instid0(VALU_DEP_3) | instskip(NEXT) | instid1(VALU_DEP_3)
	v_alignbit_b32 v11, v6, v9, 30
	v_sub_nc_u32_e32 v12, 0, v10
	s_delay_alu instid0(VALU_DEP_3) | instskip(NEXT) | instid1(VALU_DEP_1)
	v_alignbit_b32 v13, v7, v8, v13
	v_dual_cndmask_b32 v7, v13, v7, vcc_lo :: v_dual_bitop2_b32 v11, v11, v12 bitop3:0x14
	s_delay_alu instid0(VALU_DEP_1) | instskip(NEXT) | instid1(VALU_DEP_2)
	v_clz_i32_u32_e32 v13, v11
	v_alignbit_b32 v9, v9, v7, 30
	v_alignbit_b32 v7, v7, v8, 30
	s_delay_alu instid0(VALU_DEP_3) | instskip(NEXT) | instid1(VALU_DEP_3)
	v_min_u32_e32 v13, 32, v13
	v_xor_b32_e32 v8, v9, v12
	s_delay_alu instid0(VALU_DEP_3) | instskip(NEXT) | instid1(VALU_DEP_3)
	v_dual_lshrrev_b32 v12, 29, v6 :: v_dual_bitop2_b32 v7, v7, v12 bitop3:0x14
	v_dual_sub_nc_u32 v9, 31, v13 :: v_dual_lshlrev_b32 v14, 23, v13
	s_delay_alu instid0(VALU_DEP_1) | instskip(NEXT) | instid1(VALU_DEP_3)
	v_alignbit_b32 v11, v11, v8, v9
	v_alignbit_b32 v7, v8, v7, v9
	s_delay_alu instid0(VALU_DEP_4) | instskip(NEXT) | instid1(VALU_DEP_2)
	v_lshlrev_b32_e32 v8, 31, v12
	v_alignbit_b32 v9, v11, v7, 9
	s_delay_alu instid0(VALU_DEP_2) | instskip(SKIP_1) | instid1(VALU_DEP_3)
	v_dual_lshrrev_b32 v11, 9, v11 :: v_dual_bitop2_b32 v12, 0.5, v8 bitop3:0x54
	v_or_b32_e32 v8, 0x33000000, v8
	v_clz_i32_u32_e32 v15, v9
	s_delay_alu instid0(VALU_DEP_3) | instskip(NEXT) | instid1(VALU_DEP_2)
	v_sub_nc_u32_e32 v12, v12, v14
	v_min_u32_e32 v14, 32, v15
	s_delay_alu instid0(VALU_DEP_1) | instskip(NEXT) | instid1(VALU_DEP_3)
	v_add_lshl_u32 v13, v14, v13, 23
	v_or_b32_e32 v11, v11, v12
	v_not_b32_e32 v12, v14
	s_delay_alu instid0(VALU_DEP_2) | instskip(NEXT) | instid1(VALU_DEP_2)
	v_dual_mul_f32 v15, 0x3fc90fda, v11 :: v_dual_sub_nc_u32 v8, v8, v13
	v_alignbit_b32 v7, v9, v7, v12
	s_delay_alu instid0(VALU_DEP_2) | instskip(NEXT) | instid1(VALU_DEP_2)
	v_fma_f32 v9, 0x3fc90fda, v11, -v15
	v_lshrrev_b32_e32 v7, 9, v7
	s_delay_alu instid0(VALU_DEP_2) | instskip(NEXT) | instid1(VALU_DEP_2)
	v_fmamk_f32 v9, v11, 0x33a22168, v9
	v_or_b32_e32 v7, v8, v7
	s_delay_alu instid0(VALU_DEP_1) | instskip(NEXT) | instid1(VALU_DEP_1)
	v_fmac_f32_e32 v9, 0x3fc90fda, v7
	v_dual_add_f32 v6, v15, v9 :: v_dual_lshrrev_b32 v7, 30, v6
	s_delay_alu instid0(VALU_DEP_1)
	v_add_nc_u32_e32 v10, v10, v7
.LBB11_3:
	s_and_not1_saveexec_b32 s0, s9
; %bb.4:
	v_mul_f32_e64 v6, 0x3f22f983, |v4|
	s_delay_alu instid0(VALU_DEP_1) | instskip(NEXT) | instid1(VALU_DEP_1)
	v_rndne_f32_e32 v7, v6
	v_fma_f32 v6, 0xbfc90fda, v7, |v4|
	v_cvt_i32_f32_e32 v10, v7
	s_delay_alu instid0(VALU_DEP_2) | instskip(NEXT) | instid1(VALU_DEP_1)
	v_fmamk_f32 v6, v7, 0xb3a22168, v6
	v_fmamk_f32 v6, v7, 0xa7c234c4, v6
; %bb.5:
	s_or_b32 exec_lo, exec_lo, s0
	v_and_b32_e32 v11, 0x7fffffff, v5
                                        ; implicit-def: $vgpr13
	s_mov_b32 s1, exec_lo
	v_cmpx_ngt_f32_e64 0x48000000, |v5|
	s_xor_b32 s9, exec_lo, s1
	s_cbranch_execz .LBB11_7
; %bb.6:
	s_mov_b32 s0, 0x7fffff
	v_mov_b32_e32 v9, 0
	v_and_or_b32 v8, v11, s0, 0x800000
	s_mov_b64 s[0:1], 0xfe5163ab
	v_lshrrev_b32_e32 v7, 23, v11
	s_delay_alu instid0(VALU_DEP_2) | instskip(NEXT) | instid1(VALU_DEP_1)
	v_mul_u64_e32 v[12:13], s[0:1], v[8:9]
	v_dual_mov_b32 v14, v13 :: v_dual_mov_b32 v15, v9
	v_dual_mov_b32 v17, v9 :: v_dual_mov_b32 v19, v9
	v_mov_b32_e32 v21, v9
	s_delay_alu instid0(VALU_DEP_3) | instskip(NEXT) | instid1(VALU_DEP_1)
	v_mad_nc_u64_u32 v[14:15], 0x3c439041, v8, v[14:15]
	v_mov_b32_e32 v16, v15
	s_delay_alu instid0(VALU_DEP_1) | instskip(NEXT) | instid1(VALU_DEP_1)
	v_mad_nc_u64_u32 v[16:17], 0xdb629599, v8, v[16:17]
	v_mov_b32_e32 v18, v17
	s_delay_alu instid0(VALU_DEP_1) | instskip(NEXT) | instid1(VALU_DEP_1)
	;; [unrolled: 3-line block ×3, first 2 shown]
	v_mad_nc_u64_u32 v[20:21], 0xfc2757d1, v8, v[20:21]
	v_dual_mov_b32 v23, v9 :: v_dual_mov_b32 v22, v21
	s_delay_alu instid0(VALU_DEP_1) | instskip(NEXT) | instid1(VALU_DEP_1)
	v_mad_nc_u64_u32 v[22:23], 0x4e441529, v8, v[22:23]
	v_dual_mov_b32 v24, v23 :: v_dual_add_nc_u32 v7, 0xffffff88, v7
	s_delay_alu instid0(VALU_DEP_1) | instskip(SKIP_2) | instid1(VALU_DEP_2)
	v_cmp_lt_u32_e32 vcc_lo, 63, v7
	v_mov_b32_e32 v25, v9
	v_cndmask_b32_e64 v13, 0, 0xffffffc0, vcc_lo
	v_mad_nc_u64_u32 v[8:9], 0xa2f9836e, v8, v[24:25]
	v_dual_cndmask_b32 v15, v22, v18, vcc_lo :: v_dual_cndmask_b32 v17, v20, v16, vcc_lo
	s_delay_alu instid0(VALU_DEP_3) | instskip(NEXT) | instid1(VALU_DEP_1)
	v_dual_cndmask_b32 v12, v16, v12 :: v_dual_add_nc_u32 v7, v13, v7
	v_cmp_lt_u32_e64 s0, 31, v7
	s_delay_alu instid0(VALU_DEP_4) | instskip(NEXT) | instid1(VALU_DEP_2)
	v_dual_cndmask_b32 v8, v8, v20 :: v_dual_cndmask_b32 v9, v9, v22
	v_cndmask_b32_e64 v13, 0, 0xffffffe0, s0
	s_delay_alu instid0(VALU_DEP_1) | instskip(NEXT) | instid1(VALU_DEP_1)
	v_add_nc_u32_e32 v7, v13, v7
	v_cmp_lt_u32_e64 s1, 31, v7
	s_delay_alu instid0(VALU_DEP_1) | instskip(NEXT) | instid1(VALU_DEP_1)
	v_cndmask_b32_e64 v13, 0, 0xffffffe0, s1
	v_dual_add_nc_u32 v7, v13, v7 :: v_dual_cndmask_b32 v13, v18, v14, vcc_lo
	v_dual_cndmask_b32 v14, v8, v15, s0 :: v_dual_cndmask_b32 v8, v9, v8, s0
	s_delay_alu instid0(VALU_DEP_2) | instskip(NEXT) | instid1(VALU_DEP_3)
	v_dual_cndmask_b32 v9, v15, v17, s0 :: v_dual_sub_nc_u32 v15, 32, v7
	v_cndmask_b32_e64 v17, v17, v13, s0
	v_cmp_eq_u32_e32 vcc_lo, 0, v7
	s_delay_alu instid0(VALU_DEP_3) | instskip(NEXT) | instid1(VALU_DEP_3)
	v_dual_cndmask_b32 v8, v8, v14, s1 :: v_dual_cndmask_b32 v14, v14, v9, s1
	v_cndmask_b32_e64 v9, v9, v17, s1
	s_delay_alu instid0(VALU_DEP_2) | instskip(NEXT) | instid1(VALU_DEP_2)
	v_alignbit_b32 v18, v8, v14, v15
	v_alignbit_b32 v16, v14, v9, v15
	s_delay_alu instid0(VALU_DEP_2) | instskip(NEXT) | instid1(VALU_DEP_2)
	v_cndmask_b32_e32 v7, v18, v8, vcc_lo
	v_dual_cndmask_b32 v8, v13, v12, s0 :: v_dual_cndmask_b32 v12, v16, v14, vcc_lo
	s_delay_alu instid0(VALU_DEP_2) | instskip(NEXT) | instid1(VALU_DEP_2)
	v_bfe_u32 v13, v7, 29, 1
	v_alignbit_b32 v14, v7, v12, 30
	s_delay_alu instid0(VALU_DEP_2) | instskip(NEXT) | instid1(VALU_DEP_1)
	v_dual_sub_nc_u32 v16, 0, v13 :: v_dual_cndmask_b32 v8, v17, v8, s1
	v_xor_b32_e32 v14, v14, v16
	s_delay_alu instid0(VALU_DEP_2) | instskip(NEXT) | instid1(VALU_DEP_1)
	v_alignbit_b32 v15, v9, v8, v15
	v_cndmask_b32_e32 v9, v15, v9, vcc_lo
	s_delay_alu instid0(VALU_DEP_3) | instskip(NEXT) | instid1(VALU_DEP_2)
	v_clz_i32_u32_e32 v15, v14
	v_alignbit_b32 v12, v12, v9, 30
	s_delay_alu instid0(VALU_DEP_2) | instskip(SKIP_1) | instid1(VALU_DEP_2)
	v_min_u32_e32 v15, 32, v15
	v_alignbit_b32 v8, v9, v8, 30
	v_dual_sub_nc_u32 v12, 31, v15 :: v_dual_bitop2_b32 v9, v12, v16 bitop3:0x14
	s_delay_alu instid0(VALU_DEP_2) | instskip(SKIP_1) | instid1(VALU_DEP_3)
	v_dual_lshrrev_b32 v16, 29, v7 :: v_dual_bitop2_b32 v8, v8, v16 bitop3:0x14
	v_lshlrev_b32_e32 v17, 23, v15
	v_alignbit_b32 v14, v14, v9, v12
	s_delay_alu instid0(VALU_DEP_3) | instskip(NEXT) | instid1(VALU_DEP_4)
	v_alignbit_b32 v8, v9, v8, v12
	v_lshlrev_b32_e32 v9, 31, v16
	s_delay_alu instid0(VALU_DEP_2) | instskip(NEXT) | instid1(VALU_DEP_2)
	v_alignbit_b32 v12, v14, v8, 9
	v_dual_lshrrev_b32 v14, 9, v14 :: v_dual_bitop2_b32 v16, 0.5, v9 bitop3:0x54
	v_or_b32_e32 v9, 0x33000000, v9
	s_delay_alu instid0(VALU_DEP_3) | instskip(NEXT) | instid1(VALU_DEP_3)
	v_clz_i32_u32_e32 v18, v12
	v_sub_nc_u32_e32 v16, v16, v17
	s_delay_alu instid0(VALU_DEP_2) | instskip(NEXT) | instid1(VALU_DEP_1)
	v_min_u32_e32 v17, 32, v18
	v_add_lshl_u32 v15, v17, v15, 23
	s_delay_alu instid0(VALU_DEP_3) | instskip(SKIP_1) | instid1(VALU_DEP_2)
	v_or_b32_e32 v14, v14, v16
	v_not_b32_e32 v16, v17
	v_dual_mul_f32 v18, 0x3fc90fda, v14 :: v_dual_sub_nc_u32 v9, v9, v15
	s_delay_alu instid0(VALU_DEP_2) | instskip(NEXT) | instid1(VALU_DEP_2)
	v_alignbit_b32 v8, v12, v8, v16
	v_fma_f32 v12, 0x3fc90fda, v14, -v18
	s_delay_alu instid0(VALU_DEP_2) | instskip(NEXT) | instid1(VALU_DEP_2)
	v_lshrrev_b32_e32 v8, 9, v8
	v_fmamk_f32 v12, v14, 0x33a22168, v12
	s_delay_alu instid0(VALU_DEP_2) | instskip(NEXT) | instid1(VALU_DEP_1)
	v_or_b32_e32 v8, v9, v8
	v_fmac_f32_e32 v12, 0x3fc90fda, v8
	v_lshrrev_b32_e32 v8, 30, v7
	s_delay_alu instid0(VALU_DEP_1) | instskip(NEXT) | instid1(VALU_DEP_3)
	v_add_nc_u32_e32 v13, v13, v8
	v_add_f32_e32 v7, v18, v12
.LBB11_7:
	s_and_not1_saveexec_b32 s0, s9
; %bb.8:
	v_mul_f32_e64 v7, 0x3f22f983, |v5|
	s_delay_alu instid0(VALU_DEP_1) | instskip(NEXT) | instid1(VALU_DEP_1)
	v_rndne_f32_e32 v8, v7
	v_fma_f32 v7, 0xbfc90fda, v8, |v5|
	v_cvt_i32_f32_e32 v13, v8
	s_delay_alu instid0(VALU_DEP_2) | instskip(NEXT) | instid1(VALU_DEP_1)
	v_fmamk_f32 v7, v8, 0xb3a22168, v7
	v_fmamk_f32 v7, v8, 0xa7c234c4, v7
; %bb.9:
	s_or_b32 exec_lo, exec_lo, s0
	s_wait_loadcnt 0x0
	v_and_b32_e32 v12, 0x7fffffff, v2
                                        ; implicit-def: $vgpr15
                                        ; implicit-def: $vgpr8
	s_mov_b32 s1, exec_lo
	v_cmpx_ngt_f32_e64 0x48000000, |v2|
	s_xor_b32 s9, exec_lo, s1
	s_cbranch_execz .LBB11_11
; %bb.10:
	s_mov_b32 s0, 0x7fffff
	v_mov_b32_e32 v9, 0
	v_and_or_b32 v8, v12, s0, 0x800000
	s_mov_b64 s[0:1], 0xfe5163ab
	s_delay_alu instid0(VALU_DEP_1) | instid1(SALU_CYCLE_1)
	v_mul_u64_e32 v[14:15], s[0:1], v[8:9]
	s_delay_alu instid0(VALU_DEP_1) | instskip(SKIP_2) | instid1(VALU_DEP_3)
	v_dual_mov_b32 v16, v15 :: v_dual_mov_b32 v17, v9
	v_dual_mov_b32 v19, v9 :: v_dual_mov_b32 v21, v9
	v_dual_mov_b32 v23, v9 :: v_dual_lshrrev_b32 v15, 23, v12
	v_mad_nc_u64_u32 v[16:17], 0x3c439041, v8, v[16:17]
	s_delay_alu instid0(VALU_DEP_1) | instskip(NEXT) | instid1(VALU_DEP_1)
	v_mov_b32_e32 v18, v17
	v_mad_nc_u64_u32 v[18:19], 0xdb629599, v8, v[18:19]
	s_delay_alu instid0(VALU_DEP_1) | instskip(NEXT) | instid1(VALU_DEP_1)
	v_mov_b32_e32 v20, v19
	;; [unrolled: 3-line block ×3, first 2 shown]
	v_mad_nc_u64_u32 v[22:23], 0xfc2757d1, v8, v[22:23]
	s_delay_alu instid0(VALU_DEP_1) | instskip(NEXT) | instid1(VALU_DEP_1)
	v_dual_mov_b32 v25, v9 :: v_dual_mov_b32 v24, v23
	v_mad_nc_u64_u32 v[24:25], 0x4e441529, v8, v[24:25]
	s_delay_alu instid0(VALU_DEP_1) | instskip(NEXT) | instid1(VALU_DEP_1)
	v_dual_mov_b32 v26, v25 :: v_dual_add_nc_u32 v15, 0xffffff88, v15
	v_cmp_lt_u32_e32 vcc_lo, 63, v15
	v_mov_b32_e32 v27, v9
	v_cndmask_b32_e64 v17, 0, 0xffffffc0, vcc_lo
	s_delay_alu instid0(VALU_DEP_2) | instskip(SKIP_1) | instid1(VALU_DEP_3)
	v_mad_nc_u64_u32 v[8:9], 0xa2f9836e, v8, v[26:27]
	v_dual_cndmask_b32 v19, v24, v20, vcc_lo :: v_dual_cndmask_b32 v21, v22, v18, vcc_lo
	v_dual_cndmask_b32 v16, v20, v16 :: v_dual_add_nc_u32 v15, v17, v15
	v_cndmask_b32_e32 v14, v18, v14, vcc_lo
	s_delay_alu instid0(VALU_DEP_2) | instskip(SKIP_1) | instid1(VALU_DEP_2)
	v_cmp_lt_u32_e64 s0, 31, v15
	v_dual_cndmask_b32 v8, v8, v22 :: v_dual_cndmask_b32 v9, v9, v24
	v_cndmask_b32_e64 v17, 0, 0xffffffe0, s0
	s_delay_alu instid0(VALU_DEP_4) | instskip(NEXT) | instid1(VALU_DEP_2)
	v_dual_cndmask_b32 v20, v21, v16, s0 :: v_dual_cndmask_b32 v14, v16, v14, s0
	v_add_nc_u32_e32 v15, v17, v15
	s_delay_alu instid0(VALU_DEP_1) | instskip(NEXT) | instid1(VALU_DEP_1)
	v_cmp_lt_u32_e64 s1, 31, v15
	v_cndmask_b32_e64 v17, 0, 0xffffffe0, s1
	s_delay_alu instid0(VALU_DEP_1) | instskip(SKIP_1) | instid1(VALU_DEP_2)
	v_dual_cndmask_b32 v14, v20, v14, s1 :: v_dual_add_nc_u32 v15, v17, v15
	v_dual_cndmask_b32 v17, v8, v19, s0 :: v_dual_cndmask_b32 v8, v9, v8, s0
	v_dual_cndmask_b32 v9, v19, v21, s0 :: v_dual_sub_nc_u32 v19, 32, v15
	v_cmp_eq_u32_e32 vcc_lo, 0, v15
	s_delay_alu instid0(VALU_DEP_3) | instskip(NEXT) | instid1(VALU_DEP_3)
	v_cndmask_b32_e64 v8, v8, v17, s1
	v_cndmask_b32_e64 v17, v17, v9, s1
	;; [unrolled: 1-line block ×3, first 2 shown]
	s_delay_alu instid0(VALU_DEP_2) | instskip(NEXT) | instid1(VALU_DEP_2)
	v_alignbit_b32 v21, v8, v17, v19
	v_alignbit_b32 v18, v17, v9, v19
	;; [unrolled: 1-line block ×3, first 2 shown]
	s_delay_alu instid0(VALU_DEP_2) | instskip(NEXT) | instid1(VALU_DEP_2)
	v_dual_cndmask_b32 v8, v21, v8 :: v_dual_cndmask_b32 v15, v18, v17
	v_cndmask_b32_e32 v9, v19, v9, vcc_lo
	s_delay_alu instid0(VALU_DEP_2) | instskip(NEXT) | instid1(VALU_DEP_3)
	v_bfe_u32 v16, v8, 29, 1
	v_alignbit_b32 v17, v8, v15, 30
	s_delay_alu instid0(VALU_DEP_3) | instskip(SKIP_1) | instid1(VALU_DEP_4)
	v_alignbit_b32 v15, v15, v9, 30
	v_alignbit_b32 v9, v9, v14, 30
	v_sub_nc_u32_e32 v18, 0, v16
	s_delay_alu instid0(VALU_DEP_1) | instskip(NEXT) | instid1(VALU_DEP_4)
	v_xor_b32_e32 v17, v17, v18
	v_xor_b32_e32 v14, v15, v18
	s_delay_alu instid0(VALU_DEP_4) | instskip(NEXT) | instid1(VALU_DEP_3)
	v_dual_lshrrev_b32 v18, 29, v8 :: v_dual_bitop2_b32 v9, v9, v18 bitop3:0x14
	v_clz_i32_u32_e32 v19, v17
	s_delay_alu instid0(VALU_DEP_1) | instskip(NEXT) | instid1(VALU_DEP_1)
	v_min_u32_e32 v19, 32, v19
	v_dual_sub_nc_u32 v15, 31, v19 :: v_dual_lshlrev_b32 v20, 23, v19
	s_delay_alu instid0(VALU_DEP_1) | instskip(SKIP_2) | instid1(VALU_DEP_2)
	v_alignbit_b32 v17, v17, v14, v15
	v_alignbit_b32 v9, v14, v9, v15
	v_lshlrev_b32_e32 v14, 31, v18
	v_alignbit_b32 v15, v17, v9, 9
	s_delay_alu instid0(VALU_DEP_2) | instskip(SKIP_1) | instid1(VALU_DEP_3)
	v_dual_lshrrev_b32 v17, 9, v17 :: v_dual_bitop2_b32 v18, 0.5, v14 bitop3:0x54
	v_or_b32_e32 v14, 0x33000000, v14
	v_clz_i32_u32_e32 v21, v15
	s_delay_alu instid0(VALU_DEP_3) | instskip(NEXT) | instid1(VALU_DEP_2)
	v_sub_nc_u32_e32 v18, v18, v20
	v_min_u32_e32 v20, 32, v21
	s_delay_alu instid0(VALU_DEP_1) | instskip(NEXT) | instid1(VALU_DEP_3)
	v_add_lshl_u32 v19, v20, v19, 23
	v_or_b32_e32 v17, v17, v18
	v_not_b32_e32 v18, v20
	s_delay_alu instid0(VALU_DEP_2) | instskip(NEXT) | instid1(VALU_DEP_2)
	v_dual_mul_f32 v21, 0x3fc90fda, v17 :: v_dual_sub_nc_u32 v14, v14, v19
	v_alignbit_b32 v9, v15, v9, v18
	s_delay_alu instid0(VALU_DEP_2) | instskip(NEXT) | instid1(VALU_DEP_2)
	v_fma_f32 v15, 0x3fc90fda, v17, -v21
	v_lshrrev_b32_e32 v9, 9, v9
	s_delay_alu instid0(VALU_DEP_2) | instskip(NEXT) | instid1(VALU_DEP_2)
	v_fmamk_f32 v15, v17, 0x33a22168, v15
	v_or_b32_e32 v9, v14, v9
	s_delay_alu instid0(VALU_DEP_1) | instskip(NEXT) | instid1(VALU_DEP_1)
	v_fmac_f32_e32 v15, 0x3fc90fda, v9
	v_dual_add_f32 v8, v21, v15 :: v_dual_lshrrev_b32 v9, 30, v8
	s_delay_alu instid0(VALU_DEP_1)
	v_add_nc_u32_e32 v15, v16, v9
.LBB11_11:
	s_and_not1_saveexec_b32 s0, s9
; %bb.12:
	v_mul_f32_e64 v8, 0x3f22f983, |v2|
	s_delay_alu instid0(VALU_DEP_1) | instskip(NEXT) | instid1(VALU_DEP_1)
	v_rndne_f32_e32 v9, v8
	v_fma_f32 v8, 0xbfc90fda, v9, |v2|
	v_cvt_i32_f32_e32 v15, v9
	s_delay_alu instid0(VALU_DEP_2) | instskip(NEXT) | instid1(VALU_DEP_1)
	v_fmamk_f32 v8, v9, 0xb3a22168, v8
	v_fmamk_f32 v8, v9, 0xa7c234c4, v8
; %bb.13:
	s_or_b32 exec_lo, exec_lo, s0
	v_and_b32_e32 v14, 0x7fffffff, v3
                                        ; implicit-def: $vgpr16
	s_mov_b32 s1, exec_lo
	v_cmpx_ngt_f32_e64 0x48000000, |v3|
	s_xor_b32 s9, exec_lo, s1
	s_cbranch_execz .LBB11_15
; %bb.14:
	s_mov_b32 s0, 0x7fffff
	v_mov_b32_e32 v17, 0
	v_and_or_b32 v16, v14, s0, 0x800000
	s_mov_b64 s[0:1], 0xfe5163ab
	v_lshrrev_b32_e32 v9, 23, v14
	s_delay_alu instid0(VALU_DEP_2) | instskip(NEXT) | instid1(VALU_DEP_1)
	v_mul_u64_e32 v[18:19], s[0:1], v[16:17]
	v_dual_mov_b32 v20, v19 :: v_dual_mov_b32 v21, v17
	v_dual_mov_b32 v23, v17 :: v_dual_mov_b32 v25, v17
	;; [unrolled: 1-line block ×3, first 2 shown]
	s_delay_alu instid0(VALU_DEP_3) | instskip(NEXT) | instid1(VALU_DEP_1)
	v_mad_nc_u64_u32 v[20:21], 0x3c439041, v16, v[20:21]
	v_mov_b32_e32 v22, v21
	s_delay_alu instid0(VALU_DEP_1) | instskip(NEXT) | instid1(VALU_DEP_1)
	v_mad_nc_u64_u32 v[22:23], 0xdb629599, v16, v[22:23]
	v_mov_b32_e32 v24, v23
	s_delay_alu instid0(VALU_DEP_1) | instskip(NEXT) | instid1(VALU_DEP_1)
	;; [unrolled: 3-line block ×3, first 2 shown]
	v_mad_nc_u64_u32 v[26:27], 0xfc2757d1, v16, v[26:27]
	v_dual_mov_b32 v29, v17 :: v_dual_mov_b32 v28, v27
	s_delay_alu instid0(VALU_DEP_1) | instskip(NEXT) | instid1(VALU_DEP_1)
	v_mad_nc_u64_u32 v[28:29], 0x4e441529, v16, v[28:29]
	v_dual_mov_b32 v30, v29 :: v_dual_add_nc_u32 v9, 0xffffff88, v9
	s_delay_alu instid0(VALU_DEP_1) | instskip(NEXT) | instid1(VALU_DEP_2)
	v_cmp_lt_u32_e32 vcc_lo, 63, v9
	v_mad_nc_u64_u32 v[16:17], 0xa2f9836e, v16, v[30:31]
	v_cndmask_b32_e64 v19, 0, 0xffffffc0, vcc_lo
	v_dual_cndmask_b32 v21, v28, v24 :: v_dual_cndmask_b32 v18, v22, v18
	s_delay_alu instid0(VALU_DEP_2) | instskip(NEXT) | instid1(VALU_DEP_1)
	v_add_nc_u32_e32 v9, v19, v9
	v_cmp_lt_u32_e64 s0, 31, v9
	v_dual_cndmask_b32 v16, v16, v26 :: v_dual_cndmask_b32 v17, v17, v28
	s_delay_alu instid0(VALU_DEP_2) | instskip(NEXT) | instid1(VALU_DEP_1)
	v_cndmask_b32_e64 v19, 0, 0xffffffe0, s0
	v_add_nc_u32_e32 v9, v19, v9
	s_delay_alu instid0(VALU_DEP_1) | instskip(NEXT) | instid1(VALU_DEP_1)
	v_cmp_lt_u32_e64 s1, 31, v9
	v_cndmask_b32_e64 v19, 0, 0xffffffe0, s1
	s_delay_alu instid0(VALU_DEP_1) | instskip(SKIP_2) | instid1(VALU_DEP_3)
	v_dual_cndmask_b32 v23, v26, v22, vcc_lo :: v_dual_add_nc_u32 v9, v19, v9
	v_cndmask_b32_e32 v19, v24, v20, vcc_lo
	v_dual_cndmask_b32 v20, v16, v21, s0 :: v_dual_cndmask_b32 v16, v17, v16, s0
	v_dual_cndmask_b32 v17, v21, v23, s0 :: v_dual_sub_nc_u32 v21, 32, v9
	s_delay_alu instid0(VALU_DEP_3) | instskip(SKIP_1) | instid1(VALU_DEP_4)
	v_cndmask_b32_e64 v23, v23, v19, s0
	v_cmp_eq_u32_e32 vcc_lo, 0, v9
	v_cndmask_b32_e64 v16, v16, v20, s1
	s_delay_alu instid0(VALU_DEP_3) | instskip(NEXT) | instid1(VALU_DEP_1)
	v_dual_cndmask_b32 v20, v20, v17, s1 :: v_dual_cndmask_b32 v17, v17, v23, s1
	v_alignbit_b32 v24, v16, v20, v21
	s_delay_alu instid0(VALU_DEP_2) | instskip(NEXT) | instid1(VALU_DEP_2)
	v_alignbit_b32 v22, v20, v17, v21
	v_dual_cndmask_b32 v9, v24, v16, vcc_lo :: v_dual_cndmask_b32 v16, v19, v18, s0
	s_delay_alu instid0(VALU_DEP_1) | instskip(NEXT) | instid1(VALU_DEP_1)
	v_bfe_u32 v19, v9, 29, 1
	v_dual_cndmask_b32 v18, v22, v20, vcc_lo :: v_dual_sub_nc_u32 v22, 0, v19
	s_delay_alu instid0(VALU_DEP_1) | instskip(NEXT) | instid1(VALU_DEP_1)
	v_alignbit_b32 v20, v9, v18, 30
	v_dual_cndmask_b32 v16, v23, v16, s1 :: v_dual_bitop2_b32 v20, v20, v22 bitop3:0x14
	s_delay_alu instid0(VALU_DEP_1) | instskip(NEXT) | instid1(VALU_DEP_1)
	v_alignbit_b32 v21, v17, v16, v21
	v_cndmask_b32_e32 v17, v21, v17, vcc_lo
	s_delay_alu instid0(VALU_DEP_3) | instskip(NEXT) | instid1(VALU_DEP_2)
	v_clz_i32_u32_e32 v21, v20
	v_alignbit_b32 v16, v17, v16, 30
	s_delay_alu instid0(VALU_DEP_2) | instskip(NEXT) | instid1(VALU_DEP_2)
	v_min_u32_e32 v21, 32, v21
	v_xor_b32_e32 v16, v16, v22
	v_alignbit_b32 v18, v18, v17, 30
	s_delay_alu instid0(VALU_DEP_1) | instskip(SKIP_1) | instid1(VALU_DEP_1)
	v_dual_lshlrev_b32 v23, 23, v21 :: v_dual_bitop2_b32 v17, v18, v22 bitop3:0x14
	v_sub_nc_u32_e32 v18, 31, v21
	v_alignbit_b32 v20, v20, v17, v18
	v_lshrrev_b32_e32 v22, 29, v9
	v_alignbit_b32 v16, v17, v16, v18
	s_delay_alu instid0(VALU_DEP_1) | instskip(NEXT) | instid1(VALU_DEP_3)
	v_alignbit_b32 v18, v20, v16, 9
	v_dual_lshrrev_b32 v20, 9, v20 :: v_dual_lshlrev_b32 v17, 31, v22
	s_delay_alu instid0(VALU_DEP_2) | instskip(NEXT) | instid1(VALU_DEP_2)
	v_clz_i32_u32_e32 v24, v18
	v_or_b32_e32 v22, 0.5, v17
	v_or_b32_e32 v17, 0x33000000, v17
	s_delay_alu instid0(VALU_DEP_2) | instskip(NEXT) | instid1(VALU_DEP_4)
	v_sub_nc_u32_e32 v22, v22, v23
	v_min_u32_e32 v23, 32, v24
	s_delay_alu instid0(VALU_DEP_1) | instskip(NEXT) | instid1(VALU_DEP_1)
	v_add_lshl_u32 v21, v23, v21, 23
	v_dual_sub_nc_u32 v17, v17, v21 :: v_dual_bitop2_b32 v20, v20, v22 bitop3:0x54
	v_not_b32_e32 v22, v23
	s_delay_alu instid0(VALU_DEP_2) | instskip(NEXT) | instid1(VALU_DEP_2)
	v_mul_f32_e32 v24, 0x3fc90fda, v20
	v_alignbit_b32 v16, v18, v16, v22
	s_delay_alu instid0(VALU_DEP_2) | instskip(NEXT) | instid1(VALU_DEP_2)
	v_fma_f32 v18, 0x3fc90fda, v20, -v24
	v_lshrrev_b32_e32 v16, 9, v16
	s_delay_alu instid0(VALU_DEP_2) | instskip(NEXT) | instid1(VALU_DEP_2)
	v_fmamk_f32 v18, v20, 0x33a22168, v18
	v_or_b32_e32 v16, v17, v16
	s_delay_alu instid0(VALU_DEP_1) | instskip(NEXT) | instid1(VALU_DEP_1)
	v_fmac_f32_e32 v18, 0x3fc90fda, v16
	v_dual_add_f32 v9, v24, v18 :: v_dual_lshrrev_b32 v16, 30, v9
	s_delay_alu instid0(VALU_DEP_1)
	v_add_nc_u32_e32 v16, v19, v16
.LBB11_15:
	s_and_not1_saveexec_b32 s0, s9
; %bb.16:
	v_mul_f32_e64 v9, 0x3f22f983, |v3|
	s_delay_alu instid0(VALU_DEP_1) | instskip(NEXT) | instid1(VALU_DEP_1)
	v_rndne_f32_e32 v16, v9
	v_fma_f32 v9, 0xbfc90fda, v16, |v3|
	s_delay_alu instid0(VALU_DEP_1) | instskip(NEXT) | instid1(VALU_DEP_1)
	v_fmamk_f32 v9, v16, 0xb3a22168, v9
	v_fmamk_f32 v9, v16, 0xa7c234c4, v9
	v_cvt_i32_f32_e32 v16, v16
; %bb.17:
	s_or_b32 exec_lo, exec_lo, s0
	v_pk_mul_f32 v[18:19], v[6:7], v[6:7]
	s_mov_b32 s0, 0x3c0881c4
	s_mov_b32 s12, 0xb94c1982
	;; [unrolled: 1-line block ×4, first 2 shown]
	v_dual_lshlrev_b32 v22, 30, v13 :: v_dual_lshlrev_b32 v23, 30, v10
	v_dual_lshlrev_b32 v28, 30, v15 :: v_dual_bitop2_b32 v26, 1, v10 bitop3:0x40
	v_xor_b32_e32 v30, v11, v5
	v_pk_fma_f32 v[10:11], v[18:19], s[12:13], s[0:1] op_sel_hi:[1,0,0]
	v_pk_fma_f32 v[20:21], v[18:19], s[16:17], s[14:15] op_sel_hi:[1,0,0]
	s_mov_b32 s18, 0xbe2aaa9d
	s_mov_b32 s20, 0x3d2aabf7
	;; [unrolled: 1-line block ×3, first 2 shown]
	v_pk_fma_f32 v[10:11], v[18:19], v[10:11], s[18:19] op_sel_hi:[1,1,0]
	v_pk_fma_f32 v[20:21], v[18:19], v[20:21], s[20:21] op_sel_hi:[1,1,0]
	v_dual_lshlrev_b32 v27, 30, v16 :: v_dual_bitop2_b32 v13, 1, v13 bitop3:0x40
	v_and_b32_e32 v31, 0x80000000, v22
	s_delay_alu instid0(VALU_DEP_4) | instskip(NEXT) | instid1(VALU_DEP_4)
	v_pk_mul_f32 v[10:11], v[18:19], v[10:11]
	v_pk_fma_f32 v[20:21], v[18:19], v[20:21], s[22:23] op_sel_hi:[1,1,0]
	s_delay_alu instid0(VALU_DEP_4)
	v_cmp_eq_u32_e32 vcc_lo, 0, v13
	v_and_b32_e32 v32, 0x80000000, v23
	v_xor_b32_e32 v30, v30, v31
	v_pk_fma_f32 v[6:7], v[6:7], v[10:11], v[6:7]
	v_pk_fma_f32 v[10:11], v[18:19], v[20:21], 1.0 op_sel_hi:[1,1,0]
	v_and_b32_e32 v29, 1, v16
	v_pk_mul_f32 v[16:17], v[8:9], v[8:9]
	v_and_b32_e32 v13, 0x80000000, v27
	v_xor_b32_e32 v14, v14, v3
	v_cndmask_b32_e32 v7, v11, v7, vcc_lo
	v_cmp_eq_u32_e32 vcc_lo, 0, v26
	v_pk_fma_f32 v[22:23], v[16:17], s[12:13], s[0:1] op_sel_hi:[1,0,0]
	v_pk_fma_f32 v[24:25], v[16:17], s[16:17], s[14:15] op_sel_hi:[1,0,0]
	v_and_b32_e32 v15, 1, v15
	v_xor_b32_e32 v11, v30, v7
	v_cndmask_b32_e32 v10, v10, v6, vcc_lo
	v_pk_fma_f32 v[18:19], v[16:17], v[22:23], s[18:19] op_sel_hi:[1,1,0]
	v_pk_fma_f32 v[20:21], v[16:17], v[24:25], s[20:21] op_sel_hi:[1,1,0]
	v_cmp_eq_u32_e32 vcc_lo, 0, v29
	v_xor_b32_e32 v12, v12, v2
	s_add_nc_u64 s[2:3], s[4:5], s[2:3]
	v_pk_mul_f32 v[18:19], v[16:17], v[18:19]
	v_pk_fma_f32 v[20:21], v[16:17], v[20:21], s[22:23] op_sel_hi:[1,1,0]
	s_mov_b32 s0, 0
	s_delay_alu instid0(VALU_DEP_2) | instskip(NEXT) | instid1(VALU_DEP_2)
	v_pk_fma_f32 v[6:7], v[8:9], v[18:19], v[8:9]
	v_pk_fma_f32 v[8:9], v[16:17], v[20:21], 1.0 op_sel_hi:[1,1,0]
	v_and_b32_e32 v16, 0x80000000, v28
	s_delay_alu instid0(VALU_DEP_2) | instskip(SKIP_2) | instid1(VALU_DEP_4)
	v_cndmask_b32_e32 v7, v9, v7, vcc_lo
	v_cmp_eq_u32_e32 vcc_lo, 0, v15
	v_xor_b32_e32 v1, v1, v4
	v_xor_b32_e32 v9, v12, v16
	s_delay_alu instid0(VALU_DEP_2) | instskip(SKIP_2) | instid1(VALU_DEP_3)
	v_dual_cndmask_b32 v6, v8, v6, vcc_lo :: v_dual_bitop2_b32 v1, v1, v32 bitop3:0x14
	v_cmp_class_f32_e64 vcc_lo, v5, 0x1f8
	v_xor_b32_e32 v8, v14, v13
	v_xor_b32_e32 v6, v9, v6
	s_delay_alu instid0(VALU_DEP_4) | instskip(SKIP_3) | instid1(VALU_DEP_4)
	v_xor_b32_e32 v1, v1, v10
	v_cndmask_b32_e32 v5, 0x7fc00000, v11, vcc_lo
	v_cmp_class_f32_e64 vcc_lo, v4, 0x1f8
	v_xor_b32_e32 v7, v8, v7
	v_cndmask_b32_e32 v4, 0x7fc00000, v1, vcc_lo
	v_cmp_class_f32_e64 vcc_lo, v3, 0x1f8
	s_delay_alu instid0(VALU_DEP_3)
	v_cndmask_b32_e32 v3, 0x7fc00000, v7, vcc_lo
	v_cmp_class_f32_e64 vcc_lo, v2, 0x1f8
	v_cndmask_b32_e32 v2, 0x7fc00000, v6, vcc_lo
	s_clause 0x1
	global_store_b64 v0, v[4:5], s[2:3] scale_offset
	global_store_b64 v0, v[2:3], s[2:3] offset:2048 scale_offset
.LBB11_18:
	s_and_b32 vcc_lo, exec_lo, s0
	s_cbranch_vccz .LBB11_51
; %bb.19:
	v_cmp_gt_i32_e32 vcc_lo, s10, v0
	s_wait_xcnt 0x1
	v_dual_mov_b32 v9, 0 :: v_dual_bitop2_b32 v5, s8, v0 bitop3:0x54
	v_or_b32_e32 v6, 0x100, v0
	v_dual_mov_b32 v10, 0 :: v_dual_mov_b32 v1, v0
	s_wait_xcnt 0x0
	s_and_saveexec_b32 s0, vcc_lo
	s_cbranch_execz .LBB11_21
; %bb.20:
	global_load_b32 v10, v5, s[6:7] scale_offset
	v_or_b32_e32 v1, 0x100, v0
.LBB11_21:
	s_wait_xcnt 0x0
	s_or_b32 exec_lo, exec_lo, s0
	s_delay_alu instid0(SALU_CYCLE_1) | instskip(NEXT) | instid1(VALU_DEP_1)
	s_mov_b32 s1, exec_lo
	v_cmpx_gt_i32_e64 s10, v1
	s_cbranch_execz .LBB11_23
; %bb.22:
	v_add_nc_u32_e32 v2, s8, v1
	v_add_nc_u32_e32 v1, 0x100, v1
	global_load_b32 v9, v2, s[6:7] scale_offset
.LBB11_23:
	s_wait_xcnt 0x0
	s_or_b32 exec_lo, exec_lo, s1
	v_dual_mov_b32 v7, 0 :: v_dual_mov_b32 v8, 0
	s_mov_b32 s1, exec_lo
	v_cmpx_gt_i32_e64 s10, v1
	s_cbranch_execz .LBB11_25
; %bb.24:
	v_add_nc_u32_e32 v2, s8, v1
	v_add_nc_u32_e32 v1, 0x100, v1
	global_load_b32 v8, v2, s[6:7] scale_offset
.LBB11_25:
	s_wait_xcnt 0x0
	s_or_b32 exec_lo, exec_lo, s1
	s_delay_alu instid0(SALU_CYCLE_1)
	s_mov_b32 s1, exec_lo
	v_cmpx_gt_i32_e64 s10, v1
	s_cbranch_execz .LBB11_27
; %bb.26:
	v_add_nc_u32_e32 v1, s8, v1
	global_load_b32 v7, v1, s[6:7] scale_offset
.LBB11_27:
	s_wait_xcnt 0x0
	s_or_b32 exec_lo, exec_lo, s1
	v_mov_b32_e32 v2, 0
	s_delay_alu instid0(VALU_DEP_1)
	v_dual_mov_b32 v1, v2 :: v_dual_mov_b32 v4, v2
	v_mov_b32_e32 v3, v2
	s_and_saveexec_b32 s3, vcc_lo
	s_cbranch_execz .LBB11_33
; %bb.28:
	s_wait_loadcnt 0x0
	v_and_b32_e32 v1, 0x7fffffff, v10
                                        ; implicit-def: $vgpr3
                                        ; implicit-def: $vgpr2
	s_mov_b32 s1, exec_lo
	v_cmpx_ngt_f32_e64 0x48000000, |v10|
	s_xor_b32 s6, exec_lo, s1
	s_cbranch_execz .LBB11_30
; %bb.29:
	s_mov_b32 s0, 0x7fffff
	v_mov_b32_e32 v3, 0
	v_and_or_b32 v2, v1, s0, 0x800000
	s_mov_b64 s[0:1], 0xfe5163ab
	v_lshrrev_b32_e32 v4, 23, v1
	s_delay_alu instid0(VALU_DEP_2) | instskip(NEXT) | instid1(VALU_DEP_1)
	v_mul_u64_e32 v[12:13], s[0:1], v[2:3]
	v_dual_mov_b32 v14, v13 :: v_dual_mov_b32 v15, v3
	v_dual_mov_b32 v17, v3 :: v_dual_mov_b32 v19, v3
	s_delay_alu instid0(VALU_DEP_4) | instskip(SKIP_1) | instid1(VALU_DEP_4)
	v_dual_mov_b32 v21, v3 :: v_dual_add_nc_u32 v4, 0xffffff88, v4
	v_mov_b32_e32 v25, v3
	v_mad_nc_u64_u32 v[14:15], 0x3c439041, v2, v[14:15]
	s_delay_alu instid0(VALU_DEP_3) | instskip(NEXT) | instid1(VALU_DEP_1)
	v_cmp_lt_u32_e64 s0, 63, v4
	v_cndmask_b32_e64 v11, 0, 0xffffffc0, s0
	s_delay_alu instid0(VALU_DEP_3) | instskip(NEXT) | instid1(VALU_DEP_1)
	v_mov_b32_e32 v16, v15
	v_mad_nc_u64_u32 v[16:17], 0xdb629599, v2, v[16:17]
	s_delay_alu instid0(VALU_DEP_1) | instskip(NEXT) | instid1(VALU_DEP_1)
	v_dual_mov_b32 v18, v17 :: v_dual_cndmask_b32 v12, v16, v12, s0
	v_mad_nc_u64_u32 v[18:19], 0xf534ddc0, v2, v[18:19]
	s_delay_alu instid0(VALU_DEP_1) | instskip(NEXT) | instid1(VALU_DEP_1)
	v_mov_b32_e32 v20, v19
	v_mad_nc_u64_u32 v[20:21], 0xfc2757d1, v2, v[20:21]
	s_delay_alu instid0(VALU_DEP_1) | instskip(NEXT) | instid1(VALU_DEP_2)
	v_dual_mov_b32 v23, v3 :: v_dual_mov_b32 v22, v21
	v_cndmask_b32_e64 v15, v20, v16, s0
	s_delay_alu instid0(VALU_DEP_2) | instskip(NEXT) | instid1(VALU_DEP_1)
	v_mad_nc_u64_u32 v[22:23], 0x4e441529, v2, v[22:23]
	v_dual_add_nc_u32 v4, v11, v4 :: v_dual_cndmask_b32 v13, v22, v18, s0
	s_delay_alu instid0(VALU_DEP_1) | instskip(NEXT) | instid1(VALU_DEP_3)
	v_cmp_lt_u32_e64 s1, 31, v4
	v_mov_b32_e32 v24, v23
	s_delay_alu instid0(VALU_DEP_2) | instskip(NEXT) | instid1(VALU_DEP_2)
	v_cndmask_b32_e64 v11, 0, 0xffffffe0, s1
	v_mad_nc_u64_u32 v[2:3], 0xa2f9836e, v2, v[24:25]
	s_delay_alu instid0(VALU_DEP_2) | instskip(NEXT) | instid1(VALU_DEP_1)
	v_add_nc_u32_e32 v4, v11, v4
	v_cmp_lt_u32_e64 s2, 31, v4
	s_delay_alu instid0(VALU_DEP_3) | instskip(NEXT) | instid1(VALU_DEP_2)
	v_dual_cndmask_b32 v2, v2, v20, s0 :: v_dual_cndmask_b32 v3, v3, v22, s0
	v_cndmask_b32_e64 v11, 0, 0xffffffe0, s2
	s_delay_alu instid0(VALU_DEP_1) | instskip(NEXT) | instid1(VALU_DEP_3)
	v_dual_add_nc_u32 v4, v11, v4 :: v_dual_cndmask_b32 v11, v18, v14, s0
	v_dual_cndmask_b32 v14, v2, v13, s1 :: v_dual_cndmask_b32 v2, v3, v2, s1
	s_delay_alu instid0(VALU_DEP_2) | instskip(NEXT) | instid1(VALU_DEP_3)
	v_dual_cndmask_b32 v3, v13, v15, s1 :: v_dual_sub_nc_u32 v13, 32, v4
	v_cndmask_b32_e64 v15, v15, v11, s1
	v_cmp_eq_u32_e64 s0, 0, v4
	s_delay_alu instid0(VALU_DEP_4) | instskip(NEXT) | instid1(VALU_DEP_4)
	v_cndmask_b32_e64 v2, v2, v14, s2
	v_dual_cndmask_b32 v14, v14, v3, s2 :: v_dual_cndmask_b32 v4, v11, v12, s1
	s_delay_alu instid0(VALU_DEP_4) | instskip(NEXT) | instid1(VALU_DEP_2)
	v_cndmask_b32_e64 v3, v3, v15, s2
	v_alignbit_b32 v17, v2, v14, v13
	s_delay_alu instid0(VALU_DEP_3) | instskip(NEXT) | instid1(VALU_DEP_3)
	v_cndmask_b32_e64 v4, v15, v4, s2
	v_alignbit_b32 v16, v14, v3, v13
	s_delay_alu instid0(VALU_DEP_3) | instskip(NEXT) | instid1(VALU_DEP_3)
	;; [unrolled: 3-line block ×3, first 2 shown]
	v_cndmask_b32_e64 v11, v16, v14, s0
	v_bfe_u32 v12, v2, 29, 1
	s_delay_alu instid0(VALU_DEP_3) | instskip(NEXT) | instid1(VALU_DEP_3)
	v_cndmask_b32_e64 v3, v13, v3, s0
	v_alignbit_b32 v14, v2, v11, 30
	s_delay_alu instid0(VALU_DEP_3) | instskip(NEXT) | instid1(VALU_DEP_3)
	v_sub_nc_u32_e32 v15, 0, v12
	v_alignbit_b32 v11, v11, v3, 30
	v_alignbit_b32 v3, v3, v4, 30
	s_delay_alu instid0(VALU_DEP_3) | instskip(NEXT) | instid1(VALU_DEP_3)
	v_xor_b32_e32 v14, v14, v15
	v_xor_b32_e32 v4, v11, v15
	s_delay_alu instid0(VALU_DEP_3) | instskip(NEXT) | instid1(VALU_DEP_3)
	v_dual_lshrrev_b32 v15, 29, v2 :: v_dual_bitop2_b32 v3, v3, v15 bitop3:0x14
	v_clz_i32_u32_e32 v13, v14
	s_delay_alu instid0(VALU_DEP_1) | instskip(NEXT) | instid1(VALU_DEP_1)
	v_min_u32_e32 v13, 32, v13
	v_dual_sub_nc_u32 v11, 31, v13 :: v_dual_lshlrev_b32 v16, 23, v13
	s_delay_alu instid0(VALU_DEP_1) | instskip(SKIP_2) | instid1(VALU_DEP_2)
	v_alignbit_b32 v14, v14, v4, v11
	v_alignbit_b32 v3, v4, v3, v11
	v_lshlrev_b32_e32 v4, 31, v15
	v_alignbit_b32 v11, v14, v3, 9
	s_delay_alu instid0(VALU_DEP_2) | instskip(SKIP_1) | instid1(VALU_DEP_3)
	v_dual_lshrrev_b32 v14, 9, v14 :: v_dual_bitop2_b32 v15, 0.5, v4 bitop3:0x54
	v_or_b32_e32 v4, 0x33000000, v4
	v_clz_i32_u32_e32 v17, v11
	s_delay_alu instid0(VALU_DEP_3) | instskip(NEXT) | instid1(VALU_DEP_2)
	v_sub_nc_u32_e32 v15, v15, v16
	v_min_u32_e32 v16, 32, v17
	s_delay_alu instid0(VALU_DEP_1) | instskip(NEXT) | instid1(VALU_DEP_3)
	v_add_lshl_u32 v13, v16, v13, 23
	v_or_b32_e32 v14, v14, v15
	v_not_b32_e32 v15, v16
	s_delay_alu instid0(VALU_DEP_2) | instskip(NEXT) | instid1(VALU_DEP_2)
	v_dual_mul_f32 v17, 0x3fc90fda, v14 :: v_dual_sub_nc_u32 v4, v4, v13
	v_alignbit_b32 v3, v11, v3, v15
	s_delay_alu instid0(VALU_DEP_2) | instskip(NEXT) | instid1(VALU_DEP_2)
	v_fma_f32 v11, 0x3fc90fda, v14, -v17
	v_lshrrev_b32_e32 v3, 9, v3
	s_delay_alu instid0(VALU_DEP_2) | instskip(NEXT) | instid1(VALU_DEP_2)
	v_fmamk_f32 v11, v14, 0x33a22168, v11
	v_or_b32_e32 v3, v4, v3
	s_delay_alu instid0(VALU_DEP_1) | instskip(NEXT) | instid1(VALU_DEP_1)
	v_fmac_f32_e32 v11, 0x3fc90fda, v3
	v_dual_add_f32 v2, v17, v11 :: v_dual_lshrrev_b32 v3, 30, v2
	s_delay_alu instid0(VALU_DEP_1)
	v_add_nc_u32_e32 v3, v12, v3
.LBB11_30:
	s_and_not1_saveexec_b32 s0, s6
; %bb.31:
	v_mul_f32_e64 v2, 0x3f22f983, |v10|
	s_delay_alu instid0(VALU_DEP_1) | instskip(NEXT) | instid1(VALU_DEP_1)
	v_rndne_f32_e32 v3, v2
	v_fma_f32 v2, 0xbfc90fda, v3, |v10|
	s_delay_alu instid0(VALU_DEP_1) | instskip(NEXT) | instid1(VALU_DEP_1)
	v_fmamk_f32 v2, v3, 0xb3a22168, v2
	v_fmamk_f32 v2, v3, 0xa7c234c4, v2
	v_cvt_i32_f32_e32 v3, v3
; %bb.32:
	s_or_b32 exec_lo, exec_lo, s0
	s_delay_alu instid0(VALU_DEP_1) | instskip(SKIP_3) | instid1(VALU_DEP_2)
	v_dual_mul_f32 v4, v2, v2 :: v_dual_bitop2_b32 v13, 1, v3 bitop3:0x40
	s_mov_b32 s0, 0xb94c1982
	s_mov_b32 s1, 0x37d75334
	v_lshlrev_b32_e32 v3, 30, v3
	v_fmaak_f32 v11, s0, v4, 0x3c0881c4
	v_cmp_eq_u32_e64 s0, 0, v13
	s_delay_alu instid0(VALU_DEP_3) | instskip(NEXT) | instid1(VALU_DEP_3)
	v_and_b32_e32 v3, 0x80000000, v3
	v_fmaak_f32 v11, v4, v11, 0xbe2aaa9d
	s_delay_alu instid0(VALU_DEP_1) | instskip(NEXT) | instid1(VALU_DEP_1)
	v_dual_fmaak_f32 v12, s1, v4, 0xbab64f3b :: v_dual_mul_f32 v11, v4, v11
	v_fmaak_f32 v12, v4, v12, 0x3d2aabf7
	s_delay_alu instid0(VALU_DEP_2) | instskip(NEXT) | instid1(VALU_DEP_2)
	v_dual_fmac_f32 v2, v2, v11 :: v_dual_bitop2_b32 v11, v1, v10 bitop3:0x14
	v_dual_fmaak_f32 v12, v4, v12, 0xbf000004 :: v_dual_mov_b32 v1, 0
	s_delay_alu instid0(VALU_DEP_1) | instskip(NEXT) | instid1(VALU_DEP_1)
	v_fma_f32 v4, v4, v12, 1.0
	v_cndmask_b32_e64 v2, v4, v2, s0
	v_cmp_class_f32_e64 s0, v10, 0x1f8
	s_delay_alu instid0(VALU_DEP_4) | instskip(NEXT) | instid1(VALU_DEP_3)
	v_mov_b32_e32 v4, v1
	v_xor3_b32 v2, v11, v3, v2
	v_mov_b32_e32 v3, v1
	s_delay_alu instid0(VALU_DEP_2)
	v_cndmask_b32_e64 v2, 0x7fc00000, v2, s0
.LBB11_33:
	s_or_b32 exec_lo, exec_lo, s3
	s_delay_alu instid0(SALU_CYCLE_1)
	s_mov_b32 s3, exec_lo
	v_cmpx_gt_i32_e64 s10, v6
	s_cbranch_execz .LBB11_39
; %bb.34:
	s_wait_loadcnt 0x0
	v_and_b32_e32 v1, 0x7fffffff, v9
                                        ; implicit-def: $vgpr11
                                        ; implicit-def: $vgpr10
	s_mov_b32 s1, exec_lo
	v_cmpx_ngt_f32_e64 0x48000000, |v9|
	s_xor_b32 s6, exec_lo, s1
	s_cbranch_execz .LBB11_36
; %bb.35:
	s_mov_b32 s0, 0x7fffff
	v_mov_b32_e32 v11, 0
	v_and_or_b32 v10, v1, s0, 0x800000
	s_mov_b64 s[0:1], 0xfe5163ab
	s_delay_alu instid0(VALU_DEP_1) | instid1(SALU_CYCLE_1)
	v_mul_u64_e32 v[12:13], s[0:1], v[10:11]
	s_delay_alu instid0(VALU_DEP_1) | instskip(SKIP_2) | instid1(VALU_DEP_3)
	v_dual_mov_b32 v14, v13 :: v_dual_mov_b32 v15, v11
	v_dual_mov_b32 v17, v11 :: v_dual_mov_b32 v19, v11
	v_dual_mov_b32 v21, v11 :: v_dual_lshrrev_b32 v13, 23, v1
	v_mad_nc_u64_u32 v[14:15], 0x3c439041, v10, v[14:15]
	s_delay_alu instid0(VALU_DEP_1) | instskip(NEXT) | instid1(VALU_DEP_1)
	v_mov_b32_e32 v16, v15
	v_mad_nc_u64_u32 v[16:17], 0xdb629599, v10, v[16:17]
	s_delay_alu instid0(VALU_DEP_1) | instskip(NEXT) | instid1(VALU_DEP_1)
	v_mov_b32_e32 v18, v17
	;; [unrolled: 3-line block ×3, first 2 shown]
	v_mad_nc_u64_u32 v[20:21], 0xfc2757d1, v10, v[20:21]
	s_delay_alu instid0(VALU_DEP_1) | instskip(NEXT) | instid1(VALU_DEP_1)
	v_dual_mov_b32 v23, v11 :: v_dual_mov_b32 v22, v21
	v_mad_nc_u64_u32 v[22:23], 0x4e441529, v10, v[22:23]
	s_delay_alu instid0(VALU_DEP_1) | instskip(NEXT) | instid1(VALU_DEP_1)
	v_dual_mov_b32 v24, v23 :: v_dual_add_nc_u32 v13, 0xffffff88, v13
	v_cmp_lt_u32_e64 s0, 63, v13
	v_mov_b32_e32 v25, v11
	s_delay_alu instid0(VALU_DEP_2) | instskip(NEXT) | instid1(VALU_DEP_2)
	v_cndmask_b32_e64 v15, 0, 0xffffffc0, s0
	v_mad_nc_u64_u32 v[10:11], 0xa2f9836e, v10, v[24:25]
	v_dual_cndmask_b32 v17, v22, v18, s0 :: v_dual_cndmask_b32 v19, v20, v16, s0
	s_delay_alu instid0(VALU_DEP_3) | instskip(SKIP_1) | instid1(VALU_DEP_2)
	v_dual_cndmask_b32 v14, v18, v14, s0 :: v_dual_add_nc_u32 v13, v15, v13
	v_cndmask_b32_e64 v12, v16, v12, s0
	v_cmp_lt_u32_e64 s1, 31, v13
	v_dual_cndmask_b32 v10, v10, v20, s0 :: v_dual_cndmask_b32 v11, v11, v22, s0
	s_delay_alu instid0(VALU_DEP_2) | instskip(NEXT) | instid1(VALU_DEP_4)
	v_cndmask_b32_e64 v15, 0, 0xffffffe0, s1
	v_dual_cndmask_b32 v18, v19, v14, s1 :: v_dual_cndmask_b32 v12, v14, v12, s1
	s_delay_alu instid0(VALU_DEP_2) | instskip(NEXT) | instid1(VALU_DEP_1)
	v_add_nc_u32_e32 v13, v15, v13
	v_cmp_lt_u32_e64 s2, 31, v13
	s_delay_alu instid0(VALU_DEP_1) | instskip(NEXT) | instid1(VALU_DEP_1)
	v_cndmask_b32_e64 v15, 0, 0xffffffe0, s2
	v_dual_cndmask_b32 v12, v18, v12, s2 :: v_dual_add_nc_u32 v13, v15, v13
	v_dual_cndmask_b32 v15, v10, v17, s1 :: v_dual_cndmask_b32 v10, v11, v10, s1
	s_delay_alu instid0(VALU_DEP_2) | instskip(SKIP_1) | instid1(VALU_DEP_3)
	v_dual_cndmask_b32 v11, v17, v19, s1 :: v_dual_sub_nc_u32 v17, 32, v13
	v_cmp_eq_u32_e64 s0, 0, v13
	v_cndmask_b32_e64 v10, v10, v15, s2
	s_delay_alu instid0(VALU_DEP_3) | instskip(SKIP_1) | instid1(VALU_DEP_2)
	v_cndmask_b32_e64 v15, v15, v11, s2
	v_cndmask_b32_e64 v11, v11, v18, s2
	v_alignbit_b32 v19, v10, v15, v17
	s_delay_alu instid0(VALU_DEP_2) | instskip(SKIP_1) | instid1(VALU_DEP_2)
	v_alignbit_b32 v16, v15, v11, v17
	v_alignbit_b32 v17, v11, v12, v17
	v_dual_cndmask_b32 v10, v19, v10, s0 :: v_dual_cndmask_b32 v13, v16, v15, s0
	s_delay_alu instid0(VALU_DEP_2) | instskip(NEXT) | instid1(VALU_DEP_2)
	v_cndmask_b32_e64 v11, v17, v11, s0
	v_bfe_u32 v14, v10, 29, 1
	s_delay_alu instid0(VALU_DEP_3) | instskip(NEXT) | instid1(VALU_DEP_3)
	v_alignbit_b32 v15, v10, v13, 30
	v_alignbit_b32 v13, v13, v11, 30
	;; [unrolled: 1-line block ×3, first 2 shown]
	s_delay_alu instid0(VALU_DEP_4) | instskip(NEXT) | instid1(VALU_DEP_1)
	v_sub_nc_u32_e32 v16, 0, v14
	v_xor_b32_e32 v15, v15, v16
	s_delay_alu instid0(VALU_DEP_4) | instskip(NEXT) | instid1(VALU_DEP_4)
	v_xor_b32_e32 v12, v13, v16
	v_dual_lshrrev_b32 v16, 29, v10 :: v_dual_bitop2_b32 v11, v11, v16 bitop3:0x14
	s_delay_alu instid0(VALU_DEP_3) | instskip(NEXT) | instid1(VALU_DEP_1)
	v_clz_i32_u32_e32 v17, v15
	v_min_u32_e32 v17, 32, v17
	s_delay_alu instid0(VALU_DEP_1) | instskip(NEXT) | instid1(VALU_DEP_1)
	v_dual_sub_nc_u32 v13, 31, v17 :: v_dual_lshlrev_b32 v18, 23, v17
	v_alignbit_b32 v15, v15, v12, v13
	v_alignbit_b32 v11, v12, v11, v13
	v_lshlrev_b32_e32 v12, 31, v16
	s_delay_alu instid0(VALU_DEP_2) | instskip(NEXT) | instid1(VALU_DEP_2)
	v_alignbit_b32 v13, v15, v11, 9
	v_dual_lshrrev_b32 v15, 9, v15 :: v_dual_bitop2_b32 v16, 0.5, v12 bitop3:0x54
	v_or_b32_e32 v12, 0x33000000, v12
	s_delay_alu instid0(VALU_DEP_3) | instskip(NEXT) | instid1(VALU_DEP_3)
	v_clz_i32_u32_e32 v19, v13
	v_sub_nc_u32_e32 v16, v16, v18
	s_delay_alu instid0(VALU_DEP_2) | instskip(NEXT) | instid1(VALU_DEP_1)
	v_min_u32_e32 v18, 32, v19
	v_add_lshl_u32 v17, v18, v17, 23
	s_delay_alu instid0(VALU_DEP_3) | instskip(SKIP_1) | instid1(VALU_DEP_2)
	v_or_b32_e32 v15, v15, v16
	v_not_b32_e32 v16, v18
	v_dual_mul_f32 v19, 0x3fc90fda, v15 :: v_dual_sub_nc_u32 v12, v12, v17
	s_delay_alu instid0(VALU_DEP_2) | instskip(NEXT) | instid1(VALU_DEP_2)
	v_alignbit_b32 v11, v13, v11, v16
	v_fma_f32 v13, 0x3fc90fda, v15, -v19
	s_delay_alu instid0(VALU_DEP_2) | instskip(NEXT) | instid1(VALU_DEP_2)
	v_lshrrev_b32_e32 v11, 9, v11
	v_fmamk_f32 v13, v15, 0x33a22168, v13
	s_delay_alu instid0(VALU_DEP_2) | instskip(NEXT) | instid1(VALU_DEP_1)
	v_or_b32_e32 v11, v12, v11
	v_fmac_f32_e32 v13, 0x3fc90fda, v11
	s_delay_alu instid0(VALU_DEP_1) | instskip(NEXT) | instid1(VALU_DEP_1)
	v_dual_add_f32 v10, v19, v13 :: v_dual_lshrrev_b32 v11, 30, v10
	v_add_nc_u32_e32 v11, v14, v11
.LBB11_36:
	s_and_not1_saveexec_b32 s0, s6
; %bb.37:
	v_mul_f32_e64 v10, 0x3f22f983, |v9|
	s_delay_alu instid0(VALU_DEP_1) | instskip(NEXT) | instid1(VALU_DEP_1)
	v_rndne_f32_e32 v11, v10
	v_fma_f32 v10, 0xbfc90fda, v11, |v9|
	s_delay_alu instid0(VALU_DEP_1) | instskip(NEXT) | instid1(VALU_DEP_1)
	v_fmamk_f32 v10, v11, 0xb3a22168, v10
	v_fmamk_f32 v10, v11, 0xa7c234c4, v10
	v_cvt_i32_f32_e32 v11, v11
; %bb.38:
	s_or_b32 exec_lo, exec_lo, s0
	s_delay_alu instid0(VALU_DEP_1) | instskip(SKIP_3) | instid1(VALU_DEP_2)
	v_dual_mul_f32 v12, v10, v10 :: v_dual_bitop2_b32 v15, 1, v11 bitop3:0x40
	s_mov_b32 s0, 0xb94c1982
	s_mov_b32 s1, 0x37d75334
	v_lshlrev_b32_e32 v11, 30, v11
	v_fmaak_f32 v13, s0, v12, 0x3c0881c4
	v_cmp_eq_u32_e64 s0, 0, v15
	v_xor_b32_e32 v1, v1, v9
	s_delay_alu instid0(VALU_DEP_4) | instskip(NEXT) | instid1(VALU_DEP_4)
	v_and_b32_e32 v11, 0x80000000, v11
	v_fmaak_f32 v13, v12, v13, 0xbe2aaa9d
	s_delay_alu instid0(VALU_DEP_1) | instskip(NEXT) | instid1(VALU_DEP_1)
	v_dual_fmaak_f32 v14, s1, v12, 0xbab64f3b :: v_dual_mul_f32 v13, v12, v13
	v_fmaak_f32 v14, v12, v14, 0x3d2aabf7
	s_delay_alu instid0(VALU_DEP_2) | instskip(NEXT) | instid1(VALU_DEP_2)
	v_fmac_f32_e32 v10, v10, v13
	v_fmaak_f32 v14, v12, v14, 0xbf000004
	s_delay_alu instid0(VALU_DEP_1) | instskip(NEXT) | instid1(VALU_DEP_1)
	v_fma_f32 v12, v12, v14, 1.0
	v_cndmask_b32_e64 v10, v12, v10, s0
	v_cmp_class_f32_e64 s0, v9, 0x1f8
	s_delay_alu instid0(VALU_DEP_2) | instskip(NEXT) | instid1(VALU_DEP_1)
	v_xor3_b32 v1, v1, v11, v10
	v_cndmask_b32_e64 v1, 0x7fc00000, v1, s0
.LBB11_39:
	s_or_b32 exec_lo, exec_lo, s3
	s_wait_loadcnt 0x0
	v_or_b32_e32 v9, 0x200, v0
	s_mov_b32 s3, exec_lo
	s_delay_alu instid0(VALU_DEP_1)
	v_cmpx_gt_i32_e64 s10, v9
	s_cbranch_execz .LBB11_45
; %bb.40:
	v_and_b32_e32 v4, 0x7fffffff, v8
                                        ; implicit-def: $vgpr10
                                        ; implicit-def: $vgpr9
	s_mov_b32 s1, exec_lo
	v_cmpx_ngt_f32_e64 0x48000000, |v8|
	s_xor_b32 s6, exec_lo, s1
	s_cbranch_execz .LBB11_42
; %bb.41:
	s_mov_b32 s0, 0x7fffff
	v_mov_b32_e32 v11, 0
	v_and_or_b32 v10, v4, s0, 0x800000
	s_mov_b64 s[0:1], 0xfe5163ab
	v_lshrrev_b32_e32 v9, 23, v4
	s_delay_alu instid0(VALU_DEP_2) | instskip(NEXT) | instid1(VALU_DEP_1)
	v_mul_u64_e32 v[12:13], s[0:1], v[10:11]
	v_dual_mov_b32 v14, v13 :: v_dual_mov_b32 v15, v11
	v_dual_mov_b32 v17, v11 :: v_dual_mov_b32 v19, v11
	;; [unrolled: 1-line block ×3, first 2 shown]
	s_delay_alu instid0(VALU_DEP_3) | instskip(NEXT) | instid1(VALU_DEP_1)
	v_mad_nc_u64_u32 v[14:15], 0x3c439041, v10, v[14:15]
	v_mov_b32_e32 v16, v15
	s_delay_alu instid0(VALU_DEP_1) | instskip(NEXT) | instid1(VALU_DEP_1)
	v_mad_nc_u64_u32 v[16:17], 0xdb629599, v10, v[16:17]
	v_mov_b32_e32 v18, v17
	s_delay_alu instid0(VALU_DEP_1) | instskip(NEXT) | instid1(VALU_DEP_1)
	;; [unrolled: 3-line block ×3, first 2 shown]
	v_mad_nc_u64_u32 v[20:21], 0xfc2757d1, v10, v[20:21]
	v_dual_mov_b32 v23, v11 :: v_dual_mov_b32 v22, v21
	s_delay_alu instid0(VALU_DEP_1) | instskip(NEXT) | instid1(VALU_DEP_1)
	v_mad_nc_u64_u32 v[22:23], 0x4e441529, v10, v[22:23]
	v_dual_mov_b32 v24, v23 :: v_dual_add_nc_u32 v9, 0xffffff88, v9
	s_delay_alu instid0(VALU_DEP_1) | instskip(NEXT) | instid1(VALU_DEP_2)
	v_cmp_lt_u32_e64 s0, 63, v9
	v_mad_nc_u64_u32 v[10:11], 0xa2f9836e, v10, v[24:25]
	s_delay_alu instid0(VALU_DEP_2) | instskip(SKIP_1) | instid1(VALU_DEP_2)
	v_cndmask_b32_e64 v13, 0, 0xffffffc0, s0
	v_dual_cndmask_b32 v15, v22, v18, s0 :: v_dual_cndmask_b32 v12, v16, v12, s0
	v_add_nc_u32_e32 v9, v13, v9
	s_delay_alu instid0(VALU_DEP_1) | instskip(SKIP_1) | instid1(VALU_DEP_2)
	v_cmp_lt_u32_e64 s1, 31, v9
	v_dual_cndmask_b32 v10, v10, v20, s0 :: v_dual_cndmask_b32 v11, v11, v22, s0
	v_cndmask_b32_e64 v13, 0, 0xffffffe0, s1
	s_delay_alu instid0(VALU_DEP_1) | instskip(NEXT) | instid1(VALU_DEP_1)
	v_add_nc_u32_e32 v9, v13, v9
	v_cmp_lt_u32_e64 s2, 31, v9
	s_delay_alu instid0(VALU_DEP_1) | instskip(NEXT) | instid1(VALU_DEP_1)
	v_cndmask_b32_e64 v13, 0, 0xffffffe0, s2
	v_dual_cndmask_b32 v17, v20, v16, s0 :: v_dual_add_nc_u32 v9, v13, v9
	v_cndmask_b32_e64 v13, v18, v14, s0
	v_dual_cndmask_b32 v14, v10, v15, s1 :: v_dual_cndmask_b32 v10, v11, v10, s1
	s_delay_alu instid0(VALU_DEP_3) | instskip(NEXT) | instid1(VALU_DEP_4)
	v_cndmask_b32_e64 v11, v15, v17, s1
	v_sub_nc_u32_e32 v15, 32, v9
	s_delay_alu instid0(VALU_DEP_4) | instskip(SKIP_2) | instid1(VALU_DEP_3)
	v_cndmask_b32_e64 v17, v17, v13, s1
	v_cmp_eq_u32_e64 s0, 0, v9
	v_cndmask_b32_e64 v10, v10, v14, s2
	v_dual_cndmask_b32 v14, v14, v11, s2 :: v_dual_cndmask_b32 v11, v11, v17, s2
	s_delay_alu instid0(VALU_DEP_1) | instskip(NEXT) | instid1(VALU_DEP_2)
	v_alignbit_b32 v18, v10, v14, v15
	v_alignbit_b32 v16, v14, v11, v15
	s_delay_alu instid0(VALU_DEP_2) | instskip(NEXT) | instid1(VALU_DEP_1)
	v_dual_cndmask_b32 v9, v18, v10, s0 :: v_dual_cndmask_b32 v10, v13, v12, s1
	v_bfe_u32 v13, v9, 29, 1
	s_delay_alu instid0(VALU_DEP_1) | instskip(NEXT) | instid1(VALU_DEP_1)
	v_dual_cndmask_b32 v12, v16, v14, s0 :: v_dual_sub_nc_u32 v16, 0, v13
	v_alignbit_b32 v14, v9, v12, 30
	s_delay_alu instid0(VALU_DEP_1) | instskip(NEXT) | instid1(VALU_DEP_1)
	v_dual_cndmask_b32 v10, v17, v10, s2 :: v_dual_bitop2_b32 v14, v14, v16 bitop3:0x14
	v_alignbit_b32 v15, v11, v10, v15
	s_delay_alu instid0(VALU_DEP_1) | instskip(NEXT) | instid1(VALU_DEP_3)
	v_cndmask_b32_e64 v11, v15, v11, s0
	v_clz_i32_u32_e32 v15, v14
	s_delay_alu instid0(VALU_DEP_2) | instskip(NEXT) | instid1(VALU_DEP_2)
	v_alignbit_b32 v10, v11, v10, 30
	v_min_u32_e32 v15, 32, v15
	s_delay_alu instid0(VALU_DEP_2) | instskip(SKIP_1) | instid1(VALU_DEP_1)
	v_xor_b32_e32 v10, v10, v16
	v_alignbit_b32 v12, v12, v11, 30
	v_dual_lshlrev_b32 v17, 23, v15 :: v_dual_bitop2_b32 v11, v12, v16 bitop3:0x14
	v_dual_sub_nc_u32 v12, 31, v15 :: v_dual_lshrrev_b32 v16, 29, v9
	s_delay_alu instid0(VALU_DEP_1) | instskip(SKIP_1) | instid1(VALU_DEP_3)
	v_alignbit_b32 v14, v14, v11, v12
	v_alignbit_b32 v10, v11, v10, v12
	v_lshlrev_b32_e32 v11, 31, v16
	s_delay_alu instid0(VALU_DEP_2) | instskip(NEXT) | instid1(VALU_DEP_2)
	v_alignbit_b32 v12, v14, v10, 9
	v_dual_lshrrev_b32 v14, 9, v14 :: v_dual_bitop2_b32 v16, 0.5, v11 bitop3:0x54
	s_delay_alu instid0(VALU_DEP_2) | instskip(NEXT) | instid1(VALU_DEP_2)
	v_clz_i32_u32_e32 v18, v12
	v_sub_nc_u32_e32 v16, v16, v17
	v_or_b32_e32 v11, 0x33000000, v11
	s_delay_alu instid0(VALU_DEP_3) | instskip(NEXT) | instid1(VALU_DEP_1)
	v_min_u32_e32 v17, 32, v18
	v_add_lshl_u32 v15, v17, v15, 23
	s_delay_alu instid0(VALU_DEP_4) | instskip(SKIP_1) | instid1(VALU_DEP_2)
	v_or_b32_e32 v14, v14, v16
	v_not_b32_e32 v16, v17
	v_dual_mul_f32 v18, 0x3fc90fda, v14 :: v_dual_sub_nc_u32 v11, v11, v15
	s_delay_alu instid0(VALU_DEP_2) | instskip(NEXT) | instid1(VALU_DEP_2)
	v_alignbit_b32 v10, v12, v10, v16
	v_fma_f32 v12, 0x3fc90fda, v14, -v18
	s_delay_alu instid0(VALU_DEP_2) | instskip(NEXT) | instid1(VALU_DEP_2)
	v_lshrrev_b32_e32 v10, 9, v10
	v_fmamk_f32 v12, v14, 0x33a22168, v12
	s_delay_alu instid0(VALU_DEP_2) | instskip(NEXT) | instid1(VALU_DEP_1)
	v_or_b32_e32 v10, v11, v10
	v_fmac_f32_e32 v12, 0x3fc90fda, v10
	s_delay_alu instid0(VALU_DEP_1) | instskip(NEXT) | instid1(VALU_DEP_1)
	v_dual_add_f32 v9, v18, v12 :: v_dual_lshrrev_b32 v10, 30, v9
	v_add_nc_u32_e32 v10, v13, v10
.LBB11_42:
	s_and_not1_saveexec_b32 s0, s6
; %bb.43:
	v_mul_f32_e64 v9, 0x3f22f983, |v8|
	s_delay_alu instid0(VALU_DEP_1) | instskip(NEXT) | instid1(VALU_DEP_1)
	v_rndne_f32_e32 v10, v9
	v_fma_f32 v9, 0xbfc90fda, v10, |v8|
	s_delay_alu instid0(VALU_DEP_1) | instskip(NEXT) | instid1(VALU_DEP_1)
	v_fmamk_f32 v9, v10, 0xb3a22168, v9
	v_fmamk_f32 v9, v10, 0xa7c234c4, v9
	v_cvt_i32_f32_e32 v10, v10
; %bb.44:
	s_or_b32 exec_lo, exec_lo, s0
	s_delay_alu instid0(VALU_DEP_1) | instskip(SKIP_3) | instid1(VALU_DEP_2)
	v_dual_mul_f32 v11, v9, v9 :: v_dual_bitop2_b32 v14, 1, v10 bitop3:0x40
	s_mov_b32 s0, 0xb94c1982
	s_mov_b32 s1, 0x37d75334
	v_lshlrev_b32_e32 v10, 30, v10
	v_fmaak_f32 v12, s0, v11, 0x3c0881c4
	v_cmp_eq_u32_e64 s0, 0, v14
	v_xor_b32_e32 v4, v4, v8
	s_delay_alu instid0(VALU_DEP_4) | instskip(NEXT) | instid1(VALU_DEP_4)
	v_and_b32_e32 v10, 0x80000000, v10
	v_fmaak_f32 v12, v11, v12, 0xbe2aaa9d
	s_delay_alu instid0(VALU_DEP_1) | instskip(NEXT) | instid1(VALU_DEP_1)
	v_dual_fmaak_f32 v13, s1, v11, 0xbab64f3b :: v_dual_mul_f32 v12, v11, v12
	v_fmaak_f32 v13, v11, v13, 0x3d2aabf7
	s_delay_alu instid0(VALU_DEP_2) | instskip(NEXT) | instid1(VALU_DEP_2)
	v_fmac_f32_e32 v9, v9, v12
	v_fmaak_f32 v13, v11, v13, 0xbf000004
	s_delay_alu instid0(VALU_DEP_1) | instskip(NEXT) | instid1(VALU_DEP_1)
	v_fma_f32 v11, v11, v13, 1.0
	v_cndmask_b32_e64 v9, v11, v9, s0
	v_cmp_class_f32_e64 s0, v8, 0x1f8
	s_delay_alu instid0(VALU_DEP_2) | instskip(NEXT) | instid1(VALU_DEP_1)
	v_xor3_b32 v4, v4, v10, v9
	v_cndmask_b32_e64 v4, 0x7fc00000, v4, s0
.LBB11_45:
	s_or_b32 exec_lo, exec_lo, s3
	v_or_b32_e32 v8, 0x300, v0
	s_mov_b32 s3, exec_lo
	s_delay_alu instid0(VALU_DEP_1)
	v_cmpx_gt_i32_e64 s10, v8
	s_cbranch_execnz .LBB11_52
; %bb.46:
	s_or_b32 exec_lo, exec_lo, s3
	s_and_saveexec_b32 s0, vcc_lo
	s_delay_alu instid0(SALU_CYCLE_1)
	s_xor_b32 s0, exec_lo, s0
	s_cbranch_execnz .LBB11_57
.LBB11_47:
	s_or_b32 exec_lo, exec_lo, s0
	s_delay_alu instid0(SALU_CYCLE_1)
	s_mov_b32 s0, exec_lo
	v_cmpx_gt_i32_e64 s10, v0
	s_cbranch_execnz .LBB11_58
.LBB11_48:
	s_or_b32 exec_lo, exec_lo, s0
	s_delay_alu instid0(SALU_CYCLE_1)
	s_mov_b32 s0, exec_lo
	v_cmpx_gt_i32_e64 s10, v0
	s_cbranch_execnz .LBB11_59
.LBB11_49:
	s_or_b32 exec_lo, exec_lo, s0
	s_delay_alu instid0(SALU_CYCLE_1)
	s_mov_b32 s0, exec_lo
	v_cmpx_gt_i32_e64 s10, v0
	s_cbranch_execz .LBB11_51
.LBB11_50:
	v_add_nc_u32_e32 v0, s8, v0
	global_store_b32 v0, v3, s[4:5] scale_offset
.LBB11_51:
	s_endpgm
.LBB11_52:
	v_and_b32_e32 v3, 0x7fffffff, v7
                                        ; implicit-def: $vgpr9
                                        ; implicit-def: $vgpr8
	s_mov_b32 s1, exec_lo
	v_cmpx_ngt_f32_e64 0x48000000, |v7|
	s_xor_b32 s6, exec_lo, s1
	s_cbranch_execz .LBB11_54
; %bb.53:
	s_mov_b32 s0, 0x7fffff
	v_mov_b32_e32 v9, 0
	v_and_or_b32 v8, v3, s0, 0x800000
	s_mov_b64 s[0:1], 0xfe5163ab
	s_delay_alu instid0(VALU_DEP_1) | instid1(SALU_CYCLE_1)
	v_mul_u64_e32 v[10:11], s[0:1], v[8:9]
	s_delay_alu instid0(VALU_DEP_1) | instskip(SKIP_2) | instid1(VALU_DEP_3)
	v_dual_mov_b32 v12, v11 :: v_dual_mov_b32 v13, v9
	v_dual_mov_b32 v15, v9 :: v_dual_mov_b32 v17, v9
	v_dual_mov_b32 v19, v9 :: v_dual_lshrrev_b32 v11, 23, v3
	v_mad_nc_u64_u32 v[12:13], 0x3c439041, v8, v[12:13]
	s_delay_alu instid0(VALU_DEP_1) | instskip(NEXT) | instid1(VALU_DEP_1)
	v_mov_b32_e32 v14, v13
	v_mad_nc_u64_u32 v[14:15], 0xdb629599, v8, v[14:15]
	s_delay_alu instid0(VALU_DEP_1) | instskip(NEXT) | instid1(VALU_DEP_1)
	v_mov_b32_e32 v16, v15
	;; [unrolled: 3-line block ×3, first 2 shown]
	v_mad_nc_u64_u32 v[18:19], 0xfc2757d1, v8, v[18:19]
	s_delay_alu instid0(VALU_DEP_1) | instskip(NEXT) | instid1(VALU_DEP_1)
	v_dual_mov_b32 v21, v9 :: v_dual_mov_b32 v20, v19
	v_mad_nc_u64_u32 v[20:21], 0x4e441529, v8, v[20:21]
	s_delay_alu instid0(VALU_DEP_1) | instskip(NEXT) | instid1(VALU_DEP_1)
	v_dual_mov_b32 v22, v21 :: v_dual_add_nc_u32 v11, 0xffffff88, v11
	v_cmp_lt_u32_e64 s0, 63, v11
	v_mov_b32_e32 v23, v9
	s_delay_alu instid0(VALU_DEP_2) | instskip(NEXT) | instid1(VALU_DEP_2)
	v_cndmask_b32_e64 v13, 0, 0xffffffc0, s0
	v_mad_nc_u64_u32 v[8:9], 0xa2f9836e, v8, v[22:23]
	v_dual_cndmask_b32 v15, v20, v16, s0 :: v_dual_cndmask_b32 v17, v18, v14, s0
	s_delay_alu instid0(VALU_DEP_3) | instskip(SKIP_1) | instid1(VALU_DEP_2)
	v_dual_cndmask_b32 v12, v16, v12, s0 :: v_dual_add_nc_u32 v11, v13, v11
	v_cndmask_b32_e64 v10, v14, v10, s0
	v_cmp_lt_u32_e64 s1, 31, v11
	v_dual_cndmask_b32 v8, v8, v18, s0 :: v_dual_cndmask_b32 v9, v9, v20, s0
	s_delay_alu instid0(VALU_DEP_2) | instskip(NEXT) | instid1(VALU_DEP_4)
	v_cndmask_b32_e64 v13, 0, 0xffffffe0, s1
	v_dual_cndmask_b32 v16, v17, v12, s1 :: v_dual_cndmask_b32 v10, v12, v10, s1
	s_delay_alu instid0(VALU_DEP_2) | instskip(NEXT) | instid1(VALU_DEP_1)
	v_add_nc_u32_e32 v11, v13, v11
	v_cmp_lt_u32_e64 s2, 31, v11
	s_delay_alu instid0(VALU_DEP_1) | instskip(NEXT) | instid1(VALU_DEP_1)
	v_cndmask_b32_e64 v13, 0, 0xffffffe0, s2
	v_dual_cndmask_b32 v10, v16, v10, s2 :: v_dual_add_nc_u32 v11, v13, v11
	v_dual_cndmask_b32 v13, v8, v15, s1 :: v_dual_cndmask_b32 v8, v9, v8, s1
	s_delay_alu instid0(VALU_DEP_2) | instskip(SKIP_1) | instid1(VALU_DEP_3)
	v_dual_cndmask_b32 v9, v15, v17, s1 :: v_dual_sub_nc_u32 v15, 32, v11
	v_cmp_eq_u32_e64 s0, 0, v11
	v_cndmask_b32_e64 v8, v8, v13, s2
	s_delay_alu instid0(VALU_DEP_3) | instskip(SKIP_1) | instid1(VALU_DEP_2)
	v_cndmask_b32_e64 v13, v13, v9, s2
	v_cndmask_b32_e64 v9, v9, v16, s2
	v_alignbit_b32 v17, v8, v13, v15
	s_delay_alu instid0(VALU_DEP_2) | instskip(SKIP_1) | instid1(VALU_DEP_2)
	v_alignbit_b32 v14, v13, v9, v15
	v_alignbit_b32 v15, v9, v10, v15
	v_dual_cndmask_b32 v8, v17, v8, s0 :: v_dual_cndmask_b32 v11, v14, v13, s0
	s_delay_alu instid0(VALU_DEP_2) | instskip(NEXT) | instid1(VALU_DEP_2)
	v_cndmask_b32_e64 v9, v15, v9, s0
	v_bfe_u32 v12, v8, 29, 1
	s_delay_alu instid0(VALU_DEP_3) | instskip(NEXT) | instid1(VALU_DEP_3)
	v_alignbit_b32 v13, v8, v11, 30
	v_alignbit_b32 v11, v11, v9, 30
	;; [unrolled: 1-line block ×3, first 2 shown]
	s_delay_alu instid0(VALU_DEP_4) | instskip(NEXT) | instid1(VALU_DEP_1)
	v_sub_nc_u32_e32 v14, 0, v12
	v_xor_b32_e32 v13, v13, v14
	s_delay_alu instid0(VALU_DEP_4) | instskip(NEXT) | instid1(VALU_DEP_4)
	v_xor_b32_e32 v10, v11, v14
	v_dual_lshrrev_b32 v14, 29, v8 :: v_dual_bitop2_b32 v9, v9, v14 bitop3:0x14
	s_delay_alu instid0(VALU_DEP_3) | instskip(NEXT) | instid1(VALU_DEP_1)
	v_clz_i32_u32_e32 v15, v13
	v_min_u32_e32 v15, 32, v15
	s_delay_alu instid0(VALU_DEP_1) | instskip(NEXT) | instid1(VALU_DEP_1)
	v_dual_sub_nc_u32 v11, 31, v15 :: v_dual_lshlrev_b32 v16, 23, v15
	v_alignbit_b32 v13, v13, v10, v11
	v_alignbit_b32 v9, v10, v9, v11
	v_lshlrev_b32_e32 v10, 31, v14
	s_delay_alu instid0(VALU_DEP_2) | instskip(NEXT) | instid1(VALU_DEP_2)
	v_alignbit_b32 v11, v13, v9, 9
	v_dual_lshrrev_b32 v13, 9, v13 :: v_dual_bitop2_b32 v14, 0.5, v10 bitop3:0x54
	v_or_b32_e32 v10, 0x33000000, v10
	s_delay_alu instid0(VALU_DEP_3) | instskip(NEXT) | instid1(VALU_DEP_3)
	v_clz_i32_u32_e32 v17, v11
	v_sub_nc_u32_e32 v14, v14, v16
	s_delay_alu instid0(VALU_DEP_2) | instskip(NEXT) | instid1(VALU_DEP_1)
	v_min_u32_e32 v16, 32, v17
	v_add_lshl_u32 v15, v16, v15, 23
	s_delay_alu instid0(VALU_DEP_3) | instskip(SKIP_1) | instid1(VALU_DEP_2)
	v_or_b32_e32 v13, v13, v14
	v_not_b32_e32 v14, v16
	v_dual_mul_f32 v17, 0x3fc90fda, v13 :: v_dual_sub_nc_u32 v10, v10, v15
	s_delay_alu instid0(VALU_DEP_2) | instskip(NEXT) | instid1(VALU_DEP_2)
	v_alignbit_b32 v9, v11, v9, v14
	v_fma_f32 v11, 0x3fc90fda, v13, -v17
	s_delay_alu instid0(VALU_DEP_2) | instskip(NEXT) | instid1(VALU_DEP_2)
	v_lshrrev_b32_e32 v9, 9, v9
	v_fmamk_f32 v11, v13, 0x33a22168, v11
	s_delay_alu instid0(VALU_DEP_2) | instskip(NEXT) | instid1(VALU_DEP_1)
	v_or_b32_e32 v9, v10, v9
	v_fmac_f32_e32 v11, 0x3fc90fda, v9
	s_delay_alu instid0(VALU_DEP_1) | instskip(NEXT) | instid1(VALU_DEP_1)
	v_dual_add_f32 v8, v17, v11 :: v_dual_lshrrev_b32 v9, 30, v8
	v_add_nc_u32_e32 v9, v12, v9
.LBB11_54:
	s_and_not1_saveexec_b32 s0, s6
; %bb.55:
	v_mul_f32_e64 v8, 0x3f22f983, |v7|
	s_delay_alu instid0(VALU_DEP_1) | instskip(NEXT) | instid1(VALU_DEP_1)
	v_rndne_f32_e32 v9, v8
	v_fma_f32 v8, 0xbfc90fda, v9, |v7|
	s_delay_alu instid0(VALU_DEP_1) | instskip(NEXT) | instid1(VALU_DEP_1)
	v_fmamk_f32 v8, v9, 0xb3a22168, v8
	v_fmamk_f32 v8, v9, 0xa7c234c4, v8
	v_cvt_i32_f32_e32 v9, v9
; %bb.56:
	s_or_b32 exec_lo, exec_lo, s0
	s_delay_alu instid0(VALU_DEP_1) | instskip(SKIP_3) | instid1(VALU_DEP_2)
	v_dual_mul_f32 v10, v8, v8 :: v_dual_bitop2_b32 v13, 1, v9 bitop3:0x40
	s_mov_b32 s0, 0xb94c1982
	s_mov_b32 s1, 0x37d75334
	v_lshlrev_b32_e32 v9, 30, v9
	v_fmaak_f32 v11, s0, v10, 0x3c0881c4
	v_cmp_eq_u32_e64 s0, 0, v13
	v_xor_b32_e32 v3, v3, v7
	s_delay_alu instid0(VALU_DEP_4) | instskip(NEXT) | instid1(VALU_DEP_4)
	v_and_b32_e32 v9, 0x80000000, v9
	v_fmaak_f32 v11, v10, v11, 0xbe2aaa9d
	s_delay_alu instid0(VALU_DEP_1) | instskip(NEXT) | instid1(VALU_DEP_1)
	v_dual_fmaak_f32 v12, s1, v10, 0xbab64f3b :: v_dual_mul_f32 v11, v10, v11
	v_fmaak_f32 v12, v10, v12, 0x3d2aabf7
	s_delay_alu instid0(VALU_DEP_2) | instskip(NEXT) | instid1(VALU_DEP_2)
	v_fmac_f32_e32 v8, v8, v11
	v_fmaak_f32 v12, v10, v12, 0xbf000004
	s_delay_alu instid0(VALU_DEP_1) | instskip(NEXT) | instid1(VALU_DEP_1)
	v_fma_f32 v10, v10, v12, 1.0
	v_cndmask_b32_e64 v8, v10, v8, s0
	v_cmp_class_f32_e64 s0, v7, 0x1f8
	s_delay_alu instid0(VALU_DEP_2) | instskip(NEXT) | instid1(VALU_DEP_1)
	v_xor3_b32 v3, v3, v9, v8
	v_cndmask_b32_e64 v3, 0x7fc00000, v3, s0
	s_or_b32 exec_lo, exec_lo, s3
	s_and_saveexec_b32 s0, vcc_lo
	s_delay_alu instid0(SALU_CYCLE_1)
	s_xor_b32 s0, exec_lo, s0
	s_cbranch_execz .LBB11_47
.LBB11_57:
	v_mov_b32_e32 v0, v6
	global_store_b32 v5, v2, s[4:5] scale_offset
	s_wait_xcnt 0x0
	s_or_b32 exec_lo, exec_lo, s0
	s_delay_alu instid0(SALU_CYCLE_1)
	s_mov_b32 s0, exec_lo
	v_cmpx_gt_i32_e64 s10, v0
	s_cbranch_execz .LBB11_48
.LBB11_58:
	v_add_nc_u32_e32 v2, s8, v0
	v_add_nc_u32_e32 v0, 0x100, v0
	global_store_b32 v2, v1, s[4:5] scale_offset
	s_wait_xcnt 0x0
	s_or_b32 exec_lo, exec_lo, s0
	s_delay_alu instid0(SALU_CYCLE_1)
	s_mov_b32 s0, exec_lo
	v_cmpx_gt_i32_e64 s10, v0
	s_cbranch_execz .LBB11_49
.LBB11_59:
	v_add_nc_u32_e32 v1, s8, v0
	v_add_nc_u32_e32 v0, 0x100, v0
	global_store_b32 v1, v4, s[4:5] scale_offset
	s_wait_xcnt 0x0
	s_or_b32 exec_lo, exec_lo, s0
	s_delay_alu instid0(SALU_CYCLE_1)
	s_mov_b32 s0, exec_lo
	v_cmpx_gt_i32_e64 s10, v0
	s_cbranch_execnz .LBB11_50
	s_branch .LBB11_51
	.section	.rodata,"a",@progbits
	.p2align	6, 0x0
	.amdhsa_kernel _ZN2at6native29vectorized_elementwise_kernelILi2EZZZNS0_15sin_kernel_cudaERNS_18TensorIteratorBaseEENKUlvE0_clEvENKUlvE0_clEvEUlfE_St5arrayIPcLm2EEEEviT0_T1_
		.amdhsa_group_segment_fixed_size 0
		.amdhsa_private_segment_fixed_size 0
		.amdhsa_kernarg_size 24
		.amdhsa_user_sgpr_count 2
		.amdhsa_user_sgpr_dispatch_ptr 0
		.amdhsa_user_sgpr_queue_ptr 0
		.amdhsa_user_sgpr_kernarg_segment_ptr 1
		.amdhsa_user_sgpr_dispatch_id 0
		.amdhsa_user_sgpr_kernarg_preload_length 0
		.amdhsa_user_sgpr_kernarg_preload_offset 0
		.amdhsa_user_sgpr_private_segment_size 0
		.amdhsa_wavefront_size32 1
		.amdhsa_uses_dynamic_stack 0
		.amdhsa_enable_private_segment 0
		.amdhsa_system_sgpr_workgroup_id_x 1
		.amdhsa_system_sgpr_workgroup_id_y 0
		.amdhsa_system_sgpr_workgroup_id_z 0
		.amdhsa_system_sgpr_workgroup_info 0
		.amdhsa_system_vgpr_workitem_id 0
		.amdhsa_next_free_vgpr 33
		.amdhsa_next_free_sgpr 24
		.amdhsa_named_barrier_count 0
		.amdhsa_reserve_vcc 1
		.amdhsa_float_round_mode_32 0
		.amdhsa_float_round_mode_16_64 0
		.amdhsa_float_denorm_mode_32 3
		.amdhsa_float_denorm_mode_16_64 3
		.amdhsa_fp16_overflow 0
		.amdhsa_memory_ordered 1
		.amdhsa_forward_progress 1
		.amdhsa_inst_pref_size 68
		.amdhsa_round_robin_scheduling 0
		.amdhsa_exception_fp_ieee_invalid_op 0
		.amdhsa_exception_fp_denorm_src 0
		.amdhsa_exception_fp_ieee_div_zero 0
		.amdhsa_exception_fp_ieee_overflow 0
		.amdhsa_exception_fp_ieee_underflow 0
		.amdhsa_exception_fp_ieee_inexact 0
		.amdhsa_exception_int_div_zero 0
	.end_amdhsa_kernel
	.section	.text._ZN2at6native29vectorized_elementwise_kernelILi2EZZZNS0_15sin_kernel_cudaERNS_18TensorIteratorBaseEENKUlvE0_clEvENKUlvE0_clEvEUlfE_St5arrayIPcLm2EEEEviT0_T1_,"axG",@progbits,_ZN2at6native29vectorized_elementwise_kernelILi2EZZZNS0_15sin_kernel_cudaERNS_18TensorIteratorBaseEENKUlvE0_clEvENKUlvE0_clEvEUlfE_St5arrayIPcLm2EEEEviT0_T1_,comdat
.Lfunc_end11:
	.size	_ZN2at6native29vectorized_elementwise_kernelILi2EZZZNS0_15sin_kernel_cudaERNS_18TensorIteratorBaseEENKUlvE0_clEvENKUlvE0_clEvEUlfE_St5arrayIPcLm2EEEEviT0_T1_, .Lfunc_end11-_ZN2at6native29vectorized_elementwise_kernelILi2EZZZNS0_15sin_kernel_cudaERNS_18TensorIteratorBaseEENKUlvE0_clEvENKUlvE0_clEvEUlfE_St5arrayIPcLm2EEEEviT0_T1_
                                        ; -- End function
	.set _ZN2at6native29vectorized_elementwise_kernelILi2EZZZNS0_15sin_kernel_cudaERNS_18TensorIteratorBaseEENKUlvE0_clEvENKUlvE0_clEvEUlfE_St5arrayIPcLm2EEEEviT0_T1_.num_vgpr, 33
	.set _ZN2at6native29vectorized_elementwise_kernelILi2EZZZNS0_15sin_kernel_cudaERNS_18TensorIteratorBaseEENKUlvE0_clEvENKUlvE0_clEvEUlfE_St5arrayIPcLm2EEEEviT0_T1_.num_agpr, 0
	.set _ZN2at6native29vectorized_elementwise_kernelILi2EZZZNS0_15sin_kernel_cudaERNS_18TensorIteratorBaseEENKUlvE0_clEvENKUlvE0_clEvEUlfE_St5arrayIPcLm2EEEEviT0_T1_.numbered_sgpr, 24
	.set _ZN2at6native29vectorized_elementwise_kernelILi2EZZZNS0_15sin_kernel_cudaERNS_18TensorIteratorBaseEENKUlvE0_clEvENKUlvE0_clEvEUlfE_St5arrayIPcLm2EEEEviT0_T1_.num_named_barrier, 0
	.set _ZN2at6native29vectorized_elementwise_kernelILi2EZZZNS0_15sin_kernel_cudaERNS_18TensorIteratorBaseEENKUlvE0_clEvENKUlvE0_clEvEUlfE_St5arrayIPcLm2EEEEviT0_T1_.private_seg_size, 0
	.set _ZN2at6native29vectorized_elementwise_kernelILi2EZZZNS0_15sin_kernel_cudaERNS_18TensorIteratorBaseEENKUlvE0_clEvENKUlvE0_clEvEUlfE_St5arrayIPcLm2EEEEviT0_T1_.uses_vcc, 1
	.set _ZN2at6native29vectorized_elementwise_kernelILi2EZZZNS0_15sin_kernel_cudaERNS_18TensorIteratorBaseEENKUlvE0_clEvENKUlvE0_clEvEUlfE_St5arrayIPcLm2EEEEviT0_T1_.uses_flat_scratch, 0
	.set _ZN2at6native29vectorized_elementwise_kernelILi2EZZZNS0_15sin_kernel_cudaERNS_18TensorIteratorBaseEENKUlvE0_clEvENKUlvE0_clEvEUlfE_St5arrayIPcLm2EEEEviT0_T1_.has_dyn_sized_stack, 0
	.set _ZN2at6native29vectorized_elementwise_kernelILi2EZZZNS0_15sin_kernel_cudaERNS_18TensorIteratorBaseEENKUlvE0_clEvENKUlvE0_clEvEUlfE_St5arrayIPcLm2EEEEviT0_T1_.has_recursion, 0
	.set _ZN2at6native29vectorized_elementwise_kernelILi2EZZZNS0_15sin_kernel_cudaERNS_18TensorIteratorBaseEENKUlvE0_clEvENKUlvE0_clEvEUlfE_St5arrayIPcLm2EEEEviT0_T1_.has_indirect_call, 0
	.section	.AMDGPU.csdata,"",@progbits
; Kernel info:
; codeLenInByte = 8652
; TotalNumSgprs: 26
; NumVgprs: 33
; ScratchSize: 0
; MemoryBound: 0
; FloatMode: 240
; IeeeMode: 1
; LDSByteSize: 0 bytes/workgroup (compile time only)
; SGPRBlocks: 0
; VGPRBlocks: 2
; NumSGPRsForWavesPerEU: 26
; NumVGPRsForWavesPerEU: 33
; NamedBarCnt: 0
; Occupancy: 16
; WaveLimiterHint : 1
; COMPUTE_PGM_RSRC2:SCRATCH_EN: 0
; COMPUTE_PGM_RSRC2:USER_SGPR: 2
; COMPUTE_PGM_RSRC2:TRAP_HANDLER: 0
; COMPUTE_PGM_RSRC2:TGID_X_EN: 1
; COMPUTE_PGM_RSRC2:TGID_Y_EN: 0
; COMPUTE_PGM_RSRC2:TGID_Z_EN: 0
; COMPUTE_PGM_RSRC2:TIDIG_COMP_CNT: 0
	.section	.text._ZN2at6native27unrolled_elementwise_kernelIZZZNS0_15sin_kernel_cudaERNS_18TensorIteratorBaseEENKUlvE0_clEvENKUlvE0_clEvEUlfE_St5arrayIPcLm2EELi4E23TrivialOffsetCalculatorILi1EjESB_NS0_6memory15LoadWithoutCastENSC_16StoreWithoutCastEEEviT_T0_T2_T3_T4_T5_,"axG",@progbits,_ZN2at6native27unrolled_elementwise_kernelIZZZNS0_15sin_kernel_cudaERNS_18TensorIteratorBaseEENKUlvE0_clEvENKUlvE0_clEvEUlfE_St5arrayIPcLm2EELi4E23TrivialOffsetCalculatorILi1EjESB_NS0_6memory15LoadWithoutCastENSC_16StoreWithoutCastEEEviT_T0_T2_T3_T4_T5_,comdat
	.globl	_ZN2at6native27unrolled_elementwise_kernelIZZZNS0_15sin_kernel_cudaERNS_18TensorIteratorBaseEENKUlvE0_clEvENKUlvE0_clEvEUlfE_St5arrayIPcLm2EELi4E23TrivialOffsetCalculatorILi1EjESB_NS0_6memory15LoadWithoutCastENSC_16StoreWithoutCastEEEviT_T0_T2_T3_T4_T5_ ; -- Begin function _ZN2at6native27unrolled_elementwise_kernelIZZZNS0_15sin_kernel_cudaERNS_18TensorIteratorBaseEENKUlvE0_clEvENKUlvE0_clEvEUlfE_St5arrayIPcLm2EELi4E23TrivialOffsetCalculatorILi1EjESB_NS0_6memory15LoadWithoutCastENSC_16StoreWithoutCastEEEviT_T0_T2_T3_T4_T5_
	.p2align	8
	.type	_ZN2at6native27unrolled_elementwise_kernelIZZZNS0_15sin_kernel_cudaERNS_18TensorIteratorBaseEENKUlvE0_clEvENKUlvE0_clEvEUlfE_St5arrayIPcLm2EELi4E23TrivialOffsetCalculatorILi1EjESB_NS0_6memory15LoadWithoutCastENSC_16StoreWithoutCastEEEviT_T0_T2_T3_T4_T5_,@function
_ZN2at6native27unrolled_elementwise_kernelIZZZNS0_15sin_kernel_cudaERNS_18TensorIteratorBaseEENKUlvE0_clEvENKUlvE0_clEvEUlfE_St5arrayIPcLm2EELi4E23TrivialOffsetCalculatorILi1EjESB_NS0_6memory15LoadWithoutCastENSC_16StoreWithoutCastEEEviT_T0_T2_T3_T4_T5_: ; @_ZN2at6native27unrolled_elementwise_kernelIZZZNS0_15sin_kernel_cudaERNS_18TensorIteratorBaseEENKUlvE0_clEvENKUlvE0_clEvEUlfE_St5arrayIPcLm2EELi4E23TrivialOffsetCalculatorILi1EjESB_NS0_6memory15LoadWithoutCastENSC_16StoreWithoutCastEEEviT_T0_T2_T3_T4_T5_
; %bb.0:
	s_clause 0x1
	s_load_b32 s2, s[0:1], 0x0
	s_load_b128 s[4:7], s[0:1], 0x8
	s_bfe_u32 s3, ttmp6, 0x4000c
	s_wait_xcnt 0x0
	s_and_b32 s0, ttmp6, 15
	s_add_co_i32 s3, s3, 1
	v_dual_mov_b32 v9, 0 :: v_dual_mov_b32 v10, 0
	s_mul_i32 s1, ttmp9, s3
	s_getreg_b32 s3, hwreg(HW_REG_IB_STS2, 6, 4)
	s_add_co_i32 s0, s0, s1
	s_cmp_eq_u32 s3, 0
	v_or_b32_e32 v5, 0x100, v0
	s_cselect_b32 s0, ttmp9, s0
	v_mov_b32_e32 v1, v0
	s_lshl_b32 s3, s0, 10
	s_delay_alu instid0(SALU_CYCLE_1) | instskip(SKIP_2) | instid1(SALU_CYCLE_1)
	v_or_b32_e32 v6, s3, v0
	s_wait_kmcnt 0x0
	s_sub_co_i32 s8, s2, s3
	v_cmp_gt_i32_e32 vcc_lo, s8, v0
	s_and_saveexec_b32 s0, vcc_lo
	s_cbranch_execz .LBB12_2
; %bb.1:
	global_load_b32 v10, v6, s[6:7] scale_offset
	v_or_b32_e32 v1, 0x100, v0
.LBB12_2:
	s_wait_xcnt 0x0
	s_or_b32 exec_lo, exec_lo, s0
	s_delay_alu instid0(SALU_CYCLE_1) | instskip(NEXT) | instid1(VALU_DEP_1)
	s_mov_b32 s1, exec_lo
	v_cmpx_gt_i32_e64 s8, v1
	s_cbranch_execz .LBB12_4
; %bb.3:
	v_add_nc_u32_e32 v2, s3, v1
	v_add_nc_u32_e32 v1, 0x100, v1
	global_load_b32 v9, v2, s[6:7] scale_offset
.LBB12_4:
	s_wait_xcnt 0x0
	s_or_b32 exec_lo, exec_lo, s1
	v_dual_mov_b32 v7, 0 :: v_dual_mov_b32 v8, 0
	s_mov_b32 s1, exec_lo
	v_cmpx_gt_i32_e64 s8, v1
	s_cbranch_execz .LBB12_6
; %bb.5:
	v_add_nc_u32_e32 v2, s3, v1
	v_add_nc_u32_e32 v1, 0x100, v1
	global_load_b32 v8, v2, s[6:7] scale_offset
.LBB12_6:
	s_wait_xcnt 0x0
	s_or_b32 exec_lo, exec_lo, s1
	s_delay_alu instid0(SALU_CYCLE_1)
	s_mov_b32 s1, exec_lo
	v_cmpx_gt_i32_e64 s8, v1
	s_cbranch_execz .LBB12_8
; %bb.7:
	v_add_nc_u32_e32 v1, s3, v1
	global_load_b32 v7, v1, s[6:7] scale_offset
.LBB12_8:
	s_wait_xcnt 0x0
	s_or_b32 exec_lo, exec_lo, s1
	v_mov_b32_e32 v2, 0
	s_delay_alu instid0(VALU_DEP_1)
	v_dual_mov_b32 v1, v2 :: v_dual_mov_b32 v4, v2
	v_mov_b32_e32 v3, v2
	s_and_saveexec_b32 s6, vcc_lo
	s_cbranch_execz .LBB12_14
; %bb.9:
	s_wait_loadcnt 0x0
	v_and_b32_e32 v1, 0x7fffffff, v10
                                        ; implicit-def: $vgpr3
                                        ; implicit-def: $vgpr2
	s_mov_b32 s1, exec_lo
	v_cmpx_ngt_f32_e64 0x48000000, |v10|
	s_xor_b32 s7, exec_lo, s1
	s_cbranch_execz .LBB12_11
; %bb.10:
	s_mov_b32 s0, 0x7fffff
	v_mov_b32_e32 v3, 0
	v_and_or_b32 v2, v1, s0, 0x800000
	s_mov_b64 s[0:1], 0xfe5163ab
	v_lshrrev_b32_e32 v4, 23, v1
	s_delay_alu instid0(VALU_DEP_2) | instskip(NEXT) | instid1(VALU_DEP_1)
	v_mul_u64_e32 v[12:13], s[0:1], v[2:3]
	v_dual_mov_b32 v14, v13 :: v_dual_mov_b32 v15, v3
	v_dual_mov_b32 v17, v3 :: v_dual_mov_b32 v19, v3
	s_delay_alu instid0(VALU_DEP_4) | instskip(SKIP_1) | instid1(VALU_DEP_4)
	v_dual_mov_b32 v21, v3 :: v_dual_add_nc_u32 v4, 0xffffff88, v4
	v_mov_b32_e32 v25, v3
	v_mad_nc_u64_u32 v[14:15], 0x3c439041, v2, v[14:15]
	s_delay_alu instid0(VALU_DEP_3) | instskip(NEXT) | instid1(VALU_DEP_1)
	v_cmp_lt_u32_e64 s0, 63, v4
	v_cndmask_b32_e64 v11, 0, 0xffffffc0, s0
	s_delay_alu instid0(VALU_DEP_3) | instskip(NEXT) | instid1(VALU_DEP_1)
	v_mov_b32_e32 v16, v15
	v_mad_nc_u64_u32 v[16:17], 0xdb629599, v2, v[16:17]
	s_delay_alu instid0(VALU_DEP_1) | instskip(NEXT) | instid1(VALU_DEP_1)
	v_dual_mov_b32 v18, v17 :: v_dual_cndmask_b32 v12, v16, v12, s0
	v_mad_nc_u64_u32 v[18:19], 0xf534ddc0, v2, v[18:19]
	s_delay_alu instid0(VALU_DEP_1) | instskip(NEXT) | instid1(VALU_DEP_1)
	v_mov_b32_e32 v20, v19
	v_mad_nc_u64_u32 v[20:21], 0xfc2757d1, v2, v[20:21]
	s_delay_alu instid0(VALU_DEP_1) | instskip(NEXT) | instid1(VALU_DEP_2)
	v_dual_mov_b32 v23, v3 :: v_dual_mov_b32 v22, v21
	v_cndmask_b32_e64 v15, v20, v16, s0
	s_delay_alu instid0(VALU_DEP_2) | instskip(NEXT) | instid1(VALU_DEP_1)
	v_mad_nc_u64_u32 v[22:23], 0x4e441529, v2, v[22:23]
	v_dual_add_nc_u32 v4, v11, v4 :: v_dual_cndmask_b32 v13, v22, v18, s0
	s_delay_alu instid0(VALU_DEP_1) | instskip(NEXT) | instid1(VALU_DEP_3)
	v_cmp_lt_u32_e64 s1, 31, v4
	v_mov_b32_e32 v24, v23
	s_delay_alu instid0(VALU_DEP_2) | instskip(NEXT) | instid1(VALU_DEP_2)
	v_cndmask_b32_e64 v11, 0, 0xffffffe0, s1
	v_mad_nc_u64_u32 v[2:3], 0xa2f9836e, v2, v[24:25]
	s_delay_alu instid0(VALU_DEP_2) | instskip(NEXT) | instid1(VALU_DEP_1)
	v_add_nc_u32_e32 v4, v11, v4
	v_cmp_lt_u32_e64 s2, 31, v4
	s_delay_alu instid0(VALU_DEP_3) | instskip(NEXT) | instid1(VALU_DEP_2)
	v_dual_cndmask_b32 v2, v2, v20, s0 :: v_dual_cndmask_b32 v3, v3, v22, s0
	v_cndmask_b32_e64 v11, 0, 0xffffffe0, s2
	s_delay_alu instid0(VALU_DEP_1) | instskip(NEXT) | instid1(VALU_DEP_3)
	v_dual_add_nc_u32 v4, v11, v4 :: v_dual_cndmask_b32 v11, v18, v14, s0
	v_dual_cndmask_b32 v14, v2, v13, s1 :: v_dual_cndmask_b32 v2, v3, v2, s1
	s_delay_alu instid0(VALU_DEP_2) | instskip(NEXT) | instid1(VALU_DEP_3)
	v_dual_cndmask_b32 v3, v13, v15, s1 :: v_dual_sub_nc_u32 v13, 32, v4
	v_cndmask_b32_e64 v15, v15, v11, s1
	v_cmp_eq_u32_e64 s0, 0, v4
	s_delay_alu instid0(VALU_DEP_4) | instskip(NEXT) | instid1(VALU_DEP_4)
	v_cndmask_b32_e64 v2, v2, v14, s2
	v_dual_cndmask_b32 v14, v14, v3, s2 :: v_dual_cndmask_b32 v4, v11, v12, s1
	s_delay_alu instid0(VALU_DEP_4) | instskip(NEXT) | instid1(VALU_DEP_2)
	v_cndmask_b32_e64 v3, v3, v15, s2
	v_alignbit_b32 v17, v2, v14, v13
	s_delay_alu instid0(VALU_DEP_3) | instskip(NEXT) | instid1(VALU_DEP_3)
	v_cndmask_b32_e64 v4, v15, v4, s2
	v_alignbit_b32 v16, v14, v3, v13
	s_delay_alu instid0(VALU_DEP_3) | instskip(NEXT) | instid1(VALU_DEP_3)
	;; [unrolled: 3-line block ×3, first 2 shown]
	v_cndmask_b32_e64 v11, v16, v14, s0
	v_bfe_u32 v12, v2, 29, 1
	s_delay_alu instid0(VALU_DEP_3) | instskip(NEXT) | instid1(VALU_DEP_3)
	v_cndmask_b32_e64 v3, v13, v3, s0
	v_alignbit_b32 v14, v2, v11, 30
	s_delay_alu instid0(VALU_DEP_3) | instskip(NEXT) | instid1(VALU_DEP_3)
	v_sub_nc_u32_e32 v15, 0, v12
	v_alignbit_b32 v11, v11, v3, 30
	v_alignbit_b32 v3, v3, v4, 30
	s_delay_alu instid0(VALU_DEP_3) | instskip(NEXT) | instid1(VALU_DEP_3)
	v_xor_b32_e32 v14, v14, v15
	v_xor_b32_e32 v4, v11, v15
	s_delay_alu instid0(VALU_DEP_3) | instskip(NEXT) | instid1(VALU_DEP_3)
	v_dual_lshrrev_b32 v15, 29, v2 :: v_dual_bitop2_b32 v3, v3, v15 bitop3:0x14
	v_clz_i32_u32_e32 v13, v14
	s_delay_alu instid0(VALU_DEP_1) | instskip(NEXT) | instid1(VALU_DEP_1)
	v_min_u32_e32 v13, 32, v13
	v_dual_sub_nc_u32 v11, 31, v13 :: v_dual_lshlrev_b32 v16, 23, v13
	s_delay_alu instid0(VALU_DEP_1) | instskip(SKIP_2) | instid1(VALU_DEP_2)
	v_alignbit_b32 v14, v14, v4, v11
	v_alignbit_b32 v3, v4, v3, v11
	v_lshlrev_b32_e32 v4, 31, v15
	v_alignbit_b32 v11, v14, v3, 9
	s_delay_alu instid0(VALU_DEP_2) | instskip(SKIP_1) | instid1(VALU_DEP_3)
	v_dual_lshrrev_b32 v14, 9, v14 :: v_dual_bitop2_b32 v15, 0.5, v4 bitop3:0x54
	v_or_b32_e32 v4, 0x33000000, v4
	v_clz_i32_u32_e32 v17, v11
	s_delay_alu instid0(VALU_DEP_3) | instskip(NEXT) | instid1(VALU_DEP_2)
	v_sub_nc_u32_e32 v15, v15, v16
	v_min_u32_e32 v16, 32, v17
	s_delay_alu instid0(VALU_DEP_1) | instskip(NEXT) | instid1(VALU_DEP_3)
	v_add_lshl_u32 v13, v16, v13, 23
	v_or_b32_e32 v14, v14, v15
	v_not_b32_e32 v15, v16
	s_delay_alu instid0(VALU_DEP_2) | instskip(NEXT) | instid1(VALU_DEP_2)
	v_dual_mul_f32 v17, 0x3fc90fda, v14 :: v_dual_sub_nc_u32 v4, v4, v13
	v_alignbit_b32 v3, v11, v3, v15
	s_delay_alu instid0(VALU_DEP_2) | instskip(NEXT) | instid1(VALU_DEP_2)
	v_fma_f32 v11, 0x3fc90fda, v14, -v17
	v_lshrrev_b32_e32 v3, 9, v3
	s_delay_alu instid0(VALU_DEP_2) | instskip(NEXT) | instid1(VALU_DEP_2)
	v_fmamk_f32 v11, v14, 0x33a22168, v11
	v_or_b32_e32 v3, v4, v3
	s_delay_alu instid0(VALU_DEP_1) | instskip(NEXT) | instid1(VALU_DEP_1)
	v_fmac_f32_e32 v11, 0x3fc90fda, v3
	v_dual_add_f32 v2, v17, v11 :: v_dual_lshrrev_b32 v3, 30, v2
	s_delay_alu instid0(VALU_DEP_1)
	v_add_nc_u32_e32 v3, v12, v3
.LBB12_11:
	s_and_not1_saveexec_b32 s0, s7
; %bb.12:
	v_mul_f32_e64 v2, 0x3f22f983, |v10|
	s_delay_alu instid0(VALU_DEP_1) | instskip(NEXT) | instid1(VALU_DEP_1)
	v_rndne_f32_e32 v3, v2
	v_fma_f32 v2, 0xbfc90fda, v3, |v10|
	s_delay_alu instid0(VALU_DEP_1) | instskip(NEXT) | instid1(VALU_DEP_1)
	v_fmamk_f32 v2, v3, 0xb3a22168, v2
	v_fmamk_f32 v2, v3, 0xa7c234c4, v2
	v_cvt_i32_f32_e32 v3, v3
; %bb.13:
	s_or_b32 exec_lo, exec_lo, s0
	s_delay_alu instid0(VALU_DEP_1) | instskip(SKIP_3) | instid1(VALU_DEP_2)
	v_dual_mul_f32 v4, v2, v2 :: v_dual_bitop2_b32 v13, 1, v3 bitop3:0x40
	s_mov_b32 s0, 0xb94c1982
	s_mov_b32 s1, 0x37d75334
	v_lshlrev_b32_e32 v3, 30, v3
	v_fmaak_f32 v11, s0, v4, 0x3c0881c4
	v_cmp_eq_u32_e64 s0, 0, v13
	s_delay_alu instid0(VALU_DEP_3) | instskip(NEXT) | instid1(VALU_DEP_3)
	v_and_b32_e32 v3, 0x80000000, v3
	v_fmaak_f32 v11, v4, v11, 0xbe2aaa9d
	s_delay_alu instid0(VALU_DEP_1) | instskip(NEXT) | instid1(VALU_DEP_1)
	v_dual_fmaak_f32 v12, s1, v4, 0xbab64f3b :: v_dual_mul_f32 v11, v4, v11
	v_fmaak_f32 v12, v4, v12, 0x3d2aabf7
	s_delay_alu instid0(VALU_DEP_2) | instskip(NEXT) | instid1(VALU_DEP_2)
	v_dual_fmac_f32 v2, v2, v11 :: v_dual_bitop2_b32 v11, v1, v10 bitop3:0x14
	v_dual_fmaak_f32 v12, v4, v12, 0xbf000004 :: v_dual_mov_b32 v1, 0
	s_delay_alu instid0(VALU_DEP_1) | instskip(NEXT) | instid1(VALU_DEP_1)
	v_fma_f32 v4, v4, v12, 1.0
	v_cndmask_b32_e64 v2, v4, v2, s0
	v_cmp_class_f32_e64 s0, v10, 0x1f8
	s_delay_alu instid0(VALU_DEP_4) | instskip(NEXT) | instid1(VALU_DEP_3)
	v_mov_b32_e32 v4, v1
	v_xor3_b32 v2, v11, v3, v2
	v_mov_b32_e32 v3, v1
	s_delay_alu instid0(VALU_DEP_2)
	v_cndmask_b32_e64 v2, 0x7fc00000, v2, s0
.LBB12_14:
	s_or_b32 exec_lo, exec_lo, s6
	s_delay_alu instid0(SALU_CYCLE_1)
	s_mov_b32 s6, exec_lo
	v_cmpx_gt_i32_e64 s8, v5
	s_cbranch_execz .LBB12_20
; %bb.15:
	s_wait_loadcnt 0x0
	v_and_b32_e32 v1, 0x7fffffff, v9
                                        ; implicit-def: $vgpr11
                                        ; implicit-def: $vgpr10
	s_mov_b32 s1, exec_lo
	v_cmpx_ngt_f32_e64 0x48000000, |v9|
	s_xor_b32 s7, exec_lo, s1
	s_cbranch_execz .LBB12_17
; %bb.16:
	s_mov_b32 s0, 0x7fffff
	v_mov_b32_e32 v11, 0
	v_and_or_b32 v10, v1, s0, 0x800000
	s_mov_b64 s[0:1], 0xfe5163ab
	s_delay_alu instid0(VALU_DEP_1) | instid1(SALU_CYCLE_1)
	v_mul_u64_e32 v[12:13], s[0:1], v[10:11]
	s_delay_alu instid0(VALU_DEP_1) | instskip(SKIP_2) | instid1(VALU_DEP_3)
	v_dual_mov_b32 v14, v13 :: v_dual_mov_b32 v15, v11
	v_dual_mov_b32 v17, v11 :: v_dual_mov_b32 v19, v11
	v_dual_mov_b32 v21, v11 :: v_dual_lshrrev_b32 v13, 23, v1
	v_mad_nc_u64_u32 v[14:15], 0x3c439041, v10, v[14:15]
	s_delay_alu instid0(VALU_DEP_1) | instskip(NEXT) | instid1(VALU_DEP_1)
	v_mov_b32_e32 v16, v15
	v_mad_nc_u64_u32 v[16:17], 0xdb629599, v10, v[16:17]
	s_delay_alu instid0(VALU_DEP_1) | instskip(NEXT) | instid1(VALU_DEP_1)
	v_mov_b32_e32 v18, v17
	;; [unrolled: 3-line block ×3, first 2 shown]
	v_mad_nc_u64_u32 v[20:21], 0xfc2757d1, v10, v[20:21]
	s_delay_alu instid0(VALU_DEP_1) | instskip(NEXT) | instid1(VALU_DEP_1)
	v_dual_mov_b32 v23, v11 :: v_dual_mov_b32 v22, v21
	v_mad_nc_u64_u32 v[22:23], 0x4e441529, v10, v[22:23]
	s_delay_alu instid0(VALU_DEP_1) | instskip(NEXT) | instid1(VALU_DEP_1)
	v_dual_mov_b32 v24, v23 :: v_dual_add_nc_u32 v13, 0xffffff88, v13
	v_cmp_lt_u32_e64 s0, 63, v13
	v_mov_b32_e32 v25, v11
	s_delay_alu instid0(VALU_DEP_2) | instskip(NEXT) | instid1(VALU_DEP_2)
	v_cndmask_b32_e64 v15, 0, 0xffffffc0, s0
	v_mad_nc_u64_u32 v[10:11], 0xa2f9836e, v10, v[24:25]
	v_dual_cndmask_b32 v17, v22, v18, s0 :: v_dual_cndmask_b32 v19, v20, v16, s0
	s_delay_alu instid0(VALU_DEP_3) | instskip(SKIP_1) | instid1(VALU_DEP_2)
	v_dual_cndmask_b32 v14, v18, v14, s0 :: v_dual_add_nc_u32 v13, v15, v13
	v_cndmask_b32_e64 v12, v16, v12, s0
	v_cmp_lt_u32_e64 s1, 31, v13
	v_dual_cndmask_b32 v10, v10, v20, s0 :: v_dual_cndmask_b32 v11, v11, v22, s0
	s_delay_alu instid0(VALU_DEP_2) | instskip(NEXT) | instid1(VALU_DEP_4)
	v_cndmask_b32_e64 v15, 0, 0xffffffe0, s1
	v_dual_cndmask_b32 v18, v19, v14, s1 :: v_dual_cndmask_b32 v12, v14, v12, s1
	s_delay_alu instid0(VALU_DEP_2) | instskip(NEXT) | instid1(VALU_DEP_1)
	v_add_nc_u32_e32 v13, v15, v13
	v_cmp_lt_u32_e64 s2, 31, v13
	s_delay_alu instid0(VALU_DEP_1) | instskip(NEXT) | instid1(VALU_DEP_1)
	v_cndmask_b32_e64 v15, 0, 0xffffffe0, s2
	v_dual_cndmask_b32 v12, v18, v12, s2 :: v_dual_add_nc_u32 v13, v15, v13
	v_dual_cndmask_b32 v15, v10, v17, s1 :: v_dual_cndmask_b32 v10, v11, v10, s1
	s_delay_alu instid0(VALU_DEP_2) | instskip(SKIP_1) | instid1(VALU_DEP_3)
	v_dual_cndmask_b32 v11, v17, v19, s1 :: v_dual_sub_nc_u32 v17, 32, v13
	v_cmp_eq_u32_e64 s0, 0, v13
	v_cndmask_b32_e64 v10, v10, v15, s2
	s_delay_alu instid0(VALU_DEP_3) | instskip(SKIP_1) | instid1(VALU_DEP_2)
	v_cndmask_b32_e64 v15, v15, v11, s2
	v_cndmask_b32_e64 v11, v11, v18, s2
	v_alignbit_b32 v19, v10, v15, v17
	s_delay_alu instid0(VALU_DEP_2) | instskip(SKIP_1) | instid1(VALU_DEP_2)
	v_alignbit_b32 v16, v15, v11, v17
	v_alignbit_b32 v17, v11, v12, v17
	v_dual_cndmask_b32 v10, v19, v10, s0 :: v_dual_cndmask_b32 v13, v16, v15, s0
	s_delay_alu instid0(VALU_DEP_2) | instskip(NEXT) | instid1(VALU_DEP_2)
	v_cndmask_b32_e64 v11, v17, v11, s0
	v_bfe_u32 v14, v10, 29, 1
	s_delay_alu instid0(VALU_DEP_3) | instskip(NEXT) | instid1(VALU_DEP_3)
	v_alignbit_b32 v15, v10, v13, 30
	v_alignbit_b32 v13, v13, v11, 30
	;; [unrolled: 1-line block ×3, first 2 shown]
	s_delay_alu instid0(VALU_DEP_4) | instskip(NEXT) | instid1(VALU_DEP_1)
	v_sub_nc_u32_e32 v16, 0, v14
	v_xor_b32_e32 v15, v15, v16
	s_delay_alu instid0(VALU_DEP_4) | instskip(NEXT) | instid1(VALU_DEP_4)
	v_xor_b32_e32 v12, v13, v16
	v_dual_lshrrev_b32 v16, 29, v10 :: v_dual_bitop2_b32 v11, v11, v16 bitop3:0x14
	s_delay_alu instid0(VALU_DEP_3) | instskip(NEXT) | instid1(VALU_DEP_1)
	v_clz_i32_u32_e32 v17, v15
	v_min_u32_e32 v17, 32, v17
	s_delay_alu instid0(VALU_DEP_1) | instskip(NEXT) | instid1(VALU_DEP_1)
	v_dual_sub_nc_u32 v13, 31, v17 :: v_dual_lshlrev_b32 v18, 23, v17
	v_alignbit_b32 v15, v15, v12, v13
	v_alignbit_b32 v11, v12, v11, v13
	v_lshlrev_b32_e32 v12, 31, v16
	s_delay_alu instid0(VALU_DEP_2) | instskip(NEXT) | instid1(VALU_DEP_2)
	v_alignbit_b32 v13, v15, v11, 9
	v_dual_lshrrev_b32 v15, 9, v15 :: v_dual_bitop2_b32 v16, 0.5, v12 bitop3:0x54
	v_or_b32_e32 v12, 0x33000000, v12
	s_delay_alu instid0(VALU_DEP_3) | instskip(NEXT) | instid1(VALU_DEP_3)
	v_clz_i32_u32_e32 v19, v13
	v_sub_nc_u32_e32 v16, v16, v18
	s_delay_alu instid0(VALU_DEP_2) | instskip(NEXT) | instid1(VALU_DEP_1)
	v_min_u32_e32 v18, 32, v19
	v_add_lshl_u32 v17, v18, v17, 23
	s_delay_alu instid0(VALU_DEP_3) | instskip(SKIP_1) | instid1(VALU_DEP_2)
	v_or_b32_e32 v15, v15, v16
	v_not_b32_e32 v16, v18
	v_dual_mul_f32 v19, 0x3fc90fda, v15 :: v_dual_sub_nc_u32 v12, v12, v17
	s_delay_alu instid0(VALU_DEP_2) | instskip(NEXT) | instid1(VALU_DEP_2)
	v_alignbit_b32 v11, v13, v11, v16
	v_fma_f32 v13, 0x3fc90fda, v15, -v19
	s_delay_alu instid0(VALU_DEP_2) | instskip(NEXT) | instid1(VALU_DEP_2)
	v_lshrrev_b32_e32 v11, 9, v11
	v_fmamk_f32 v13, v15, 0x33a22168, v13
	s_delay_alu instid0(VALU_DEP_2) | instskip(NEXT) | instid1(VALU_DEP_1)
	v_or_b32_e32 v11, v12, v11
	v_fmac_f32_e32 v13, 0x3fc90fda, v11
	s_delay_alu instid0(VALU_DEP_1) | instskip(NEXT) | instid1(VALU_DEP_1)
	v_dual_add_f32 v10, v19, v13 :: v_dual_lshrrev_b32 v11, 30, v10
	v_add_nc_u32_e32 v11, v14, v11
.LBB12_17:
	s_and_not1_saveexec_b32 s0, s7
; %bb.18:
	v_mul_f32_e64 v10, 0x3f22f983, |v9|
	s_delay_alu instid0(VALU_DEP_1) | instskip(NEXT) | instid1(VALU_DEP_1)
	v_rndne_f32_e32 v11, v10
	v_fma_f32 v10, 0xbfc90fda, v11, |v9|
	s_delay_alu instid0(VALU_DEP_1) | instskip(NEXT) | instid1(VALU_DEP_1)
	v_fmamk_f32 v10, v11, 0xb3a22168, v10
	v_fmamk_f32 v10, v11, 0xa7c234c4, v10
	v_cvt_i32_f32_e32 v11, v11
; %bb.19:
	s_or_b32 exec_lo, exec_lo, s0
	s_delay_alu instid0(VALU_DEP_1) | instskip(SKIP_3) | instid1(VALU_DEP_2)
	v_dual_mul_f32 v12, v10, v10 :: v_dual_bitop2_b32 v15, 1, v11 bitop3:0x40
	s_mov_b32 s0, 0xb94c1982
	s_mov_b32 s1, 0x37d75334
	v_lshlrev_b32_e32 v11, 30, v11
	v_fmaak_f32 v13, s0, v12, 0x3c0881c4
	v_cmp_eq_u32_e64 s0, 0, v15
	v_xor_b32_e32 v1, v1, v9
	s_delay_alu instid0(VALU_DEP_4) | instskip(NEXT) | instid1(VALU_DEP_4)
	v_and_b32_e32 v11, 0x80000000, v11
	v_fmaak_f32 v13, v12, v13, 0xbe2aaa9d
	s_delay_alu instid0(VALU_DEP_1) | instskip(NEXT) | instid1(VALU_DEP_1)
	v_dual_fmaak_f32 v14, s1, v12, 0xbab64f3b :: v_dual_mul_f32 v13, v12, v13
	v_fmaak_f32 v14, v12, v14, 0x3d2aabf7
	s_delay_alu instid0(VALU_DEP_2) | instskip(NEXT) | instid1(VALU_DEP_2)
	v_fmac_f32_e32 v10, v10, v13
	v_fmaak_f32 v14, v12, v14, 0xbf000004
	s_delay_alu instid0(VALU_DEP_1) | instskip(NEXT) | instid1(VALU_DEP_1)
	v_fma_f32 v12, v12, v14, 1.0
	v_cndmask_b32_e64 v10, v12, v10, s0
	v_cmp_class_f32_e64 s0, v9, 0x1f8
	s_delay_alu instid0(VALU_DEP_2) | instskip(NEXT) | instid1(VALU_DEP_1)
	v_xor3_b32 v1, v1, v11, v10
	v_cndmask_b32_e64 v1, 0x7fc00000, v1, s0
.LBB12_20:
	s_or_b32 exec_lo, exec_lo, s6
	s_wait_loadcnt 0x0
	v_or_b32_e32 v9, 0x200, v0
	s_mov_b32 s6, exec_lo
	s_delay_alu instid0(VALU_DEP_1)
	v_cmpx_gt_i32_e64 s8, v9
	s_cbranch_execz .LBB12_26
; %bb.21:
	v_and_b32_e32 v4, 0x7fffffff, v8
                                        ; implicit-def: $vgpr10
                                        ; implicit-def: $vgpr9
	s_mov_b32 s1, exec_lo
	v_cmpx_ngt_f32_e64 0x48000000, |v8|
	s_xor_b32 s7, exec_lo, s1
	s_cbranch_execz .LBB12_23
; %bb.22:
	s_mov_b32 s0, 0x7fffff
	v_mov_b32_e32 v11, 0
	v_and_or_b32 v10, v4, s0, 0x800000
	s_mov_b64 s[0:1], 0xfe5163ab
	v_lshrrev_b32_e32 v9, 23, v4
	s_delay_alu instid0(VALU_DEP_2) | instskip(NEXT) | instid1(VALU_DEP_1)
	v_mul_u64_e32 v[12:13], s[0:1], v[10:11]
	v_dual_mov_b32 v14, v13 :: v_dual_mov_b32 v15, v11
	v_dual_mov_b32 v17, v11 :: v_dual_mov_b32 v19, v11
	;; [unrolled: 1-line block ×3, first 2 shown]
	s_delay_alu instid0(VALU_DEP_3) | instskip(NEXT) | instid1(VALU_DEP_1)
	v_mad_nc_u64_u32 v[14:15], 0x3c439041, v10, v[14:15]
	v_mov_b32_e32 v16, v15
	s_delay_alu instid0(VALU_DEP_1) | instskip(NEXT) | instid1(VALU_DEP_1)
	v_mad_nc_u64_u32 v[16:17], 0xdb629599, v10, v[16:17]
	v_mov_b32_e32 v18, v17
	s_delay_alu instid0(VALU_DEP_1) | instskip(NEXT) | instid1(VALU_DEP_1)
	;; [unrolled: 3-line block ×3, first 2 shown]
	v_mad_nc_u64_u32 v[20:21], 0xfc2757d1, v10, v[20:21]
	v_dual_mov_b32 v23, v11 :: v_dual_mov_b32 v22, v21
	s_delay_alu instid0(VALU_DEP_1) | instskip(NEXT) | instid1(VALU_DEP_1)
	v_mad_nc_u64_u32 v[22:23], 0x4e441529, v10, v[22:23]
	v_dual_mov_b32 v24, v23 :: v_dual_add_nc_u32 v9, 0xffffff88, v9
	s_delay_alu instid0(VALU_DEP_1) | instskip(NEXT) | instid1(VALU_DEP_2)
	v_cmp_lt_u32_e64 s0, 63, v9
	v_mad_nc_u64_u32 v[10:11], 0xa2f9836e, v10, v[24:25]
	s_delay_alu instid0(VALU_DEP_2) | instskip(SKIP_1) | instid1(VALU_DEP_2)
	v_cndmask_b32_e64 v13, 0, 0xffffffc0, s0
	v_dual_cndmask_b32 v15, v22, v18, s0 :: v_dual_cndmask_b32 v12, v16, v12, s0
	v_add_nc_u32_e32 v9, v13, v9
	s_delay_alu instid0(VALU_DEP_1) | instskip(SKIP_1) | instid1(VALU_DEP_2)
	v_cmp_lt_u32_e64 s1, 31, v9
	v_dual_cndmask_b32 v10, v10, v20, s0 :: v_dual_cndmask_b32 v11, v11, v22, s0
	v_cndmask_b32_e64 v13, 0, 0xffffffe0, s1
	s_delay_alu instid0(VALU_DEP_1) | instskip(NEXT) | instid1(VALU_DEP_1)
	v_add_nc_u32_e32 v9, v13, v9
	v_cmp_lt_u32_e64 s2, 31, v9
	s_delay_alu instid0(VALU_DEP_1) | instskip(NEXT) | instid1(VALU_DEP_1)
	v_cndmask_b32_e64 v13, 0, 0xffffffe0, s2
	v_dual_cndmask_b32 v17, v20, v16, s0 :: v_dual_add_nc_u32 v9, v13, v9
	v_cndmask_b32_e64 v13, v18, v14, s0
	v_dual_cndmask_b32 v14, v10, v15, s1 :: v_dual_cndmask_b32 v10, v11, v10, s1
	s_delay_alu instid0(VALU_DEP_3) | instskip(NEXT) | instid1(VALU_DEP_4)
	v_cndmask_b32_e64 v11, v15, v17, s1
	v_sub_nc_u32_e32 v15, 32, v9
	s_delay_alu instid0(VALU_DEP_4) | instskip(SKIP_2) | instid1(VALU_DEP_3)
	v_cndmask_b32_e64 v17, v17, v13, s1
	v_cmp_eq_u32_e64 s0, 0, v9
	v_cndmask_b32_e64 v10, v10, v14, s2
	v_dual_cndmask_b32 v14, v14, v11, s2 :: v_dual_cndmask_b32 v11, v11, v17, s2
	s_delay_alu instid0(VALU_DEP_1) | instskip(NEXT) | instid1(VALU_DEP_2)
	v_alignbit_b32 v18, v10, v14, v15
	v_alignbit_b32 v16, v14, v11, v15
	s_delay_alu instid0(VALU_DEP_2) | instskip(NEXT) | instid1(VALU_DEP_1)
	v_dual_cndmask_b32 v9, v18, v10, s0 :: v_dual_cndmask_b32 v10, v13, v12, s1
	v_bfe_u32 v13, v9, 29, 1
	s_delay_alu instid0(VALU_DEP_1) | instskip(NEXT) | instid1(VALU_DEP_1)
	v_dual_cndmask_b32 v12, v16, v14, s0 :: v_dual_sub_nc_u32 v16, 0, v13
	v_alignbit_b32 v14, v9, v12, 30
	s_delay_alu instid0(VALU_DEP_1) | instskip(NEXT) | instid1(VALU_DEP_1)
	v_dual_cndmask_b32 v10, v17, v10, s2 :: v_dual_bitop2_b32 v14, v14, v16 bitop3:0x14
	v_alignbit_b32 v15, v11, v10, v15
	s_delay_alu instid0(VALU_DEP_1) | instskip(NEXT) | instid1(VALU_DEP_3)
	v_cndmask_b32_e64 v11, v15, v11, s0
	v_clz_i32_u32_e32 v15, v14
	s_delay_alu instid0(VALU_DEP_2) | instskip(NEXT) | instid1(VALU_DEP_2)
	v_alignbit_b32 v10, v11, v10, 30
	v_min_u32_e32 v15, 32, v15
	s_delay_alu instid0(VALU_DEP_2) | instskip(SKIP_1) | instid1(VALU_DEP_1)
	v_xor_b32_e32 v10, v10, v16
	v_alignbit_b32 v12, v12, v11, 30
	v_dual_lshlrev_b32 v17, 23, v15 :: v_dual_bitop2_b32 v11, v12, v16 bitop3:0x14
	v_dual_sub_nc_u32 v12, 31, v15 :: v_dual_lshrrev_b32 v16, 29, v9
	s_delay_alu instid0(VALU_DEP_1) | instskip(SKIP_1) | instid1(VALU_DEP_3)
	v_alignbit_b32 v14, v14, v11, v12
	v_alignbit_b32 v10, v11, v10, v12
	v_lshlrev_b32_e32 v11, 31, v16
	s_delay_alu instid0(VALU_DEP_2) | instskip(NEXT) | instid1(VALU_DEP_2)
	v_alignbit_b32 v12, v14, v10, 9
	v_dual_lshrrev_b32 v14, 9, v14 :: v_dual_bitop2_b32 v16, 0.5, v11 bitop3:0x54
	s_delay_alu instid0(VALU_DEP_2) | instskip(NEXT) | instid1(VALU_DEP_2)
	v_clz_i32_u32_e32 v18, v12
	v_sub_nc_u32_e32 v16, v16, v17
	v_or_b32_e32 v11, 0x33000000, v11
	s_delay_alu instid0(VALU_DEP_3) | instskip(NEXT) | instid1(VALU_DEP_1)
	v_min_u32_e32 v17, 32, v18
	v_add_lshl_u32 v15, v17, v15, 23
	s_delay_alu instid0(VALU_DEP_4) | instskip(SKIP_1) | instid1(VALU_DEP_2)
	v_or_b32_e32 v14, v14, v16
	v_not_b32_e32 v16, v17
	v_dual_mul_f32 v18, 0x3fc90fda, v14 :: v_dual_sub_nc_u32 v11, v11, v15
	s_delay_alu instid0(VALU_DEP_2) | instskip(NEXT) | instid1(VALU_DEP_2)
	v_alignbit_b32 v10, v12, v10, v16
	v_fma_f32 v12, 0x3fc90fda, v14, -v18
	s_delay_alu instid0(VALU_DEP_2) | instskip(NEXT) | instid1(VALU_DEP_2)
	v_lshrrev_b32_e32 v10, 9, v10
	v_fmamk_f32 v12, v14, 0x33a22168, v12
	s_delay_alu instid0(VALU_DEP_2) | instskip(NEXT) | instid1(VALU_DEP_1)
	v_or_b32_e32 v10, v11, v10
	v_fmac_f32_e32 v12, 0x3fc90fda, v10
	s_delay_alu instid0(VALU_DEP_1) | instskip(NEXT) | instid1(VALU_DEP_1)
	v_dual_add_f32 v9, v18, v12 :: v_dual_lshrrev_b32 v10, 30, v9
	v_add_nc_u32_e32 v10, v13, v10
.LBB12_23:
	s_and_not1_saveexec_b32 s0, s7
; %bb.24:
	v_mul_f32_e64 v9, 0x3f22f983, |v8|
	s_delay_alu instid0(VALU_DEP_1) | instskip(NEXT) | instid1(VALU_DEP_1)
	v_rndne_f32_e32 v10, v9
	v_fma_f32 v9, 0xbfc90fda, v10, |v8|
	s_delay_alu instid0(VALU_DEP_1) | instskip(NEXT) | instid1(VALU_DEP_1)
	v_fmamk_f32 v9, v10, 0xb3a22168, v9
	v_fmamk_f32 v9, v10, 0xa7c234c4, v9
	v_cvt_i32_f32_e32 v10, v10
; %bb.25:
	s_or_b32 exec_lo, exec_lo, s0
	s_delay_alu instid0(VALU_DEP_1) | instskip(SKIP_3) | instid1(VALU_DEP_2)
	v_dual_mul_f32 v11, v9, v9 :: v_dual_bitop2_b32 v14, 1, v10 bitop3:0x40
	s_mov_b32 s0, 0xb94c1982
	s_mov_b32 s1, 0x37d75334
	v_lshlrev_b32_e32 v10, 30, v10
	v_fmaak_f32 v12, s0, v11, 0x3c0881c4
	v_cmp_eq_u32_e64 s0, 0, v14
	v_xor_b32_e32 v4, v4, v8
	s_delay_alu instid0(VALU_DEP_4) | instskip(NEXT) | instid1(VALU_DEP_4)
	v_and_b32_e32 v10, 0x80000000, v10
	v_fmaak_f32 v12, v11, v12, 0xbe2aaa9d
	s_delay_alu instid0(VALU_DEP_1) | instskip(NEXT) | instid1(VALU_DEP_1)
	v_dual_fmaak_f32 v13, s1, v11, 0xbab64f3b :: v_dual_mul_f32 v12, v11, v12
	v_fmaak_f32 v13, v11, v13, 0x3d2aabf7
	s_delay_alu instid0(VALU_DEP_2) | instskip(NEXT) | instid1(VALU_DEP_2)
	v_fmac_f32_e32 v9, v9, v12
	v_fmaak_f32 v13, v11, v13, 0xbf000004
	s_delay_alu instid0(VALU_DEP_1) | instskip(NEXT) | instid1(VALU_DEP_1)
	v_fma_f32 v11, v11, v13, 1.0
	v_cndmask_b32_e64 v9, v11, v9, s0
	v_cmp_class_f32_e64 s0, v8, 0x1f8
	s_delay_alu instid0(VALU_DEP_2) | instskip(NEXT) | instid1(VALU_DEP_1)
	v_xor3_b32 v4, v4, v10, v9
	v_cndmask_b32_e64 v4, 0x7fc00000, v4, s0
.LBB12_26:
	s_or_b32 exec_lo, exec_lo, s6
	v_or_b32_e32 v8, 0x300, v0
	s_mov_b32 s6, exec_lo
	s_delay_alu instid0(VALU_DEP_1)
	v_cmpx_gt_i32_e64 s8, v8
	s_cbranch_execnz .LBB12_32
; %bb.27:
	s_or_b32 exec_lo, exec_lo, s6
	s_and_saveexec_b32 s0, vcc_lo
	s_delay_alu instid0(SALU_CYCLE_1)
	s_xor_b32 s0, exec_lo, s0
	s_cbranch_execnz .LBB12_37
.LBB12_28:
	s_or_b32 exec_lo, exec_lo, s0
	s_delay_alu instid0(SALU_CYCLE_1)
	s_mov_b32 s0, exec_lo
	v_cmpx_gt_i32_e64 s8, v0
	s_cbranch_execnz .LBB12_38
.LBB12_29:
	s_or_b32 exec_lo, exec_lo, s0
	s_delay_alu instid0(SALU_CYCLE_1)
	s_mov_b32 s0, exec_lo
	v_cmpx_gt_i32_e64 s8, v0
	s_cbranch_execnz .LBB12_39
.LBB12_30:
	s_or_b32 exec_lo, exec_lo, s0
	s_delay_alu instid0(SALU_CYCLE_1)
	s_mov_b32 s0, exec_lo
	v_cmpx_gt_i32_e64 s8, v0
	s_cbranch_execnz .LBB12_40
.LBB12_31:
	s_endpgm
.LBB12_32:
	v_and_b32_e32 v3, 0x7fffffff, v7
                                        ; implicit-def: $vgpr9
                                        ; implicit-def: $vgpr8
	s_mov_b32 s1, exec_lo
	v_cmpx_ngt_f32_e64 0x48000000, |v7|
	s_xor_b32 s7, exec_lo, s1
	s_cbranch_execz .LBB12_34
; %bb.33:
	s_mov_b32 s0, 0x7fffff
	v_mov_b32_e32 v9, 0
	v_and_or_b32 v8, v3, s0, 0x800000
	s_mov_b64 s[0:1], 0xfe5163ab
	s_delay_alu instid0(VALU_DEP_1) | instid1(SALU_CYCLE_1)
	v_mul_u64_e32 v[10:11], s[0:1], v[8:9]
	s_delay_alu instid0(VALU_DEP_1) | instskip(SKIP_2) | instid1(VALU_DEP_3)
	v_dual_mov_b32 v12, v11 :: v_dual_mov_b32 v13, v9
	v_dual_mov_b32 v15, v9 :: v_dual_mov_b32 v17, v9
	v_dual_mov_b32 v19, v9 :: v_dual_lshrrev_b32 v11, 23, v3
	v_mad_nc_u64_u32 v[12:13], 0x3c439041, v8, v[12:13]
	s_delay_alu instid0(VALU_DEP_1) | instskip(NEXT) | instid1(VALU_DEP_1)
	v_mov_b32_e32 v14, v13
	v_mad_nc_u64_u32 v[14:15], 0xdb629599, v8, v[14:15]
	s_delay_alu instid0(VALU_DEP_1) | instskip(NEXT) | instid1(VALU_DEP_1)
	v_mov_b32_e32 v16, v15
	;; [unrolled: 3-line block ×3, first 2 shown]
	v_mad_nc_u64_u32 v[18:19], 0xfc2757d1, v8, v[18:19]
	s_delay_alu instid0(VALU_DEP_1) | instskip(NEXT) | instid1(VALU_DEP_1)
	v_dual_mov_b32 v21, v9 :: v_dual_mov_b32 v20, v19
	v_mad_nc_u64_u32 v[20:21], 0x4e441529, v8, v[20:21]
	s_delay_alu instid0(VALU_DEP_1) | instskip(NEXT) | instid1(VALU_DEP_1)
	v_dual_mov_b32 v22, v21 :: v_dual_add_nc_u32 v11, 0xffffff88, v11
	v_cmp_lt_u32_e64 s0, 63, v11
	v_mov_b32_e32 v23, v9
	s_delay_alu instid0(VALU_DEP_2) | instskip(NEXT) | instid1(VALU_DEP_2)
	v_cndmask_b32_e64 v13, 0, 0xffffffc0, s0
	v_mad_nc_u64_u32 v[8:9], 0xa2f9836e, v8, v[22:23]
	v_dual_cndmask_b32 v15, v20, v16, s0 :: v_dual_cndmask_b32 v17, v18, v14, s0
	s_delay_alu instid0(VALU_DEP_3) | instskip(SKIP_1) | instid1(VALU_DEP_2)
	v_dual_cndmask_b32 v12, v16, v12, s0 :: v_dual_add_nc_u32 v11, v13, v11
	v_cndmask_b32_e64 v10, v14, v10, s0
	v_cmp_lt_u32_e64 s1, 31, v11
	v_dual_cndmask_b32 v8, v8, v18, s0 :: v_dual_cndmask_b32 v9, v9, v20, s0
	s_delay_alu instid0(VALU_DEP_2) | instskip(NEXT) | instid1(VALU_DEP_4)
	v_cndmask_b32_e64 v13, 0, 0xffffffe0, s1
	v_dual_cndmask_b32 v16, v17, v12, s1 :: v_dual_cndmask_b32 v10, v12, v10, s1
	s_delay_alu instid0(VALU_DEP_2) | instskip(NEXT) | instid1(VALU_DEP_1)
	v_add_nc_u32_e32 v11, v13, v11
	v_cmp_lt_u32_e64 s2, 31, v11
	s_delay_alu instid0(VALU_DEP_1) | instskip(NEXT) | instid1(VALU_DEP_1)
	v_cndmask_b32_e64 v13, 0, 0xffffffe0, s2
	v_dual_cndmask_b32 v10, v16, v10, s2 :: v_dual_add_nc_u32 v11, v13, v11
	v_dual_cndmask_b32 v13, v8, v15, s1 :: v_dual_cndmask_b32 v8, v9, v8, s1
	s_delay_alu instid0(VALU_DEP_2) | instskip(SKIP_1) | instid1(VALU_DEP_3)
	v_dual_cndmask_b32 v9, v15, v17, s1 :: v_dual_sub_nc_u32 v15, 32, v11
	v_cmp_eq_u32_e64 s0, 0, v11
	v_cndmask_b32_e64 v8, v8, v13, s2
	s_delay_alu instid0(VALU_DEP_3) | instskip(SKIP_1) | instid1(VALU_DEP_2)
	v_cndmask_b32_e64 v13, v13, v9, s2
	v_cndmask_b32_e64 v9, v9, v16, s2
	v_alignbit_b32 v17, v8, v13, v15
	s_delay_alu instid0(VALU_DEP_2) | instskip(SKIP_1) | instid1(VALU_DEP_2)
	v_alignbit_b32 v14, v13, v9, v15
	v_alignbit_b32 v15, v9, v10, v15
	v_dual_cndmask_b32 v8, v17, v8, s0 :: v_dual_cndmask_b32 v11, v14, v13, s0
	s_delay_alu instid0(VALU_DEP_2) | instskip(NEXT) | instid1(VALU_DEP_2)
	v_cndmask_b32_e64 v9, v15, v9, s0
	v_bfe_u32 v12, v8, 29, 1
	s_delay_alu instid0(VALU_DEP_3) | instskip(NEXT) | instid1(VALU_DEP_3)
	v_alignbit_b32 v13, v8, v11, 30
	v_alignbit_b32 v11, v11, v9, 30
	;; [unrolled: 1-line block ×3, first 2 shown]
	s_delay_alu instid0(VALU_DEP_4) | instskip(NEXT) | instid1(VALU_DEP_1)
	v_sub_nc_u32_e32 v14, 0, v12
	v_xor_b32_e32 v13, v13, v14
	s_delay_alu instid0(VALU_DEP_4) | instskip(NEXT) | instid1(VALU_DEP_4)
	v_xor_b32_e32 v10, v11, v14
	v_dual_lshrrev_b32 v14, 29, v8 :: v_dual_bitop2_b32 v9, v9, v14 bitop3:0x14
	s_delay_alu instid0(VALU_DEP_3) | instskip(NEXT) | instid1(VALU_DEP_1)
	v_clz_i32_u32_e32 v15, v13
	v_min_u32_e32 v15, 32, v15
	s_delay_alu instid0(VALU_DEP_1) | instskip(NEXT) | instid1(VALU_DEP_1)
	v_dual_sub_nc_u32 v11, 31, v15 :: v_dual_lshlrev_b32 v16, 23, v15
	v_alignbit_b32 v13, v13, v10, v11
	v_alignbit_b32 v9, v10, v9, v11
	v_lshlrev_b32_e32 v10, 31, v14
	s_delay_alu instid0(VALU_DEP_2) | instskip(NEXT) | instid1(VALU_DEP_2)
	v_alignbit_b32 v11, v13, v9, 9
	v_dual_lshrrev_b32 v13, 9, v13 :: v_dual_bitop2_b32 v14, 0.5, v10 bitop3:0x54
	v_or_b32_e32 v10, 0x33000000, v10
	s_delay_alu instid0(VALU_DEP_3) | instskip(NEXT) | instid1(VALU_DEP_3)
	v_clz_i32_u32_e32 v17, v11
	v_sub_nc_u32_e32 v14, v14, v16
	s_delay_alu instid0(VALU_DEP_2) | instskip(NEXT) | instid1(VALU_DEP_1)
	v_min_u32_e32 v16, 32, v17
	v_add_lshl_u32 v15, v16, v15, 23
	s_delay_alu instid0(VALU_DEP_3) | instskip(SKIP_1) | instid1(VALU_DEP_2)
	v_or_b32_e32 v13, v13, v14
	v_not_b32_e32 v14, v16
	v_dual_mul_f32 v17, 0x3fc90fda, v13 :: v_dual_sub_nc_u32 v10, v10, v15
	s_delay_alu instid0(VALU_DEP_2) | instskip(NEXT) | instid1(VALU_DEP_2)
	v_alignbit_b32 v9, v11, v9, v14
	v_fma_f32 v11, 0x3fc90fda, v13, -v17
	s_delay_alu instid0(VALU_DEP_2) | instskip(NEXT) | instid1(VALU_DEP_2)
	v_lshrrev_b32_e32 v9, 9, v9
	v_fmamk_f32 v11, v13, 0x33a22168, v11
	s_delay_alu instid0(VALU_DEP_2) | instskip(NEXT) | instid1(VALU_DEP_1)
	v_or_b32_e32 v9, v10, v9
	v_fmac_f32_e32 v11, 0x3fc90fda, v9
	s_delay_alu instid0(VALU_DEP_1) | instskip(NEXT) | instid1(VALU_DEP_1)
	v_dual_add_f32 v8, v17, v11 :: v_dual_lshrrev_b32 v9, 30, v8
	v_add_nc_u32_e32 v9, v12, v9
.LBB12_34:
	s_and_not1_saveexec_b32 s0, s7
; %bb.35:
	v_mul_f32_e64 v8, 0x3f22f983, |v7|
	s_delay_alu instid0(VALU_DEP_1) | instskip(NEXT) | instid1(VALU_DEP_1)
	v_rndne_f32_e32 v9, v8
	v_fma_f32 v8, 0xbfc90fda, v9, |v7|
	s_delay_alu instid0(VALU_DEP_1) | instskip(NEXT) | instid1(VALU_DEP_1)
	v_fmamk_f32 v8, v9, 0xb3a22168, v8
	v_fmamk_f32 v8, v9, 0xa7c234c4, v8
	v_cvt_i32_f32_e32 v9, v9
; %bb.36:
	s_or_b32 exec_lo, exec_lo, s0
	s_delay_alu instid0(VALU_DEP_1) | instskip(SKIP_3) | instid1(VALU_DEP_2)
	v_dual_mul_f32 v10, v8, v8 :: v_dual_bitop2_b32 v13, 1, v9 bitop3:0x40
	s_mov_b32 s0, 0xb94c1982
	s_mov_b32 s1, 0x37d75334
	v_lshlrev_b32_e32 v9, 30, v9
	v_fmaak_f32 v11, s0, v10, 0x3c0881c4
	v_cmp_eq_u32_e64 s0, 0, v13
	v_xor_b32_e32 v3, v3, v7
	s_delay_alu instid0(VALU_DEP_4) | instskip(NEXT) | instid1(VALU_DEP_4)
	v_and_b32_e32 v9, 0x80000000, v9
	v_fmaak_f32 v11, v10, v11, 0xbe2aaa9d
	s_delay_alu instid0(VALU_DEP_1) | instskip(NEXT) | instid1(VALU_DEP_1)
	v_dual_fmaak_f32 v12, s1, v10, 0xbab64f3b :: v_dual_mul_f32 v11, v10, v11
	v_fmaak_f32 v12, v10, v12, 0x3d2aabf7
	s_delay_alu instid0(VALU_DEP_2) | instskip(NEXT) | instid1(VALU_DEP_2)
	v_fmac_f32_e32 v8, v8, v11
	v_fmaak_f32 v12, v10, v12, 0xbf000004
	s_delay_alu instid0(VALU_DEP_1) | instskip(NEXT) | instid1(VALU_DEP_1)
	v_fma_f32 v10, v10, v12, 1.0
	v_cndmask_b32_e64 v8, v10, v8, s0
	v_cmp_class_f32_e64 s0, v7, 0x1f8
	s_delay_alu instid0(VALU_DEP_2) | instskip(NEXT) | instid1(VALU_DEP_1)
	v_xor3_b32 v3, v3, v9, v8
	v_cndmask_b32_e64 v3, 0x7fc00000, v3, s0
	s_or_b32 exec_lo, exec_lo, s6
	s_and_saveexec_b32 s0, vcc_lo
	s_delay_alu instid0(SALU_CYCLE_1)
	s_xor_b32 s0, exec_lo, s0
	s_cbranch_execz .LBB12_28
.LBB12_37:
	v_mov_b32_e32 v0, v5
	global_store_b32 v6, v2, s[4:5] scale_offset
	s_wait_xcnt 0x0
	s_or_b32 exec_lo, exec_lo, s0
	s_delay_alu instid0(SALU_CYCLE_1)
	s_mov_b32 s0, exec_lo
	v_cmpx_gt_i32_e64 s8, v0
	s_cbranch_execz .LBB12_29
.LBB12_38:
	v_add_nc_u32_e32 v2, 0x100, v0
	s_delay_alu instid0(VALU_DEP_1) | instskip(SKIP_3) | instid1(SALU_CYCLE_1)
	v_dual_mov_b32 v0, v2 :: v_dual_add_nc_u32 v5, s3, v0
	global_store_b32 v5, v1, s[4:5] scale_offset
	s_wait_xcnt 0x0
	s_or_b32 exec_lo, exec_lo, s0
	s_mov_b32 s0, exec_lo
	v_cmpx_gt_i32_e64 s8, v0
	s_cbranch_execz .LBB12_30
.LBB12_39:
	v_add_nc_u32_e32 v1, 0x100, v0
	s_delay_alu instid0(VALU_DEP_1) | instskip(SKIP_3) | instid1(SALU_CYCLE_1)
	v_dual_add_nc_u32 v2, s3, v0 :: v_dual_mov_b32 v0, v1
	global_store_b32 v2, v4, s[4:5] scale_offset
	s_wait_xcnt 0x0
	s_or_b32 exec_lo, exec_lo, s0
	s_mov_b32 s0, exec_lo
	v_cmpx_gt_i32_e64 s8, v0
	s_cbranch_execz .LBB12_31
.LBB12_40:
	v_add_nc_u32_e32 v0, s3, v0
	global_store_b32 v0, v3, s[4:5] scale_offset
	s_endpgm
	.section	.rodata,"a",@progbits
	.p2align	6, 0x0
	.amdhsa_kernel _ZN2at6native27unrolled_elementwise_kernelIZZZNS0_15sin_kernel_cudaERNS_18TensorIteratorBaseEENKUlvE0_clEvENKUlvE0_clEvEUlfE_St5arrayIPcLm2EELi4E23TrivialOffsetCalculatorILi1EjESB_NS0_6memory15LoadWithoutCastENSC_16StoreWithoutCastEEEviT_T0_T2_T3_T4_T5_
		.amdhsa_group_segment_fixed_size 0
		.amdhsa_private_segment_fixed_size 0
		.amdhsa_kernarg_size 28
		.amdhsa_user_sgpr_count 2
		.amdhsa_user_sgpr_dispatch_ptr 0
		.amdhsa_user_sgpr_queue_ptr 0
		.amdhsa_user_sgpr_kernarg_segment_ptr 1
		.amdhsa_user_sgpr_dispatch_id 0
		.amdhsa_user_sgpr_kernarg_preload_length 0
		.amdhsa_user_sgpr_kernarg_preload_offset 0
		.amdhsa_user_sgpr_private_segment_size 0
		.amdhsa_wavefront_size32 1
		.amdhsa_uses_dynamic_stack 0
		.amdhsa_enable_private_segment 0
		.amdhsa_system_sgpr_workgroup_id_x 1
		.amdhsa_system_sgpr_workgroup_id_y 0
		.amdhsa_system_sgpr_workgroup_id_z 0
		.amdhsa_system_sgpr_workgroup_info 0
		.amdhsa_system_vgpr_workitem_id 0
		.amdhsa_next_free_vgpr 26
		.amdhsa_next_free_sgpr 9
		.amdhsa_named_barrier_count 0
		.amdhsa_reserve_vcc 1
		.amdhsa_float_round_mode_32 0
		.amdhsa_float_round_mode_16_64 0
		.amdhsa_float_denorm_mode_32 3
		.amdhsa_float_denorm_mode_16_64 3
		.amdhsa_fp16_overflow 0
		.amdhsa_memory_ordered 1
		.amdhsa_forward_progress 1
		.amdhsa_inst_pref_size 38
		.amdhsa_round_robin_scheduling 0
		.amdhsa_exception_fp_ieee_invalid_op 0
		.amdhsa_exception_fp_denorm_src 0
		.amdhsa_exception_fp_ieee_div_zero 0
		.amdhsa_exception_fp_ieee_overflow 0
		.amdhsa_exception_fp_ieee_underflow 0
		.amdhsa_exception_fp_ieee_inexact 0
		.amdhsa_exception_int_div_zero 0
	.end_amdhsa_kernel
	.section	.text._ZN2at6native27unrolled_elementwise_kernelIZZZNS0_15sin_kernel_cudaERNS_18TensorIteratorBaseEENKUlvE0_clEvENKUlvE0_clEvEUlfE_St5arrayIPcLm2EELi4E23TrivialOffsetCalculatorILi1EjESB_NS0_6memory15LoadWithoutCastENSC_16StoreWithoutCastEEEviT_T0_T2_T3_T4_T5_,"axG",@progbits,_ZN2at6native27unrolled_elementwise_kernelIZZZNS0_15sin_kernel_cudaERNS_18TensorIteratorBaseEENKUlvE0_clEvENKUlvE0_clEvEUlfE_St5arrayIPcLm2EELi4E23TrivialOffsetCalculatorILi1EjESB_NS0_6memory15LoadWithoutCastENSC_16StoreWithoutCastEEEviT_T0_T2_T3_T4_T5_,comdat
.Lfunc_end12:
	.size	_ZN2at6native27unrolled_elementwise_kernelIZZZNS0_15sin_kernel_cudaERNS_18TensorIteratorBaseEENKUlvE0_clEvENKUlvE0_clEvEUlfE_St5arrayIPcLm2EELi4E23TrivialOffsetCalculatorILi1EjESB_NS0_6memory15LoadWithoutCastENSC_16StoreWithoutCastEEEviT_T0_T2_T3_T4_T5_, .Lfunc_end12-_ZN2at6native27unrolled_elementwise_kernelIZZZNS0_15sin_kernel_cudaERNS_18TensorIteratorBaseEENKUlvE0_clEvENKUlvE0_clEvEUlfE_St5arrayIPcLm2EELi4E23TrivialOffsetCalculatorILi1EjESB_NS0_6memory15LoadWithoutCastENSC_16StoreWithoutCastEEEviT_T0_T2_T3_T4_T5_
                                        ; -- End function
	.set _ZN2at6native27unrolled_elementwise_kernelIZZZNS0_15sin_kernel_cudaERNS_18TensorIteratorBaseEENKUlvE0_clEvENKUlvE0_clEvEUlfE_St5arrayIPcLm2EELi4E23TrivialOffsetCalculatorILi1EjESB_NS0_6memory15LoadWithoutCastENSC_16StoreWithoutCastEEEviT_T0_T2_T3_T4_T5_.num_vgpr, 26
	.set _ZN2at6native27unrolled_elementwise_kernelIZZZNS0_15sin_kernel_cudaERNS_18TensorIteratorBaseEENKUlvE0_clEvENKUlvE0_clEvEUlfE_St5arrayIPcLm2EELi4E23TrivialOffsetCalculatorILi1EjESB_NS0_6memory15LoadWithoutCastENSC_16StoreWithoutCastEEEviT_T0_T2_T3_T4_T5_.num_agpr, 0
	.set _ZN2at6native27unrolled_elementwise_kernelIZZZNS0_15sin_kernel_cudaERNS_18TensorIteratorBaseEENKUlvE0_clEvENKUlvE0_clEvEUlfE_St5arrayIPcLm2EELi4E23TrivialOffsetCalculatorILi1EjESB_NS0_6memory15LoadWithoutCastENSC_16StoreWithoutCastEEEviT_T0_T2_T3_T4_T5_.numbered_sgpr, 9
	.set _ZN2at6native27unrolled_elementwise_kernelIZZZNS0_15sin_kernel_cudaERNS_18TensorIteratorBaseEENKUlvE0_clEvENKUlvE0_clEvEUlfE_St5arrayIPcLm2EELi4E23TrivialOffsetCalculatorILi1EjESB_NS0_6memory15LoadWithoutCastENSC_16StoreWithoutCastEEEviT_T0_T2_T3_T4_T5_.num_named_barrier, 0
	.set _ZN2at6native27unrolled_elementwise_kernelIZZZNS0_15sin_kernel_cudaERNS_18TensorIteratorBaseEENKUlvE0_clEvENKUlvE0_clEvEUlfE_St5arrayIPcLm2EELi4E23TrivialOffsetCalculatorILi1EjESB_NS0_6memory15LoadWithoutCastENSC_16StoreWithoutCastEEEviT_T0_T2_T3_T4_T5_.private_seg_size, 0
	.set _ZN2at6native27unrolled_elementwise_kernelIZZZNS0_15sin_kernel_cudaERNS_18TensorIteratorBaseEENKUlvE0_clEvENKUlvE0_clEvEUlfE_St5arrayIPcLm2EELi4E23TrivialOffsetCalculatorILi1EjESB_NS0_6memory15LoadWithoutCastENSC_16StoreWithoutCastEEEviT_T0_T2_T3_T4_T5_.uses_vcc, 1
	.set _ZN2at6native27unrolled_elementwise_kernelIZZZNS0_15sin_kernel_cudaERNS_18TensorIteratorBaseEENKUlvE0_clEvENKUlvE0_clEvEUlfE_St5arrayIPcLm2EELi4E23TrivialOffsetCalculatorILi1EjESB_NS0_6memory15LoadWithoutCastENSC_16StoreWithoutCastEEEviT_T0_T2_T3_T4_T5_.uses_flat_scratch, 0
	.set _ZN2at6native27unrolled_elementwise_kernelIZZZNS0_15sin_kernel_cudaERNS_18TensorIteratorBaseEENKUlvE0_clEvENKUlvE0_clEvEUlfE_St5arrayIPcLm2EELi4E23TrivialOffsetCalculatorILi1EjESB_NS0_6memory15LoadWithoutCastENSC_16StoreWithoutCastEEEviT_T0_T2_T3_T4_T5_.has_dyn_sized_stack, 0
	.set _ZN2at6native27unrolled_elementwise_kernelIZZZNS0_15sin_kernel_cudaERNS_18TensorIteratorBaseEENKUlvE0_clEvENKUlvE0_clEvEUlfE_St5arrayIPcLm2EELi4E23TrivialOffsetCalculatorILi1EjESB_NS0_6memory15LoadWithoutCastENSC_16StoreWithoutCastEEEviT_T0_T2_T3_T4_T5_.has_recursion, 0
	.set _ZN2at6native27unrolled_elementwise_kernelIZZZNS0_15sin_kernel_cudaERNS_18TensorIteratorBaseEENKUlvE0_clEvENKUlvE0_clEvEUlfE_St5arrayIPcLm2EELi4E23TrivialOffsetCalculatorILi1EjESB_NS0_6memory15LoadWithoutCastENSC_16StoreWithoutCastEEEviT_T0_T2_T3_T4_T5_.has_indirect_call, 0
	.section	.AMDGPU.csdata,"",@progbits
; Kernel info:
; codeLenInByte = 4804
; TotalNumSgprs: 11
; NumVgprs: 26
; ScratchSize: 0
; MemoryBound: 0
; FloatMode: 240
; IeeeMode: 1
; LDSByteSize: 0 bytes/workgroup (compile time only)
; SGPRBlocks: 0
; VGPRBlocks: 1
; NumSGPRsForWavesPerEU: 11
; NumVGPRsForWavesPerEU: 26
; NamedBarCnt: 0
; Occupancy: 16
; WaveLimiterHint : 0
; COMPUTE_PGM_RSRC2:SCRATCH_EN: 0
; COMPUTE_PGM_RSRC2:USER_SGPR: 2
; COMPUTE_PGM_RSRC2:TRAP_HANDLER: 0
; COMPUTE_PGM_RSRC2:TGID_X_EN: 1
; COMPUTE_PGM_RSRC2:TGID_Y_EN: 0
; COMPUTE_PGM_RSRC2:TGID_Z_EN: 0
; COMPUTE_PGM_RSRC2:TIDIG_COMP_CNT: 0
	.section	.text._ZN2at6native32elementwise_kernel_manual_unrollILi128ELi4EZNS0_22gpu_kernel_impl_nocastIZZZNS0_15sin_kernel_cudaERNS_18TensorIteratorBaseEENKUlvE0_clEvENKUlvE0_clEvEUlfE_EEvS4_RKT_EUlibE_EEviT1_,"axG",@progbits,_ZN2at6native32elementwise_kernel_manual_unrollILi128ELi4EZNS0_22gpu_kernel_impl_nocastIZZZNS0_15sin_kernel_cudaERNS_18TensorIteratorBaseEENKUlvE0_clEvENKUlvE0_clEvEUlfE_EEvS4_RKT_EUlibE_EEviT1_,comdat
	.globl	_ZN2at6native32elementwise_kernel_manual_unrollILi128ELi4EZNS0_22gpu_kernel_impl_nocastIZZZNS0_15sin_kernel_cudaERNS_18TensorIteratorBaseEENKUlvE0_clEvENKUlvE0_clEvEUlfE_EEvS4_RKT_EUlibE_EEviT1_ ; -- Begin function _ZN2at6native32elementwise_kernel_manual_unrollILi128ELi4EZNS0_22gpu_kernel_impl_nocastIZZZNS0_15sin_kernel_cudaERNS_18TensorIteratorBaseEENKUlvE0_clEvENKUlvE0_clEvEUlfE_EEvS4_RKT_EUlibE_EEviT1_
	.p2align	8
	.type	_ZN2at6native32elementwise_kernel_manual_unrollILi128ELi4EZNS0_22gpu_kernel_impl_nocastIZZZNS0_15sin_kernel_cudaERNS_18TensorIteratorBaseEENKUlvE0_clEvENKUlvE0_clEvEUlfE_EEvS4_RKT_EUlibE_EEviT1_,@function
_ZN2at6native32elementwise_kernel_manual_unrollILi128ELi4EZNS0_22gpu_kernel_impl_nocastIZZZNS0_15sin_kernel_cudaERNS_18TensorIteratorBaseEENKUlvE0_clEvENKUlvE0_clEvEUlfE_EEvS4_RKT_EUlibE_EEviT1_: ; @_ZN2at6native32elementwise_kernel_manual_unrollILi128ELi4EZNS0_22gpu_kernel_impl_nocastIZZZNS0_15sin_kernel_cudaERNS_18TensorIteratorBaseEENKUlvE0_clEvENKUlvE0_clEvEUlfE_EEvS4_RKT_EUlibE_EEviT1_
; %bb.0:
	s_clause 0x1
	s_load_b32 s28, s[0:1], 0x8
	s_load_b32 s34, s[0:1], 0x0
	s_bfe_u32 s2, ttmp6, 0x4000c
	s_and_b32 s3, ttmp6, 15
	s_add_co_i32 s2, s2, 1
	s_getreg_b32 s4, hwreg(HW_REG_IB_STS2, 6, 4)
	s_mul_i32 s2, ttmp9, s2
	s_mov_b32 s19, 0
	s_add_co_i32 s3, s3, s2
	s_cmp_eq_u32 s4, 0
	s_cselect_b32 s2, ttmp9, s3
	s_delay_alu instid0(SALU_CYCLE_1) | instskip(SKIP_3) | instid1(VALU_DEP_1)
	v_lshl_or_b32 v0, s2, 9, v0
	s_add_nc_u64 s[2:3], s[0:1], 8
	s_wait_xcnt 0x0
	s_mov_b32 s0, exec_lo
	v_or_b32_e32 v8, 0x180, v0
	s_wait_kmcnt 0x0
	s_add_co_i32 s29, s28, -1
	s_delay_alu instid0(SALU_CYCLE_1)
	s_cmp_gt_u32 s29, 1
	s_cselect_b32 s30, -1, 0
	v_cmpx_le_i32_e64 s34, v8
	s_xor_b32 s31, exec_lo, s0
	s_cbranch_execz .LBB13_7
; %bb.1:
	s_clause 0x3
	s_load_b128 s[8:11], s[2:3], 0x4
	s_load_b64 s[16:17], s[2:3], 0x14
	s_load_b128 s[12:15], s[2:3], 0xc4
	s_load_b128 s[4:7], s[2:3], 0x148
	s_cmp_lg_u32 s28, 0
	s_add_nc_u64 s[22:23], s[2:3], 0xc4
	s_cselect_b32 s36, -1, 0
	s_min_u32 s35, s29, 15
	s_cmp_gt_u32 s28, 1
	s_mov_b32 s21, s19
	s_cselect_b32 s33, -1, 0
	s_wait_kmcnt 0x0
	s_mov_b32 s18, s9
	s_mov_b32 s20, s16
	s_mov_b32 s9, exec_lo
	v_cmpx_gt_i32_e64 s34, v0
	s_cbranch_execz .LBB13_14
; %bb.2:
	s_and_not1_b32 vcc_lo, exec_lo, s30
	s_cbranch_vccnz .LBB13_21
; %bb.3:
	s_and_not1_b32 vcc_lo, exec_lo, s36
	s_cbranch_vccnz .LBB13_89
; %bb.4:
	s_add_co_i32 s1, s35, 1
	s_cmp_eq_u32 s29, 2
	s_cbranch_scc1 .LBB13_91
; %bb.5:
	v_dual_mov_b32 v2, 0 :: v_dual_mov_b32 v3, 0
	v_mov_b32_e32 v1, v0
	s_and_b32 s0, s1, 28
	s_mov_b32 s16, 0
	s_mov_b64 s[24:25], s[2:3]
	s_mov_b64 s[26:27], s[22:23]
.LBB13_6:                               ; =>This Inner Loop Header: Depth=1
	s_clause 0x1
	s_load_b256 s[40:47], s[24:25], 0x4
	s_load_b128 s[56:59], s[24:25], 0x24
	s_load_b256 s[48:55], s[26:27], 0x0
	s_add_co_i32 s16, s16, 4
	s_wait_xcnt 0x0
	s_add_nc_u64 s[24:25], s[24:25], 48
	s_cmp_lg_u32 s0, s16
	s_add_nc_u64 s[26:27], s[26:27], 32
	s_wait_kmcnt 0x0
	v_mul_hi_u32 v4, s41, v1
	s_delay_alu instid0(VALU_DEP_1) | instskip(NEXT) | instid1(VALU_DEP_1)
	v_add_nc_u32_e32 v4, v1, v4
	v_lshrrev_b32_e32 v4, s42, v4
	s_delay_alu instid0(VALU_DEP_1) | instskip(NEXT) | instid1(VALU_DEP_1)
	v_mul_hi_u32 v5, s44, v4
	v_add_nc_u32_e32 v5, v4, v5
	s_delay_alu instid0(VALU_DEP_1) | instskip(NEXT) | instid1(VALU_DEP_1)
	v_lshrrev_b32_e32 v5, s45, v5
	v_mul_hi_u32 v6, s47, v5
	s_delay_alu instid0(VALU_DEP_1) | instskip(SKIP_1) | instid1(VALU_DEP_1)
	v_add_nc_u32_e32 v6, v5, v6
	v_mul_lo_u32 v7, v4, s40
	v_sub_nc_u32_e32 v1, v1, v7
	v_mul_lo_u32 v7, v5, s43
	s_delay_alu instid0(VALU_DEP_4) | instskip(NEXT) | instid1(VALU_DEP_3)
	v_lshrrev_b32_e32 v6, s56, v6
	v_mad_u32 v3, v1, s49, v3
	v_mad_u32 v1, v1, s48, v2
	s_delay_alu instid0(VALU_DEP_4) | instskip(NEXT) | instid1(VALU_DEP_4)
	v_sub_nc_u32_e32 v2, v4, v7
	v_mul_hi_u32 v8, s58, v6
	v_mul_lo_u32 v4, v6, s46
	s_delay_alu instid0(VALU_DEP_3) | instskip(SKIP_1) | instid1(VALU_DEP_4)
	v_mad_u32 v3, v2, s51, v3
	v_mad_u32 v2, v2, s50, v1
	v_add_nc_u32_e32 v7, v6, v8
	s_delay_alu instid0(VALU_DEP_1) | instskip(NEXT) | instid1(VALU_DEP_1)
	v_dual_sub_nc_u32 v4, v5, v4 :: v_dual_lshrrev_b32 v1, s59, v7
	v_mad_u32 v3, v4, s53, v3
	s_delay_alu instid0(VALU_DEP_4) | instskip(NEXT) | instid1(VALU_DEP_3)
	v_mad_u32 v2, v4, s52, v2
	v_mul_lo_u32 v5, v1, s57
	s_delay_alu instid0(VALU_DEP_1) | instskip(NEXT) | instid1(VALU_DEP_1)
	v_sub_nc_u32_e32 v4, v6, v5
	v_mad_u32 v3, v4, s55, v3
	s_delay_alu instid0(VALU_DEP_4)
	v_mad_u32 v2, v4, s54, v2
	s_cbranch_scc1 .LBB13_6
	s_branch .LBB13_92
.LBB13_7:
	s_and_not1_saveexec_b32 s0, s31
	s_cbranch_execz .LBB13_125
.LBB13_8:
	v_cndmask_b32_e64 v6, 0, 1, s30
	s_and_not1_b32 vcc_lo, exec_lo, s30
	s_cbranch_vccnz .LBB13_20
; %bb.9:
	s_cmp_lg_u32 s28, 0
	s_mov_b32 s8, 0
	s_cbranch_scc0 .LBB13_23
; %bb.10:
	s_min_u32 s1, s29, 15
	s_delay_alu instid0(SALU_CYCLE_1)
	s_add_co_i32 s1, s1, 1
	s_cmp_eq_u32 s29, 2
	s_cbranch_scc1 .LBB13_24
; %bb.11:
	v_dual_mov_b32 v2, 0 :: v_dual_mov_b32 v3, 0
	v_mov_b32_e32 v1, v0
	s_and_b32 s0, s1, 28
	s_add_nc_u64 s[4:5], s[2:3], 0xc4
	s_mov_b32 s9, 0
	s_mov_b64 s[6:7], s[2:3]
.LBB13_12:                              ; =>This Inner Loop Header: Depth=1
	s_clause 0x1
	s_load_b256 s[12:19], s[6:7], 0x4
	s_load_b128 s[36:39], s[6:7], 0x24
	s_load_b256 s[20:27], s[4:5], 0x0
	s_add_co_i32 s9, s9, 4
	s_wait_xcnt 0x0
	s_add_nc_u64 s[6:7], s[6:7], 48
	s_cmp_lg_u32 s0, s9
	s_add_nc_u64 s[4:5], s[4:5], 32
	s_wait_kmcnt 0x0
	v_mul_hi_u32 v4, s13, v1
	s_delay_alu instid0(VALU_DEP_1) | instskip(NEXT) | instid1(VALU_DEP_1)
	v_add_nc_u32_e32 v4, v1, v4
	v_lshrrev_b32_e32 v4, s14, v4
	s_delay_alu instid0(VALU_DEP_1) | instskip(NEXT) | instid1(VALU_DEP_1)
	v_mul_hi_u32 v5, s16, v4
	v_add_nc_u32_e32 v5, v4, v5
	s_delay_alu instid0(VALU_DEP_1) | instskip(NEXT) | instid1(VALU_DEP_1)
	v_lshrrev_b32_e32 v5, s17, v5
	v_mul_hi_u32 v7, s19, v5
	s_delay_alu instid0(VALU_DEP_1) | instskip(SKIP_1) | instid1(VALU_DEP_2)
	v_add_nc_u32_e32 v7, v5, v7
	v_mul_lo_u32 v9, v4, s12
	v_lshrrev_b32_e32 v7, s36, v7
	s_delay_alu instid0(VALU_DEP_1) | instskip(NEXT) | instid1(VALU_DEP_3)
	v_mul_hi_u32 v10, s38, v7
	v_sub_nc_u32_e32 v1, v1, v9
	v_mul_lo_u32 v9, v5, s15
	s_delay_alu instid0(VALU_DEP_2) | instskip(SKIP_1) | instid1(VALU_DEP_3)
	v_mad_u32 v3, v1, s21, v3
	v_mad_u32 v1, v1, s20, v2
	v_sub_nc_u32_e32 v2, v4, v9
	v_mul_lo_u32 v4, v7, s18
	v_add_nc_u32_e32 v9, v7, v10
	s_delay_alu instid0(VALU_DEP_3) | instskip(SKIP_1) | instid1(VALU_DEP_3)
	v_mad_u32 v3, v2, s23, v3
	v_mad_u32 v2, v2, s22, v1
	v_dual_sub_nc_u32 v4, v5, v4 :: v_dual_lshrrev_b32 v1, s39, v9
	s_delay_alu instid0(VALU_DEP_1) | instskip(NEXT) | instid1(VALU_DEP_2)
	v_mad_u32 v3, v4, s25, v3
	v_mul_lo_u32 v5, v1, s37
	s_delay_alu instid0(VALU_DEP_4) | instskip(NEXT) | instid1(VALU_DEP_2)
	v_mad_u32 v2, v4, s24, v2
	v_sub_nc_u32_e32 v4, v7, v5
	s_delay_alu instid0(VALU_DEP_1) | instskip(NEXT) | instid1(VALU_DEP_3)
	v_mad_u32 v3, v4, s27, v3
	v_mad_u32 v2, v4, s26, v2
	s_cbranch_scc1 .LBB13_12
; %bb.13:
	s_and_b32 s6, s1, 3
	s_mov_b32 s1, 0
	s_cmp_eq_u32 s6, 0
	s_cbranch_scc0 .LBB13_25
	s_branch .LBB13_27
.LBB13_14:
	s_or_b32 exec_lo, exec_lo, s9
	s_delay_alu instid0(SALU_CYCLE_1)
	s_mov_b32 s9, exec_lo
	v_cmpx_gt_i32_e64 s34, v0
	s_cbranch_execz .LBB13_103
.LBB13_15:
	s_and_not1_b32 vcc_lo, exec_lo, s30
	s_cbranch_vccnz .LBB13_22
; %bb.16:
	s_and_not1_b32 vcc_lo, exec_lo, s36
	s_cbranch_vccnz .LBB13_90
; %bb.17:
	s_add_co_i32 s1, s35, 1
	s_cmp_eq_u32 s29, 2
	s_cbranch_scc1 .LBB13_111
; %bb.18:
	v_dual_mov_b32 v2, 0 :: v_dual_mov_b32 v3, 0
	v_mov_b32_e32 v1, v0
	s_and_b32 s0, s1, 28
	s_mov_b32 s16, 0
	s_mov_b64 s[24:25], s[2:3]
	s_mov_b64 s[26:27], s[22:23]
.LBB13_19:                              ; =>This Inner Loop Header: Depth=1
	s_clause 0x1
	s_load_b256 s[40:47], s[24:25], 0x4
	s_load_b128 s[56:59], s[24:25], 0x24
	s_load_b256 s[48:55], s[26:27], 0x0
	s_add_co_i32 s16, s16, 4
	s_wait_xcnt 0x0
	s_add_nc_u64 s[24:25], s[24:25], 48
	s_cmp_eq_u32 s0, s16
	s_add_nc_u64 s[26:27], s[26:27], 32
	s_wait_kmcnt 0x0
	v_mul_hi_u32 v4, s41, v1
	s_delay_alu instid0(VALU_DEP_1) | instskip(NEXT) | instid1(VALU_DEP_1)
	v_add_nc_u32_e32 v4, v1, v4
	v_lshrrev_b32_e32 v4, s42, v4
	s_delay_alu instid0(VALU_DEP_1) | instskip(NEXT) | instid1(VALU_DEP_1)
	v_mul_hi_u32 v5, s44, v4
	v_add_nc_u32_e32 v5, v4, v5
	s_delay_alu instid0(VALU_DEP_1) | instskip(NEXT) | instid1(VALU_DEP_1)
	v_lshrrev_b32_e32 v5, s45, v5
	v_mul_hi_u32 v6, s47, v5
	s_delay_alu instid0(VALU_DEP_1) | instskip(SKIP_1) | instid1(VALU_DEP_1)
	v_add_nc_u32_e32 v6, v5, v6
	v_mul_lo_u32 v7, v4, s40
	v_sub_nc_u32_e32 v1, v1, v7
	v_mul_lo_u32 v7, v5, s43
	s_delay_alu instid0(VALU_DEP_4) | instskip(NEXT) | instid1(VALU_DEP_3)
	v_lshrrev_b32_e32 v6, s56, v6
	v_mad_u32 v3, v1, s49, v3
	v_mad_u32 v1, v1, s48, v2
	s_delay_alu instid0(VALU_DEP_4) | instskip(NEXT) | instid1(VALU_DEP_4)
	v_sub_nc_u32_e32 v2, v4, v7
	v_mul_hi_u32 v8, s58, v6
	v_mul_lo_u32 v4, v6, s46
	s_delay_alu instid0(VALU_DEP_3) | instskip(SKIP_1) | instid1(VALU_DEP_4)
	v_mad_u32 v3, v2, s51, v3
	v_mad_u32 v2, v2, s50, v1
	v_add_nc_u32_e32 v7, v6, v8
	s_delay_alu instid0(VALU_DEP_1) | instskip(NEXT) | instid1(VALU_DEP_1)
	v_dual_sub_nc_u32 v4, v5, v4 :: v_dual_lshrrev_b32 v1, s59, v7
	v_mad_u32 v3, v4, s53, v3
	s_delay_alu instid0(VALU_DEP_4) | instskip(NEXT) | instid1(VALU_DEP_3)
	v_mad_u32 v2, v4, s52, v2
	v_mul_lo_u32 v5, v1, s57
	s_delay_alu instid0(VALU_DEP_1) | instskip(NEXT) | instid1(VALU_DEP_1)
	v_sub_nc_u32_e32 v4, v6, v5
	v_mad_u32 v3, v4, s55, v3
	s_delay_alu instid0(VALU_DEP_4)
	v_mad_u32 v2, v4, s54, v2
	s_cbranch_scc0 .LBB13_19
	s_branch .LBB13_112
.LBB13_20:
	s_mov_b32 s8, -1
                                        ; implicit-def: $vgpr3
	s_branch .LBB13_27
.LBB13_21:
                                        ; implicit-def: $vgpr3
	s_branch .LBB13_96
.LBB13_22:
                                        ; implicit-def: $vgpr3
	s_branch .LBB13_116
.LBB13_23:
	v_dual_mov_b32 v3, 0 :: v_dual_mov_b32 v2, 0
	s_branch .LBB13_27
.LBB13_24:
	v_mov_b64_e32 v[2:3], 0
	v_mov_b32_e32 v1, v0
	s_mov_b32 s0, 0
	s_and_b32 s6, s1, 3
	s_mov_b32 s1, 0
	s_cmp_eq_u32 s6, 0
	s_cbranch_scc1 .LBB13_27
.LBB13_25:
	s_lshl_b32 s4, s0, 3
	s_mov_b32 s5, s1
	s_mul_u64 s[10:11], s[0:1], 12
	s_add_nc_u64 s[4:5], s[2:3], s[4:5]
	s_delay_alu instid0(SALU_CYCLE_1)
	s_add_nc_u64 s[0:1], s[4:5], 0xc4
	s_add_nc_u64 s[4:5], s[2:3], s[10:11]
.LBB13_26:                              ; =>This Inner Loop Header: Depth=1
	s_load_b96 s[12:14], s[4:5], 0x4
	s_load_b64 s[10:11], s[0:1], 0x0
	s_add_co_i32 s6, s6, -1
	s_wait_xcnt 0x0
	s_add_nc_u64 s[4:5], s[4:5], 12
	s_cmp_lg_u32 s6, 0
	s_add_nc_u64 s[0:1], s[0:1], 8
	s_wait_kmcnt 0x0
	v_mul_hi_u32 v4, s13, v1
	s_delay_alu instid0(VALU_DEP_1) | instskip(NEXT) | instid1(VALU_DEP_1)
	v_add_nc_u32_e32 v4, v1, v4
	v_lshrrev_b32_e32 v4, s14, v4
	s_delay_alu instid0(VALU_DEP_1) | instskip(NEXT) | instid1(VALU_DEP_1)
	v_mul_lo_u32 v5, v4, s12
	v_sub_nc_u32_e32 v1, v1, v5
	s_delay_alu instid0(VALU_DEP_1)
	v_mad_u32 v3, v1, s11, v3
	v_mad_u32 v2, v1, s10, v2
	v_mov_b32_e32 v1, v4
	s_cbranch_scc1 .LBB13_26
.LBB13_27:
	s_and_not1_b32 vcc_lo, exec_lo, s8
	s_cbranch_vccnz .LBB13_30
; %bb.28:
	s_clause 0x1
	s_load_b96 s[4:6], s[2:3], 0x4
	s_load_b64 s[0:1], s[2:3], 0xc4
	s_cmp_lt_u32 s28, 2
	s_wait_kmcnt 0x0
	v_mul_hi_u32 v1, s5, v0
	s_delay_alu instid0(VALU_DEP_1) | instskip(NEXT) | instid1(VALU_DEP_1)
	v_add_nc_u32_e32 v1, v0, v1
	v_lshrrev_b32_e32 v1, s6, v1
	s_delay_alu instid0(VALU_DEP_1) | instskip(NEXT) | instid1(VALU_DEP_1)
	v_mul_lo_u32 v2, v1, s4
	v_sub_nc_u32_e32 v2, v0, v2
	s_delay_alu instid0(VALU_DEP_1)
	v_mul_lo_u32 v3, v2, s1
	v_mul_lo_u32 v2, v2, s0
	s_cbranch_scc1 .LBB13_30
; %bb.29:
	s_clause 0x1
	s_load_b96 s[4:6], s[2:3], 0x10
	s_load_b64 s[0:1], s[2:3], 0xcc
	s_wait_kmcnt 0x0
	v_mul_hi_u32 v4, s5, v1
	s_delay_alu instid0(VALU_DEP_1) | instskip(NEXT) | instid1(VALU_DEP_1)
	v_add_nc_u32_e32 v4, v1, v4
	v_lshrrev_b32_e32 v4, s6, v4
	s_delay_alu instid0(VALU_DEP_1) | instskip(NEXT) | instid1(VALU_DEP_1)
	v_mul_lo_u32 v4, v4, s4
	v_sub_nc_u32_e32 v1, v1, v4
	s_delay_alu instid0(VALU_DEP_1)
	v_mad_u32 v2, v1, s0, v2
	v_mad_u32 v3, v1, s1, v3
.LBB13_30:
	v_cmp_ne_u32_e32 vcc_lo, 1, v6
	v_add_nc_u32_e32 v1, 0x80, v0
	s_cbranch_vccnz .LBB13_36
; %bb.31:
	s_cmp_lg_u32 s28, 0
	s_mov_b32 s8, 0
	s_cbranch_scc0 .LBB13_37
; %bb.32:
	s_min_u32 s1, s29, 15
	s_delay_alu instid0(SALU_CYCLE_1)
	s_add_co_i32 s1, s1, 1
	s_cmp_eq_u32 s29, 2
	s_cbranch_scc1 .LBB13_38
; %bb.33:
	v_dual_mov_b32 v4, 0 :: v_dual_mov_b32 v5, 0
	v_mov_b32_e32 v7, v1
	s_and_b32 s0, s1, 28
	s_add_nc_u64 s[4:5], s[2:3], 0xc4
	s_mov_b32 s9, 0
	s_mov_b64 s[6:7], s[2:3]
.LBB13_34:                              ; =>This Inner Loop Header: Depth=1
	s_clause 0x1
	s_load_b256 s[12:19], s[6:7], 0x4
	s_load_b128 s[36:39], s[6:7], 0x24
	s_load_b256 s[20:27], s[4:5], 0x0
	s_add_co_i32 s9, s9, 4
	s_wait_xcnt 0x0
	s_add_nc_u64 s[6:7], s[6:7], 48
	s_cmp_lg_u32 s0, s9
	s_add_nc_u64 s[4:5], s[4:5], 32
	s_wait_kmcnt 0x0
	v_mul_hi_u32 v9, s13, v7
	s_delay_alu instid0(VALU_DEP_1) | instskip(NEXT) | instid1(VALU_DEP_1)
	v_add_nc_u32_e32 v9, v7, v9
	v_lshrrev_b32_e32 v9, s14, v9
	s_delay_alu instid0(VALU_DEP_1) | instskip(NEXT) | instid1(VALU_DEP_1)
	v_mul_hi_u32 v10, s16, v9
	v_add_nc_u32_e32 v10, v9, v10
	s_delay_alu instid0(VALU_DEP_1) | instskip(NEXT) | instid1(VALU_DEP_1)
	v_lshrrev_b32_e32 v10, s17, v10
	v_mul_hi_u32 v11, s19, v10
	s_delay_alu instid0(VALU_DEP_1) | instskip(SKIP_1) | instid1(VALU_DEP_1)
	v_add_nc_u32_e32 v11, v10, v11
	v_mul_lo_u32 v12, v9, s12
	v_sub_nc_u32_e32 v7, v7, v12
	v_mul_lo_u32 v12, v10, s15
	s_delay_alu instid0(VALU_DEP_4) | instskip(NEXT) | instid1(VALU_DEP_3)
	v_lshrrev_b32_e32 v11, s36, v11
	v_mad_u32 v5, v7, s21, v5
	v_mad_u32 v4, v7, s20, v4
	s_delay_alu instid0(VALU_DEP_4) | instskip(NEXT) | instid1(VALU_DEP_4)
	v_sub_nc_u32_e32 v7, v9, v12
	v_mul_hi_u32 v13, s38, v11
	v_mul_lo_u32 v9, v11, s18
	s_delay_alu instid0(VALU_DEP_3) | instskip(SKIP_1) | instid1(VALU_DEP_4)
	v_mad_u32 v5, v7, s23, v5
	v_mad_u32 v4, v7, s22, v4
	v_add_nc_u32_e32 v12, v11, v13
	s_delay_alu instid0(VALU_DEP_1) | instskip(NEXT) | instid1(VALU_DEP_1)
	v_dual_sub_nc_u32 v9, v10, v9 :: v_dual_lshrrev_b32 v7, s39, v12
	v_mad_u32 v5, v9, s25, v5
	s_delay_alu instid0(VALU_DEP_4) | instskip(NEXT) | instid1(VALU_DEP_3)
	v_mad_u32 v4, v9, s24, v4
	v_mul_lo_u32 v10, v7, s37
	s_delay_alu instid0(VALU_DEP_1) | instskip(NEXT) | instid1(VALU_DEP_1)
	v_sub_nc_u32_e32 v9, v11, v10
	v_mad_u32 v5, v9, s27, v5
	s_delay_alu instid0(VALU_DEP_4)
	v_mad_u32 v4, v9, s26, v4
	s_cbranch_scc1 .LBB13_34
; %bb.35:
	s_and_b32 s6, s1, 3
	s_mov_b32 s1, 0
	s_cmp_eq_u32 s6, 0
	s_cbranch_scc0 .LBB13_39
	s_branch .LBB13_41
.LBB13_36:
	s_mov_b32 s8, -1
                                        ; implicit-def: $vgpr5
	s_branch .LBB13_41
.LBB13_37:
	v_dual_mov_b32 v5, 0 :: v_dual_mov_b32 v4, 0
	s_branch .LBB13_41
.LBB13_38:
	v_mov_b64_e32 v[4:5], 0
	v_mov_b32_e32 v7, v1
	s_mov_b32 s0, 0
	s_and_b32 s6, s1, 3
	s_mov_b32 s1, 0
	s_cmp_eq_u32 s6, 0
	s_cbranch_scc1 .LBB13_41
.LBB13_39:
	s_lshl_b32 s4, s0, 3
	s_mov_b32 s5, s1
	s_mul_u64 s[10:11], s[0:1], 12
	s_add_nc_u64 s[4:5], s[2:3], s[4:5]
	s_delay_alu instid0(SALU_CYCLE_1)
	s_add_nc_u64 s[0:1], s[4:5], 0xc4
	s_add_nc_u64 s[4:5], s[2:3], s[10:11]
.LBB13_40:                              ; =>This Inner Loop Header: Depth=1
	s_load_b96 s[12:14], s[4:5], 0x4
	s_load_b64 s[10:11], s[0:1], 0x0
	s_add_co_i32 s6, s6, -1
	s_wait_xcnt 0x0
	s_add_nc_u64 s[4:5], s[4:5], 12
	s_cmp_lg_u32 s6, 0
	s_add_nc_u64 s[0:1], s[0:1], 8
	s_wait_kmcnt 0x0
	v_mul_hi_u32 v9, s13, v7
	s_delay_alu instid0(VALU_DEP_1) | instskip(NEXT) | instid1(VALU_DEP_1)
	v_add_nc_u32_e32 v9, v7, v9
	v_lshrrev_b32_e32 v9, s14, v9
	s_delay_alu instid0(VALU_DEP_1) | instskip(NEXT) | instid1(VALU_DEP_1)
	v_mul_lo_u32 v10, v9, s12
	v_sub_nc_u32_e32 v7, v7, v10
	s_delay_alu instid0(VALU_DEP_1)
	v_mad_u32 v5, v7, s11, v5
	v_mad_u32 v4, v7, s10, v4
	v_mov_b32_e32 v7, v9
	s_cbranch_scc1 .LBB13_40
.LBB13_41:
	s_and_not1_b32 vcc_lo, exec_lo, s8
	s_cbranch_vccnz .LBB13_44
; %bb.42:
	s_clause 0x1
	s_load_b96 s[4:6], s[2:3], 0x4
	s_load_b64 s[0:1], s[2:3], 0xc4
	s_cmp_lt_u32 s28, 2
	s_wait_kmcnt 0x0
	v_mul_hi_u32 v4, s5, v1
	s_delay_alu instid0(VALU_DEP_1) | instskip(NEXT) | instid1(VALU_DEP_1)
	v_add_nc_u32_e32 v4, v1, v4
	v_lshrrev_b32_e32 v7, s6, v4
	s_delay_alu instid0(VALU_DEP_1) | instskip(NEXT) | instid1(VALU_DEP_1)
	v_mul_lo_u32 v4, v7, s4
	v_sub_nc_u32_e32 v1, v1, v4
	s_delay_alu instid0(VALU_DEP_1)
	v_mul_lo_u32 v5, v1, s1
	v_mul_lo_u32 v4, v1, s0
	s_cbranch_scc1 .LBB13_44
; %bb.43:
	s_clause 0x1
	s_load_b96 s[4:6], s[2:3], 0x10
	s_load_b64 s[0:1], s[2:3], 0xcc
	s_wait_kmcnt 0x0
	v_mul_hi_u32 v1, s5, v7
	s_delay_alu instid0(VALU_DEP_1) | instskip(NEXT) | instid1(VALU_DEP_1)
	v_add_nc_u32_e32 v1, v7, v1
	v_lshrrev_b32_e32 v1, s6, v1
	s_delay_alu instid0(VALU_DEP_1) | instskip(NEXT) | instid1(VALU_DEP_1)
	v_mul_lo_u32 v1, v1, s4
	v_sub_nc_u32_e32 v1, v7, v1
	s_delay_alu instid0(VALU_DEP_1)
	v_mad_u32 v4, v1, s0, v4
	v_mad_u32 v5, v1, s1, v5
.LBB13_44:
	v_cmp_ne_u32_e32 vcc_lo, 1, v6
	v_add_nc_u32_e32 v7, 0x100, v0
	s_cbranch_vccnz .LBB13_50
; %bb.45:
	s_cmp_lg_u32 s28, 0
	s_mov_b32 s8, 0
	s_cbranch_scc0 .LBB13_51
; %bb.46:
	s_min_u32 s1, s29, 15
	s_delay_alu instid0(SALU_CYCLE_1)
	s_add_co_i32 s1, s1, 1
	s_cmp_eq_u32 s29, 2
	s_cbranch_scc1 .LBB13_52
; %bb.47:
	v_dual_mov_b32 v0, 0 :: v_dual_mov_b32 v1, 0
	v_mov_b32_e32 v9, v7
	s_and_b32 s0, s1, 28
	s_add_nc_u64 s[4:5], s[2:3], 0xc4
	s_mov_b32 s9, 0
	s_mov_b64 s[6:7], s[2:3]
.LBB13_48:                              ; =>This Inner Loop Header: Depth=1
	s_clause 0x1
	s_load_b256 s[12:19], s[6:7], 0x4
	s_load_b128 s[36:39], s[6:7], 0x24
	s_load_b256 s[20:27], s[4:5], 0x0
	s_add_co_i32 s9, s9, 4
	s_wait_xcnt 0x0
	s_add_nc_u64 s[6:7], s[6:7], 48
	s_cmp_lg_u32 s0, s9
	s_add_nc_u64 s[4:5], s[4:5], 32
	s_wait_kmcnt 0x0
	v_mul_hi_u32 v10, s13, v9
	s_delay_alu instid0(VALU_DEP_1) | instskip(NEXT) | instid1(VALU_DEP_1)
	v_add_nc_u32_e32 v10, v9, v10
	v_lshrrev_b32_e32 v10, s14, v10
	s_delay_alu instid0(VALU_DEP_1) | instskip(NEXT) | instid1(VALU_DEP_1)
	v_mul_hi_u32 v11, s16, v10
	v_add_nc_u32_e32 v11, v10, v11
	s_delay_alu instid0(VALU_DEP_1) | instskip(NEXT) | instid1(VALU_DEP_1)
	v_lshrrev_b32_e32 v11, s17, v11
	v_mul_hi_u32 v12, s19, v11
	s_delay_alu instid0(VALU_DEP_1) | instskip(SKIP_1) | instid1(VALU_DEP_1)
	v_add_nc_u32_e32 v12, v11, v12
	v_mul_lo_u32 v13, v10, s12
	v_sub_nc_u32_e32 v9, v9, v13
	v_mul_lo_u32 v13, v11, s15
	s_delay_alu instid0(VALU_DEP_4) | instskip(NEXT) | instid1(VALU_DEP_3)
	v_lshrrev_b32_e32 v12, s36, v12
	v_mad_u32 v1, v9, s21, v1
	v_mad_u32 v0, v9, s20, v0
	s_delay_alu instid0(VALU_DEP_4) | instskip(NEXT) | instid1(VALU_DEP_4)
	v_sub_nc_u32_e32 v9, v10, v13
	v_mul_hi_u32 v14, s38, v12
	v_mul_lo_u32 v10, v12, s18
	s_delay_alu instid0(VALU_DEP_3) | instskip(SKIP_1) | instid1(VALU_DEP_4)
	v_mad_u32 v1, v9, s23, v1
	v_mad_u32 v0, v9, s22, v0
	v_add_nc_u32_e32 v13, v12, v14
	s_delay_alu instid0(VALU_DEP_1) | instskip(NEXT) | instid1(VALU_DEP_1)
	v_dual_sub_nc_u32 v10, v11, v10 :: v_dual_lshrrev_b32 v9, s39, v13
	v_mad_u32 v1, v10, s25, v1
	s_delay_alu instid0(VALU_DEP_4) | instskip(NEXT) | instid1(VALU_DEP_3)
	v_mad_u32 v0, v10, s24, v0
	v_mul_lo_u32 v11, v9, s37
	s_delay_alu instid0(VALU_DEP_1) | instskip(NEXT) | instid1(VALU_DEP_1)
	v_sub_nc_u32_e32 v10, v12, v11
	v_mad_u32 v1, v10, s27, v1
	s_delay_alu instid0(VALU_DEP_4)
	v_mad_u32 v0, v10, s26, v0
	s_cbranch_scc1 .LBB13_48
; %bb.49:
	s_and_b32 s6, s1, 3
	s_mov_b32 s1, 0
	s_cmp_eq_u32 s6, 0
	s_cbranch_scc0 .LBB13_53
	s_branch .LBB13_55
.LBB13_50:
	s_mov_b32 s8, -1
                                        ; implicit-def: $vgpr1
	s_branch .LBB13_55
.LBB13_51:
	v_dual_mov_b32 v1, 0 :: v_dual_mov_b32 v0, 0
	s_branch .LBB13_55
.LBB13_52:
	v_mov_b64_e32 v[0:1], 0
	v_mov_b32_e32 v9, v7
	s_mov_b32 s0, 0
	s_and_b32 s6, s1, 3
	s_mov_b32 s1, 0
	s_cmp_eq_u32 s6, 0
	s_cbranch_scc1 .LBB13_55
.LBB13_53:
	s_lshl_b32 s4, s0, 3
	s_mov_b32 s5, s1
	s_mul_u64 s[10:11], s[0:1], 12
	s_add_nc_u64 s[4:5], s[2:3], s[4:5]
	s_delay_alu instid0(SALU_CYCLE_1)
	s_add_nc_u64 s[0:1], s[4:5], 0xc4
	s_add_nc_u64 s[4:5], s[2:3], s[10:11]
.LBB13_54:                              ; =>This Inner Loop Header: Depth=1
	s_load_b96 s[12:14], s[4:5], 0x4
	s_load_b64 s[10:11], s[0:1], 0x0
	s_add_co_i32 s6, s6, -1
	s_wait_xcnt 0x0
	s_add_nc_u64 s[4:5], s[4:5], 12
	s_cmp_lg_u32 s6, 0
	s_add_nc_u64 s[0:1], s[0:1], 8
	s_wait_kmcnt 0x0
	v_mul_hi_u32 v10, s13, v9
	s_delay_alu instid0(VALU_DEP_1) | instskip(NEXT) | instid1(VALU_DEP_1)
	v_add_nc_u32_e32 v10, v9, v10
	v_lshrrev_b32_e32 v10, s14, v10
	s_delay_alu instid0(VALU_DEP_1) | instskip(NEXT) | instid1(VALU_DEP_1)
	v_mul_lo_u32 v11, v10, s12
	v_sub_nc_u32_e32 v9, v9, v11
	s_delay_alu instid0(VALU_DEP_1)
	v_mad_u32 v1, v9, s11, v1
	v_mad_u32 v0, v9, s10, v0
	v_mov_b32_e32 v9, v10
	s_cbranch_scc1 .LBB13_54
.LBB13_55:
	s_and_not1_b32 vcc_lo, exec_lo, s8
	s_cbranch_vccnz .LBB13_58
; %bb.56:
	s_clause 0x1
	s_load_b96 s[4:6], s[2:3], 0x4
	s_load_b64 s[0:1], s[2:3], 0xc4
	s_cmp_lt_u32 s28, 2
	s_wait_kmcnt 0x0
	v_mul_hi_u32 v0, s5, v7
	s_delay_alu instid0(VALU_DEP_1) | instskip(NEXT) | instid1(VALU_DEP_1)
	v_add_nc_u32_e32 v0, v7, v0
	v_lshrrev_b32_e32 v9, s6, v0
	s_delay_alu instid0(VALU_DEP_1) | instskip(NEXT) | instid1(VALU_DEP_1)
	v_mul_lo_u32 v0, v9, s4
	v_sub_nc_u32_e32 v0, v7, v0
	s_delay_alu instid0(VALU_DEP_1)
	v_mul_lo_u32 v1, v0, s1
	v_mul_lo_u32 v0, v0, s0
	s_cbranch_scc1 .LBB13_58
; %bb.57:
	s_clause 0x1
	s_load_b96 s[4:6], s[2:3], 0x10
	s_load_b64 s[0:1], s[2:3], 0xcc
	s_wait_kmcnt 0x0
	v_mul_hi_u32 v7, s5, v9
	s_delay_alu instid0(VALU_DEP_1) | instskip(NEXT) | instid1(VALU_DEP_1)
	v_add_nc_u32_e32 v7, v9, v7
	v_lshrrev_b32_e32 v7, s6, v7
	s_delay_alu instid0(VALU_DEP_1) | instskip(NEXT) | instid1(VALU_DEP_1)
	v_mul_lo_u32 v7, v7, s4
	v_sub_nc_u32_e32 v7, v9, v7
	s_delay_alu instid0(VALU_DEP_1)
	v_mad_u32 v0, v7, s0, v0
	v_mad_u32 v1, v7, s1, v1
.LBB13_58:
	v_cmp_ne_u32_e32 vcc_lo, 1, v6
	s_cbranch_vccnz .LBB13_64
; %bb.59:
	s_cmp_lg_u32 s28, 0
	s_mov_b32 s8, 0
	s_cbranch_scc0 .LBB13_65
; %bb.60:
	s_min_u32 s1, s29, 15
	s_delay_alu instid0(SALU_CYCLE_1)
	s_add_co_i32 s1, s1, 1
	s_cmp_eq_u32 s29, 2
	s_cbranch_scc1 .LBB13_66
; %bb.61:
	v_dual_mov_b32 v6, 0 :: v_dual_mov_b32 v7, 0
	v_mov_b32_e32 v9, v8
	s_and_b32 s0, s1, 28
	s_add_nc_u64 s[4:5], s[2:3], 0xc4
	s_mov_b32 s9, 0
	s_mov_b64 s[6:7], s[2:3]
.LBB13_62:                              ; =>This Inner Loop Header: Depth=1
	s_clause 0x1
	s_load_b256 s[12:19], s[6:7], 0x4
	s_load_b128 s[36:39], s[6:7], 0x24
	s_load_b256 s[20:27], s[4:5], 0x0
	s_add_co_i32 s9, s9, 4
	s_wait_xcnt 0x0
	s_add_nc_u64 s[6:7], s[6:7], 48
	s_cmp_lg_u32 s0, s9
	s_add_nc_u64 s[4:5], s[4:5], 32
	s_wait_kmcnt 0x0
	v_mul_hi_u32 v10, s13, v9
	s_delay_alu instid0(VALU_DEP_1) | instskip(NEXT) | instid1(VALU_DEP_1)
	v_add_nc_u32_e32 v10, v9, v10
	v_lshrrev_b32_e32 v10, s14, v10
	s_delay_alu instid0(VALU_DEP_1) | instskip(NEXT) | instid1(VALU_DEP_1)
	v_mul_hi_u32 v11, s16, v10
	v_add_nc_u32_e32 v11, v10, v11
	s_delay_alu instid0(VALU_DEP_1) | instskip(NEXT) | instid1(VALU_DEP_1)
	v_lshrrev_b32_e32 v11, s17, v11
	v_mul_hi_u32 v12, s19, v11
	s_delay_alu instid0(VALU_DEP_1) | instskip(SKIP_1) | instid1(VALU_DEP_1)
	v_add_nc_u32_e32 v12, v11, v12
	v_mul_lo_u32 v13, v10, s12
	v_sub_nc_u32_e32 v9, v9, v13
	v_mul_lo_u32 v13, v11, s15
	s_delay_alu instid0(VALU_DEP_4) | instskip(NEXT) | instid1(VALU_DEP_3)
	v_lshrrev_b32_e32 v12, s36, v12
	v_mad_u32 v7, v9, s21, v7
	v_mad_u32 v6, v9, s20, v6
	s_delay_alu instid0(VALU_DEP_4) | instskip(NEXT) | instid1(VALU_DEP_4)
	v_sub_nc_u32_e32 v9, v10, v13
	v_mul_hi_u32 v14, s38, v12
	v_mul_lo_u32 v10, v12, s18
	s_delay_alu instid0(VALU_DEP_3) | instskip(SKIP_1) | instid1(VALU_DEP_4)
	v_mad_u32 v7, v9, s23, v7
	v_mad_u32 v6, v9, s22, v6
	v_add_nc_u32_e32 v13, v12, v14
	s_delay_alu instid0(VALU_DEP_1) | instskip(NEXT) | instid1(VALU_DEP_1)
	v_dual_sub_nc_u32 v10, v11, v10 :: v_dual_lshrrev_b32 v9, s39, v13
	v_mad_u32 v7, v10, s25, v7
	s_delay_alu instid0(VALU_DEP_4) | instskip(NEXT) | instid1(VALU_DEP_3)
	v_mad_u32 v6, v10, s24, v6
	v_mul_lo_u32 v11, v9, s37
	s_delay_alu instid0(VALU_DEP_1) | instskip(NEXT) | instid1(VALU_DEP_1)
	v_sub_nc_u32_e32 v10, v12, v11
	v_mad_u32 v7, v10, s27, v7
	s_delay_alu instid0(VALU_DEP_4)
	v_mad_u32 v6, v10, s26, v6
	s_cbranch_scc1 .LBB13_62
; %bb.63:
	s_and_b32 s6, s1, 3
	s_mov_b32 s1, 0
	s_cmp_eq_u32 s6, 0
	s_cbranch_scc0 .LBB13_67
	s_branch .LBB13_69
.LBB13_64:
	s_mov_b32 s8, -1
                                        ; implicit-def: $vgpr7
	s_branch .LBB13_69
.LBB13_65:
	v_dual_mov_b32 v7, 0 :: v_dual_mov_b32 v6, 0
	s_branch .LBB13_69
.LBB13_66:
	v_mov_b64_e32 v[6:7], 0
	v_mov_b32_e32 v9, v8
	s_mov_b32 s0, 0
	s_and_b32 s6, s1, 3
	s_mov_b32 s1, 0
	s_cmp_eq_u32 s6, 0
	s_cbranch_scc1 .LBB13_69
.LBB13_67:
	s_lshl_b32 s4, s0, 3
	s_mov_b32 s5, s1
	s_mul_u64 s[10:11], s[0:1], 12
	s_add_nc_u64 s[4:5], s[2:3], s[4:5]
	s_delay_alu instid0(SALU_CYCLE_1)
	s_add_nc_u64 s[0:1], s[4:5], 0xc4
	s_add_nc_u64 s[4:5], s[2:3], s[10:11]
.LBB13_68:                              ; =>This Inner Loop Header: Depth=1
	s_load_b96 s[12:14], s[4:5], 0x4
	s_load_b64 s[10:11], s[0:1], 0x0
	s_add_co_i32 s6, s6, -1
	s_wait_xcnt 0x0
	s_add_nc_u64 s[4:5], s[4:5], 12
	s_cmp_lg_u32 s6, 0
	s_add_nc_u64 s[0:1], s[0:1], 8
	s_wait_kmcnt 0x0
	v_mul_hi_u32 v10, s13, v9
	s_delay_alu instid0(VALU_DEP_1) | instskip(NEXT) | instid1(VALU_DEP_1)
	v_add_nc_u32_e32 v10, v9, v10
	v_lshrrev_b32_e32 v10, s14, v10
	s_delay_alu instid0(VALU_DEP_1) | instskip(NEXT) | instid1(VALU_DEP_1)
	v_mul_lo_u32 v11, v10, s12
	v_sub_nc_u32_e32 v9, v9, v11
	s_delay_alu instid0(VALU_DEP_1)
	v_mad_u32 v7, v9, s11, v7
	v_mad_u32 v6, v9, s10, v6
	v_mov_b32_e32 v9, v10
	s_cbranch_scc1 .LBB13_68
.LBB13_69:
	s_and_not1_b32 vcc_lo, exec_lo, s8
	s_cbranch_vccnz .LBB13_72
; %bb.70:
	s_clause 0x1
	s_load_b96 s[4:6], s[2:3], 0x4
	s_load_b64 s[0:1], s[2:3], 0xc4
	s_cmp_lt_u32 s28, 2
	s_wait_kmcnt 0x0
	v_mul_hi_u32 v6, s5, v8
	s_delay_alu instid0(VALU_DEP_1) | instskip(NEXT) | instid1(VALU_DEP_1)
	v_add_nc_u32_e32 v6, v8, v6
	v_lshrrev_b32_e32 v9, s6, v6
	s_delay_alu instid0(VALU_DEP_1) | instskip(NEXT) | instid1(VALU_DEP_1)
	v_mul_lo_u32 v6, v9, s4
	v_sub_nc_u32_e32 v6, v8, v6
	s_delay_alu instid0(VALU_DEP_1)
	v_mul_lo_u32 v7, v6, s1
	v_mul_lo_u32 v6, v6, s0
	s_cbranch_scc1 .LBB13_72
; %bb.71:
	s_clause 0x1
	s_load_b96 s[4:6], s[2:3], 0x10
	s_load_b64 s[0:1], s[2:3], 0xcc
	s_wait_kmcnt 0x0
	v_mul_hi_u32 v8, s5, v9
	s_delay_alu instid0(VALU_DEP_1) | instskip(NEXT) | instid1(VALU_DEP_1)
	v_add_nc_u32_e32 v8, v9, v8
	v_lshrrev_b32_e32 v8, s6, v8
	s_delay_alu instid0(VALU_DEP_1) | instskip(NEXT) | instid1(VALU_DEP_1)
	v_mul_lo_u32 v8, v8, s4
	v_sub_nc_u32_e32 v8, v9, v8
	s_delay_alu instid0(VALU_DEP_1)
	v_mad_u32 v6, v8, s0, v6
	v_mad_u32 v7, v8, s1, v7
.LBB13_72:
	s_load_b128 s[4:7], s[2:3], 0x148
                                        ; implicit-def: $vgpr10
                                        ; implicit-def: $vgpr9
	s_mov_b32 s1, exec_lo
	s_wait_kmcnt 0x0
	global_load_b32 v3, v3, s[6:7]
	s_wait_loadcnt 0x0
	v_and_b32_e32 v8, 0x7fffffff, v3
	s_wait_xcnt 0x0
	v_cmpx_ngt_f32_e64 0x48000000, |v3|
	s_xor_b32 s2, exec_lo, s1
	s_cbranch_execz .LBB13_74
; %bb.73:
	s_mov_b32 s0, 0x7fffff
	v_mov_b32_e32 v11, 0
	v_and_or_b32 v10, v8, s0, 0x800000
	s_mov_b64 s[0:1], 0xfe5163ab
	v_lshrrev_b32_e32 v9, 23, v8
	s_delay_alu instid0(VALU_DEP_2) | instskip(NEXT) | instid1(VALU_DEP_1)
	v_mul_u64_e32 v[12:13], s[0:1], v[10:11]
	v_dual_mov_b32 v14, v13 :: v_dual_mov_b32 v15, v11
	v_dual_mov_b32 v17, v11 :: v_dual_mov_b32 v19, v11
	;; [unrolled: 1-line block ×3, first 2 shown]
	s_delay_alu instid0(VALU_DEP_3) | instskip(NEXT) | instid1(VALU_DEP_1)
	v_mad_nc_u64_u32 v[14:15], 0x3c439041, v10, v[14:15]
	v_mov_b32_e32 v16, v15
	s_delay_alu instid0(VALU_DEP_1) | instskip(NEXT) | instid1(VALU_DEP_1)
	v_mad_nc_u64_u32 v[16:17], 0xdb629599, v10, v[16:17]
	v_mov_b32_e32 v18, v17
	s_delay_alu instid0(VALU_DEP_1) | instskip(NEXT) | instid1(VALU_DEP_1)
	;; [unrolled: 3-line block ×3, first 2 shown]
	v_mad_nc_u64_u32 v[20:21], 0xfc2757d1, v10, v[20:21]
	v_dual_mov_b32 v23, v11 :: v_dual_mov_b32 v22, v21
	s_delay_alu instid0(VALU_DEP_1) | instskip(NEXT) | instid1(VALU_DEP_1)
	v_mad_nc_u64_u32 v[22:23], 0x4e441529, v10, v[22:23]
	v_dual_mov_b32 v24, v23 :: v_dual_add_nc_u32 v9, 0xffffff88, v9
	s_delay_alu instid0(VALU_DEP_1) | instskip(NEXT) | instid1(VALU_DEP_2)
	v_cmp_lt_u32_e32 vcc_lo, 63, v9
	v_mad_nc_u64_u32 v[10:11], 0xa2f9836e, v10, v[24:25]
	v_cndmask_b32_e64 v13, 0, 0xffffffc0, vcc_lo
	v_dual_cndmask_b32 v15, v22, v18 :: v_dual_cndmask_b32 v12, v16, v12
	s_delay_alu instid0(VALU_DEP_2) | instskip(NEXT) | instid1(VALU_DEP_1)
	v_add_nc_u32_e32 v9, v13, v9
	v_cmp_lt_u32_e64 s0, 31, v9
	v_dual_cndmask_b32 v10, v10, v20 :: v_dual_cndmask_b32 v11, v11, v22
	s_delay_alu instid0(VALU_DEP_2) | instskip(NEXT) | instid1(VALU_DEP_1)
	v_cndmask_b32_e64 v13, 0, 0xffffffe0, s0
	v_add_nc_u32_e32 v9, v13, v9
	s_delay_alu instid0(VALU_DEP_1) | instskip(NEXT) | instid1(VALU_DEP_1)
	v_cmp_lt_u32_e64 s1, 31, v9
	v_cndmask_b32_e64 v13, 0, 0xffffffe0, s1
	s_delay_alu instid0(VALU_DEP_1) | instskip(SKIP_2) | instid1(VALU_DEP_3)
	v_dual_cndmask_b32 v17, v20, v16, vcc_lo :: v_dual_add_nc_u32 v9, v13, v9
	v_cndmask_b32_e32 v13, v18, v14, vcc_lo
	v_dual_cndmask_b32 v14, v10, v15, s0 :: v_dual_cndmask_b32 v10, v11, v10, s0
	v_cndmask_b32_e64 v11, v15, v17, s0
	s_delay_alu instid0(VALU_DEP_4) | instskip(NEXT) | instid1(VALU_DEP_4)
	v_sub_nc_u32_e32 v15, 32, v9
	v_cndmask_b32_e64 v17, v17, v13, s0
	v_cmp_eq_u32_e32 vcc_lo, 0, v9
	v_cndmask_b32_e64 v10, v10, v14, s1
	s_delay_alu instid0(VALU_DEP_3) | instskip(NEXT) | instid1(VALU_DEP_1)
	v_dual_cndmask_b32 v14, v14, v11, s1 :: v_dual_cndmask_b32 v11, v11, v17, s1
	v_alignbit_b32 v18, v10, v14, v15
	s_delay_alu instid0(VALU_DEP_2) | instskip(NEXT) | instid1(VALU_DEP_2)
	v_alignbit_b32 v16, v14, v11, v15
	v_dual_cndmask_b32 v9, v18, v10, vcc_lo :: v_dual_cndmask_b32 v10, v13, v12, s0
	s_delay_alu instid0(VALU_DEP_1) | instskip(NEXT) | instid1(VALU_DEP_1)
	v_bfe_u32 v13, v9, 29, 1
	v_dual_cndmask_b32 v12, v16, v14, vcc_lo :: v_dual_sub_nc_u32 v16, 0, v13
	s_delay_alu instid0(VALU_DEP_1) | instskip(NEXT) | instid1(VALU_DEP_1)
	v_alignbit_b32 v14, v9, v12, 30
	v_dual_cndmask_b32 v10, v17, v10, s1 :: v_dual_bitop2_b32 v14, v14, v16 bitop3:0x14
	s_delay_alu instid0(VALU_DEP_1) | instskip(NEXT) | instid1(VALU_DEP_1)
	v_alignbit_b32 v15, v11, v10, v15
	v_cndmask_b32_e32 v11, v15, v11, vcc_lo
	s_delay_alu instid0(VALU_DEP_3) | instskip(NEXT) | instid1(VALU_DEP_2)
	v_clz_i32_u32_e32 v15, v14
	v_alignbit_b32 v10, v11, v10, 30
	s_delay_alu instid0(VALU_DEP_2) | instskip(NEXT) | instid1(VALU_DEP_2)
	v_min_u32_e32 v15, 32, v15
	v_xor_b32_e32 v10, v10, v16
	v_alignbit_b32 v12, v12, v11, 30
	s_delay_alu instid0(VALU_DEP_1) | instskip(SKIP_1) | instid1(VALU_DEP_1)
	v_dual_lshlrev_b32 v17, 23, v15 :: v_dual_bitop2_b32 v11, v12, v16 bitop3:0x14
	v_dual_sub_nc_u32 v12, 31, v15 :: v_dual_lshrrev_b32 v16, 29, v9
	v_alignbit_b32 v14, v14, v11, v12
	v_alignbit_b32 v10, v11, v10, v12
	s_delay_alu instid0(VALU_DEP_3) | instskip(NEXT) | instid1(VALU_DEP_2)
	v_lshlrev_b32_e32 v11, 31, v16
	v_alignbit_b32 v12, v14, v10, 9
	s_delay_alu instid0(VALU_DEP_2) | instskip(NEXT) | instid1(VALU_DEP_2)
	v_dual_lshrrev_b32 v14, 9, v14 :: v_dual_bitop2_b32 v16, 0.5, v11 bitop3:0x54
	v_clz_i32_u32_e32 v18, v12
	s_delay_alu instid0(VALU_DEP_2) | instskip(SKIP_1) | instid1(VALU_DEP_3)
	v_sub_nc_u32_e32 v16, v16, v17
	v_or_b32_e32 v11, 0x33000000, v11
	v_min_u32_e32 v17, 32, v18
	s_delay_alu instid0(VALU_DEP_1) | instskip(NEXT) | instid1(VALU_DEP_4)
	v_add_lshl_u32 v15, v17, v15, 23
	v_or_b32_e32 v14, v14, v16
	v_not_b32_e32 v16, v17
	s_delay_alu instid0(VALU_DEP_2) | instskip(NEXT) | instid1(VALU_DEP_2)
	v_dual_mul_f32 v18, 0x3fc90fda, v14 :: v_dual_sub_nc_u32 v11, v11, v15
	v_alignbit_b32 v10, v12, v10, v16
	s_delay_alu instid0(VALU_DEP_2) | instskip(NEXT) | instid1(VALU_DEP_2)
	v_fma_f32 v12, 0x3fc90fda, v14, -v18
	v_lshrrev_b32_e32 v10, 9, v10
	s_delay_alu instid0(VALU_DEP_2) | instskip(NEXT) | instid1(VALU_DEP_2)
	v_fmamk_f32 v12, v14, 0x33a22168, v12
	v_or_b32_e32 v10, v11, v10
	s_delay_alu instid0(VALU_DEP_1) | instskip(NEXT) | instid1(VALU_DEP_1)
	v_fmac_f32_e32 v12, 0x3fc90fda, v10
	v_dual_add_f32 v9, v18, v12 :: v_dual_lshrrev_b32 v10, 30, v9
	s_delay_alu instid0(VALU_DEP_1)
	v_add_nc_u32_e32 v10, v13, v10
.LBB13_74:
	s_and_not1_saveexec_b32 s0, s2
; %bb.75:
	v_mul_f32_e64 v9, 0x3f22f983, |v3|
	s_delay_alu instid0(VALU_DEP_1) | instskip(NEXT) | instid1(VALU_DEP_1)
	v_rndne_f32_e32 v10, v9
	v_fma_f32 v9, 0xbfc90fda, v10, |v3|
	s_delay_alu instid0(VALU_DEP_1) | instskip(NEXT) | instid1(VALU_DEP_1)
	v_fmamk_f32 v9, v10, 0xb3a22168, v9
	v_fmamk_f32 v9, v10, 0xa7c234c4, v9
	v_cvt_i32_f32_e32 v10, v10
; %bb.76:
	s_or_b32 exec_lo, exec_lo, s0
	global_load_b32 v5, v5, s[6:7]
                                        ; implicit-def: $vgpr13
                                        ; implicit-def: $vgpr12
	s_mov_b32 s1, exec_lo
	s_wait_loadcnt 0x0
	v_and_b32_e32 v11, 0x7fffffff, v5
	s_wait_xcnt 0x0
	v_cmpx_ngt_f32_e64 0x48000000, |v5|
	s_xor_b32 s2, exec_lo, s1
	s_cbranch_execz .LBB13_78
; %bb.77:
	s_mov_b32 s0, 0x7fffff
	v_mov_b32_e32 v13, 0
	v_and_or_b32 v12, v11, s0, 0x800000
	s_mov_b64 s[0:1], 0xfe5163ab
	s_delay_alu instid0(VALU_DEP_1) | instid1(SALU_CYCLE_1)
	v_mul_u64_e32 v[14:15], s[0:1], v[12:13]
	s_delay_alu instid0(VALU_DEP_1) | instskip(SKIP_2) | instid1(VALU_DEP_3)
	v_dual_mov_b32 v16, v15 :: v_dual_mov_b32 v17, v13
	v_dual_mov_b32 v19, v13 :: v_dual_mov_b32 v21, v13
	v_dual_mov_b32 v23, v13 :: v_dual_lshrrev_b32 v15, 23, v11
	v_mad_nc_u64_u32 v[16:17], 0x3c439041, v12, v[16:17]
	s_delay_alu instid0(VALU_DEP_1) | instskip(NEXT) | instid1(VALU_DEP_1)
	v_mov_b32_e32 v18, v17
	v_mad_nc_u64_u32 v[18:19], 0xdb629599, v12, v[18:19]
	s_delay_alu instid0(VALU_DEP_1) | instskip(NEXT) | instid1(VALU_DEP_1)
	v_mov_b32_e32 v20, v19
	;; [unrolled: 3-line block ×3, first 2 shown]
	v_mad_nc_u64_u32 v[22:23], 0xfc2757d1, v12, v[22:23]
	s_delay_alu instid0(VALU_DEP_1) | instskip(NEXT) | instid1(VALU_DEP_1)
	v_dual_mov_b32 v25, v13 :: v_dual_mov_b32 v24, v23
	v_mad_nc_u64_u32 v[24:25], 0x4e441529, v12, v[24:25]
	s_delay_alu instid0(VALU_DEP_1) | instskip(NEXT) | instid1(VALU_DEP_1)
	v_dual_mov_b32 v26, v25 :: v_dual_add_nc_u32 v15, 0xffffff88, v15
	v_cmp_lt_u32_e32 vcc_lo, 63, v15
	v_mov_b32_e32 v27, v13
	v_cndmask_b32_e64 v17, 0, 0xffffffc0, vcc_lo
	s_delay_alu instid0(VALU_DEP_2) | instskip(SKIP_1) | instid1(VALU_DEP_3)
	v_mad_nc_u64_u32 v[12:13], 0xa2f9836e, v12, v[26:27]
	v_dual_cndmask_b32 v19, v24, v20, vcc_lo :: v_dual_cndmask_b32 v21, v22, v18, vcc_lo
	v_dual_cndmask_b32 v16, v20, v16 :: v_dual_add_nc_u32 v15, v17, v15
	v_cndmask_b32_e32 v14, v18, v14, vcc_lo
	s_delay_alu instid0(VALU_DEP_2) | instskip(SKIP_1) | instid1(VALU_DEP_2)
	v_cmp_lt_u32_e64 s0, 31, v15
	v_dual_cndmask_b32 v12, v12, v22 :: v_dual_cndmask_b32 v13, v13, v24
	v_cndmask_b32_e64 v17, 0, 0xffffffe0, s0
	s_delay_alu instid0(VALU_DEP_4) | instskip(NEXT) | instid1(VALU_DEP_2)
	v_dual_cndmask_b32 v20, v21, v16, s0 :: v_dual_cndmask_b32 v14, v16, v14, s0
	v_add_nc_u32_e32 v15, v17, v15
	s_delay_alu instid0(VALU_DEP_1) | instskip(NEXT) | instid1(VALU_DEP_1)
	v_cmp_lt_u32_e64 s1, 31, v15
	v_cndmask_b32_e64 v17, 0, 0xffffffe0, s1
	s_delay_alu instid0(VALU_DEP_1) | instskip(SKIP_1) | instid1(VALU_DEP_2)
	v_dual_cndmask_b32 v14, v20, v14, s1 :: v_dual_add_nc_u32 v15, v17, v15
	v_dual_cndmask_b32 v17, v12, v19, s0 :: v_dual_cndmask_b32 v12, v13, v12, s0
	v_dual_cndmask_b32 v13, v19, v21, s0 :: v_dual_sub_nc_u32 v19, 32, v15
	v_cmp_eq_u32_e32 vcc_lo, 0, v15
	s_delay_alu instid0(VALU_DEP_3) | instskip(NEXT) | instid1(VALU_DEP_3)
	v_cndmask_b32_e64 v12, v12, v17, s1
	v_cndmask_b32_e64 v17, v17, v13, s1
	;; [unrolled: 1-line block ×3, first 2 shown]
	s_delay_alu instid0(VALU_DEP_2) | instskip(NEXT) | instid1(VALU_DEP_2)
	v_alignbit_b32 v21, v12, v17, v19
	v_alignbit_b32 v18, v17, v13, v19
	v_alignbit_b32 v19, v13, v14, v19
	s_delay_alu instid0(VALU_DEP_2) | instskip(NEXT) | instid1(VALU_DEP_2)
	v_dual_cndmask_b32 v12, v21, v12 :: v_dual_cndmask_b32 v15, v18, v17
	v_cndmask_b32_e32 v13, v19, v13, vcc_lo
	s_delay_alu instid0(VALU_DEP_2) | instskip(NEXT) | instid1(VALU_DEP_3)
	v_bfe_u32 v16, v12, 29, 1
	v_alignbit_b32 v17, v12, v15, 30
	s_delay_alu instid0(VALU_DEP_3) | instskip(SKIP_1) | instid1(VALU_DEP_4)
	v_alignbit_b32 v15, v15, v13, 30
	v_alignbit_b32 v13, v13, v14, 30
	v_sub_nc_u32_e32 v18, 0, v16
	s_delay_alu instid0(VALU_DEP_1) | instskip(NEXT) | instid1(VALU_DEP_4)
	v_xor_b32_e32 v17, v17, v18
	v_xor_b32_e32 v14, v15, v18
	s_delay_alu instid0(VALU_DEP_4) | instskip(NEXT) | instid1(VALU_DEP_3)
	v_dual_lshrrev_b32 v18, 29, v12 :: v_dual_bitop2_b32 v13, v13, v18 bitop3:0x14
	v_clz_i32_u32_e32 v19, v17
	s_delay_alu instid0(VALU_DEP_1) | instskip(NEXT) | instid1(VALU_DEP_1)
	v_min_u32_e32 v19, 32, v19
	v_dual_sub_nc_u32 v15, 31, v19 :: v_dual_lshlrev_b32 v20, 23, v19
	s_delay_alu instid0(VALU_DEP_1) | instskip(SKIP_2) | instid1(VALU_DEP_2)
	v_alignbit_b32 v17, v17, v14, v15
	v_alignbit_b32 v13, v14, v13, v15
	v_lshlrev_b32_e32 v14, 31, v18
	v_alignbit_b32 v15, v17, v13, 9
	s_delay_alu instid0(VALU_DEP_2) | instskip(SKIP_1) | instid1(VALU_DEP_3)
	v_dual_lshrrev_b32 v17, 9, v17 :: v_dual_bitop2_b32 v18, 0.5, v14 bitop3:0x54
	v_or_b32_e32 v14, 0x33000000, v14
	v_clz_i32_u32_e32 v21, v15
	s_delay_alu instid0(VALU_DEP_3) | instskip(NEXT) | instid1(VALU_DEP_2)
	v_sub_nc_u32_e32 v18, v18, v20
	v_min_u32_e32 v20, 32, v21
	s_delay_alu instid0(VALU_DEP_1) | instskip(NEXT) | instid1(VALU_DEP_3)
	v_add_lshl_u32 v19, v20, v19, 23
	v_or_b32_e32 v17, v17, v18
	v_not_b32_e32 v18, v20
	s_delay_alu instid0(VALU_DEP_2) | instskip(NEXT) | instid1(VALU_DEP_2)
	v_dual_mul_f32 v21, 0x3fc90fda, v17 :: v_dual_sub_nc_u32 v14, v14, v19
	v_alignbit_b32 v13, v15, v13, v18
	s_delay_alu instid0(VALU_DEP_2) | instskip(NEXT) | instid1(VALU_DEP_2)
	v_fma_f32 v15, 0x3fc90fda, v17, -v21
	v_lshrrev_b32_e32 v13, 9, v13
	s_delay_alu instid0(VALU_DEP_2) | instskip(NEXT) | instid1(VALU_DEP_2)
	v_fmamk_f32 v15, v17, 0x33a22168, v15
	v_or_b32_e32 v13, v14, v13
	s_delay_alu instid0(VALU_DEP_1) | instskip(NEXT) | instid1(VALU_DEP_1)
	v_fmac_f32_e32 v15, 0x3fc90fda, v13
	v_dual_add_f32 v12, v21, v15 :: v_dual_lshrrev_b32 v13, 30, v12
	s_delay_alu instid0(VALU_DEP_1)
	v_add_nc_u32_e32 v13, v16, v13
.LBB13_78:
	s_and_not1_saveexec_b32 s0, s2
; %bb.79:
	v_mul_f32_e64 v12, 0x3f22f983, |v5|
	s_delay_alu instid0(VALU_DEP_1) | instskip(NEXT) | instid1(VALU_DEP_1)
	v_rndne_f32_e32 v13, v12
	v_fma_f32 v12, 0xbfc90fda, v13, |v5|
	s_delay_alu instid0(VALU_DEP_1) | instskip(NEXT) | instid1(VALU_DEP_1)
	v_fmamk_f32 v12, v13, 0xb3a22168, v12
	v_fmamk_f32 v12, v13, 0xa7c234c4, v12
	v_cvt_i32_f32_e32 v13, v13
; %bb.80:
	s_or_b32 exec_lo, exec_lo, s0
	global_load_b32 v1, v1, s[6:7]
                                        ; implicit-def: $vgpr17
                                        ; implicit-def: $vgpr16
	s_mov_b32 s1, exec_lo
	s_wait_loadcnt 0x0
	v_and_b32_e32 v14, 0x7fffffff, v1
	s_wait_xcnt 0x0
	v_cmpx_ngt_f32_e64 0x48000000, |v1|
	s_xor_b32 s2, exec_lo, s1
	s_cbranch_execz .LBB13_82
; %bb.81:
	s_mov_b32 s0, 0x7fffff
	v_mov_b32_e32 v17, 0
	v_and_or_b32 v16, v14, s0, 0x800000
	s_mov_b64 s[0:1], 0xfe5163ab
	v_lshrrev_b32_e32 v15, 23, v14
	s_delay_alu instid0(VALU_DEP_2) | instskip(NEXT) | instid1(VALU_DEP_1)
	v_mul_u64_e32 v[18:19], s[0:1], v[16:17]
	v_dual_mov_b32 v20, v19 :: v_dual_mov_b32 v21, v17
	v_dual_mov_b32 v23, v17 :: v_dual_mov_b32 v25, v17
	;; [unrolled: 1-line block ×3, first 2 shown]
	s_delay_alu instid0(VALU_DEP_3) | instskip(NEXT) | instid1(VALU_DEP_1)
	v_mad_nc_u64_u32 v[20:21], 0x3c439041, v16, v[20:21]
	v_mov_b32_e32 v22, v21
	s_delay_alu instid0(VALU_DEP_1) | instskip(NEXT) | instid1(VALU_DEP_1)
	v_mad_nc_u64_u32 v[22:23], 0xdb629599, v16, v[22:23]
	v_mov_b32_e32 v24, v23
	s_delay_alu instid0(VALU_DEP_1) | instskip(NEXT) | instid1(VALU_DEP_1)
	;; [unrolled: 3-line block ×3, first 2 shown]
	v_mad_nc_u64_u32 v[26:27], 0xfc2757d1, v16, v[26:27]
	v_dual_mov_b32 v29, v17 :: v_dual_mov_b32 v28, v27
	s_delay_alu instid0(VALU_DEP_1) | instskip(NEXT) | instid1(VALU_DEP_1)
	v_mad_nc_u64_u32 v[28:29], 0x4e441529, v16, v[28:29]
	v_dual_mov_b32 v30, v29 :: v_dual_add_nc_u32 v15, 0xffffff88, v15
	s_delay_alu instid0(VALU_DEP_1) | instskip(NEXT) | instid1(VALU_DEP_2)
	v_cmp_lt_u32_e32 vcc_lo, 63, v15
	v_mad_nc_u64_u32 v[16:17], 0xa2f9836e, v16, v[30:31]
	v_cndmask_b32_e64 v19, 0, 0xffffffc0, vcc_lo
	v_dual_cndmask_b32 v21, v28, v24 :: v_dual_cndmask_b32 v18, v22, v18
	s_delay_alu instid0(VALU_DEP_2) | instskip(NEXT) | instid1(VALU_DEP_1)
	v_add_nc_u32_e32 v15, v19, v15
	v_cmp_lt_u32_e64 s0, 31, v15
	v_dual_cndmask_b32 v16, v16, v26 :: v_dual_cndmask_b32 v17, v17, v28
	s_delay_alu instid0(VALU_DEP_2) | instskip(NEXT) | instid1(VALU_DEP_1)
	v_cndmask_b32_e64 v19, 0, 0xffffffe0, s0
	v_add_nc_u32_e32 v15, v19, v15
	s_delay_alu instid0(VALU_DEP_1) | instskip(NEXT) | instid1(VALU_DEP_1)
	v_cmp_lt_u32_e64 s1, 31, v15
	v_cndmask_b32_e64 v19, 0, 0xffffffe0, s1
	s_delay_alu instid0(VALU_DEP_1) | instskip(SKIP_2) | instid1(VALU_DEP_3)
	v_dual_cndmask_b32 v23, v26, v22, vcc_lo :: v_dual_add_nc_u32 v15, v19, v15
	v_cndmask_b32_e32 v19, v24, v20, vcc_lo
	v_dual_cndmask_b32 v20, v16, v21, s0 :: v_dual_cndmask_b32 v16, v17, v16, s0
	v_cndmask_b32_e64 v17, v21, v23, s0
	s_delay_alu instid0(VALU_DEP_4) | instskip(NEXT) | instid1(VALU_DEP_4)
	v_sub_nc_u32_e32 v21, 32, v15
	v_cndmask_b32_e64 v23, v23, v19, s0
	v_cmp_eq_u32_e32 vcc_lo, 0, v15
	v_cndmask_b32_e64 v16, v16, v20, s1
	s_delay_alu instid0(VALU_DEP_3) | instskip(NEXT) | instid1(VALU_DEP_1)
	v_dual_cndmask_b32 v20, v20, v17, s1 :: v_dual_cndmask_b32 v17, v17, v23, s1
	v_alignbit_b32 v24, v16, v20, v21
	s_delay_alu instid0(VALU_DEP_2) | instskip(NEXT) | instid1(VALU_DEP_2)
	v_alignbit_b32 v22, v20, v17, v21
	v_dual_cndmask_b32 v15, v24, v16, vcc_lo :: v_dual_cndmask_b32 v16, v19, v18, s0
	s_delay_alu instid0(VALU_DEP_1) | instskip(NEXT) | instid1(VALU_DEP_1)
	v_bfe_u32 v19, v15, 29, 1
	v_dual_cndmask_b32 v18, v22, v20, vcc_lo :: v_dual_sub_nc_u32 v22, 0, v19
	s_delay_alu instid0(VALU_DEP_1) | instskip(NEXT) | instid1(VALU_DEP_1)
	v_alignbit_b32 v20, v15, v18, 30
	v_dual_cndmask_b32 v16, v23, v16, s1 :: v_dual_bitop2_b32 v20, v20, v22 bitop3:0x14
	s_delay_alu instid0(VALU_DEP_1) | instskip(NEXT) | instid1(VALU_DEP_1)
	v_alignbit_b32 v21, v17, v16, v21
	v_cndmask_b32_e32 v17, v21, v17, vcc_lo
	s_delay_alu instid0(VALU_DEP_3) | instskip(NEXT) | instid1(VALU_DEP_2)
	v_clz_i32_u32_e32 v21, v20
	v_alignbit_b32 v16, v17, v16, 30
	s_delay_alu instid0(VALU_DEP_2) | instskip(NEXT) | instid1(VALU_DEP_2)
	v_min_u32_e32 v21, 32, v21
	v_xor_b32_e32 v16, v16, v22
	v_alignbit_b32 v18, v18, v17, 30
	s_delay_alu instid0(VALU_DEP_1) | instskip(SKIP_2) | instid1(VALU_DEP_2)
	v_dual_lshlrev_b32 v23, 23, v21 :: v_dual_bitop2_b32 v17, v18, v22 bitop3:0x14
	v_dual_sub_nc_u32 v18, 31, v21 :: v_dual_lshrrev_b32 v22, 29, v15
	v_lshrrev_b32_e32 v15, 30, v15
	v_alignbit_b32 v20, v20, v17, v18
	v_alignbit_b32 v16, v17, v16, v18
	s_delay_alu instid0(VALU_DEP_4) | instskip(NEXT) | instid1(VALU_DEP_2)
	v_lshlrev_b32_e32 v17, 31, v22
	v_alignbit_b32 v18, v20, v16, 9
	s_delay_alu instid0(VALU_DEP_2) | instskip(NEXT) | instid1(VALU_DEP_2)
	v_dual_lshrrev_b32 v20, 9, v20 :: v_dual_bitop2_b32 v22, 0.5, v17 bitop3:0x54
	v_clz_i32_u32_e32 v24, v18
	s_delay_alu instid0(VALU_DEP_2) | instskip(SKIP_1) | instid1(VALU_DEP_3)
	v_sub_nc_u32_e32 v22, v22, v23
	v_or_b32_e32 v17, 0x33000000, v17
	v_min_u32_e32 v23, 32, v24
	s_delay_alu instid0(VALU_DEP_1) | instskip(NEXT) | instid1(VALU_DEP_4)
	v_add_lshl_u32 v21, v23, v21, 23
	v_or_b32_e32 v20, v20, v22
	v_not_b32_e32 v22, v23
	s_delay_alu instid0(VALU_DEP_2) | instskip(NEXT) | instid1(VALU_DEP_2)
	v_dual_mul_f32 v24, 0x3fc90fda, v20 :: v_dual_sub_nc_u32 v17, v17, v21
	v_alignbit_b32 v16, v18, v16, v22
	s_delay_alu instid0(VALU_DEP_2) | instskip(NEXT) | instid1(VALU_DEP_2)
	v_fma_f32 v18, 0x3fc90fda, v20, -v24
	v_lshrrev_b32_e32 v16, 9, v16
	s_delay_alu instid0(VALU_DEP_2) | instskip(NEXT) | instid1(VALU_DEP_2)
	v_fmamk_f32 v18, v20, 0x33a22168, v18
	v_dual_add_nc_u32 v17, v19, v15 :: v_dual_bitop2_b32 v16, v17, v16 bitop3:0x54
	s_delay_alu instid0(VALU_DEP_1) | instskip(NEXT) | instid1(VALU_DEP_1)
	v_fmac_f32_e32 v18, 0x3fc90fda, v16
	v_add_f32_e32 v16, v24, v18
.LBB13_82:
	s_and_not1_saveexec_b32 s0, s2
; %bb.83:
	v_mul_f32_e64 v15, 0x3f22f983, |v1|
	s_delay_alu instid0(VALU_DEP_1) | instskip(NEXT) | instid1(VALU_DEP_1)
	v_rndne_f32_e32 v15, v15
	v_fma_f32 v16, 0xbfc90fda, v15, |v1|
	v_cvt_i32_f32_e32 v17, v15
	s_delay_alu instid0(VALU_DEP_2) | instskip(NEXT) | instid1(VALU_DEP_1)
	v_fmamk_f32 v16, v15, 0xb3a22168, v16
	v_fmamk_f32 v16, v15, 0xa7c234c4, v16
; %bb.84:
	s_or_b32 exec_lo, exec_lo, s0
	global_load_b32 v7, v7, s[6:7]
                                        ; implicit-def: $vgpr19
                                        ; implicit-def: $vgpr18
	s_mov_b32 s1, exec_lo
	s_wait_loadcnt 0x0
	v_and_b32_e32 v15, 0x7fffffff, v7
	s_wait_xcnt 0x0
	v_cmpx_ngt_f32_e64 0x48000000, |v7|
	s_xor_b32 s2, exec_lo, s1
	s_cbranch_execz .LBB13_86
; %bb.85:
	s_mov_b32 s0, 0x7fffff
	v_mov_b32_e32 v19, 0
	v_and_or_b32 v18, v15, s0, 0x800000
	s_mov_b64 s[0:1], 0xfe5163ab
	s_delay_alu instid0(VALU_DEP_1) | instid1(SALU_CYCLE_1)
	v_mul_u64_e32 v[20:21], s[0:1], v[18:19]
	s_delay_alu instid0(VALU_DEP_1) | instskip(SKIP_2) | instid1(VALU_DEP_3)
	v_dual_mov_b32 v22, v21 :: v_dual_mov_b32 v23, v19
	v_dual_mov_b32 v25, v19 :: v_dual_mov_b32 v27, v19
	v_dual_mov_b32 v29, v19 :: v_dual_lshrrev_b32 v21, 23, v15
	v_mad_nc_u64_u32 v[22:23], 0x3c439041, v18, v[22:23]
	s_delay_alu instid0(VALU_DEP_1) | instskip(NEXT) | instid1(VALU_DEP_1)
	v_mov_b32_e32 v24, v23
	v_mad_nc_u64_u32 v[24:25], 0xdb629599, v18, v[24:25]
	s_delay_alu instid0(VALU_DEP_1) | instskip(NEXT) | instid1(VALU_DEP_1)
	v_mov_b32_e32 v26, v25
	;; [unrolled: 3-line block ×3, first 2 shown]
	v_mad_nc_u64_u32 v[28:29], 0xfc2757d1, v18, v[28:29]
	s_delay_alu instid0(VALU_DEP_1) | instskip(NEXT) | instid1(VALU_DEP_1)
	v_dual_mov_b32 v31, v19 :: v_dual_mov_b32 v30, v29
	v_mad_nc_u64_u32 v[30:31], 0x4e441529, v18, v[30:31]
	s_delay_alu instid0(VALU_DEP_1) | instskip(NEXT) | instid1(VALU_DEP_1)
	v_dual_mov_b32 v32, v31 :: v_dual_add_nc_u32 v21, 0xffffff88, v21
	v_cmp_lt_u32_e32 vcc_lo, 63, v21
	v_mov_b32_e32 v33, v19
	v_cndmask_b32_e64 v23, 0, 0xffffffc0, vcc_lo
	s_delay_alu instid0(VALU_DEP_2) | instskip(SKIP_1) | instid1(VALU_DEP_3)
	v_mad_nc_u64_u32 v[18:19], 0xa2f9836e, v18, v[32:33]
	v_dual_cndmask_b32 v25, v30, v26, vcc_lo :: v_dual_cndmask_b32 v27, v28, v24, vcc_lo
	v_dual_cndmask_b32 v22, v26, v22 :: v_dual_add_nc_u32 v21, v23, v21
	v_cndmask_b32_e32 v20, v24, v20, vcc_lo
	s_delay_alu instid0(VALU_DEP_2) | instskip(SKIP_1) | instid1(VALU_DEP_2)
	v_cmp_lt_u32_e64 s0, 31, v21
	v_dual_cndmask_b32 v18, v18, v28 :: v_dual_cndmask_b32 v19, v19, v30
	v_cndmask_b32_e64 v23, 0, 0xffffffe0, s0
	s_delay_alu instid0(VALU_DEP_4) | instskip(NEXT) | instid1(VALU_DEP_2)
	v_dual_cndmask_b32 v26, v27, v22, s0 :: v_dual_cndmask_b32 v20, v22, v20, s0
	v_add_nc_u32_e32 v21, v23, v21
	s_delay_alu instid0(VALU_DEP_1) | instskip(NEXT) | instid1(VALU_DEP_1)
	v_cmp_lt_u32_e64 s1, 31, v21
	v_cndmask_b32_e64 v23, 0, 0xffffffe0, s1
	s_delay_alu instid0(VALU_DEP_1) | instskip(SKIP_1) | instid1(VALU_DEP_2)
	v_dual_cndmask_b32 v20, v26, v20, s1 :: v_dual_add_nc_u32 v21, v23, v21
	v_dual_cndmask_b32 v23, v18, v25, s0 :: v_dual_cndmask_b32 v18, v19, v18, s0
	v_dual_cndmask_b32 v19, v25, v27, s0 :: v_dual_sub_nc_u32 v25, 32, v21
	v_cmp_eq_u32_e32 vcc_lo, 0, v21
	s_delay_alu instid0(VALU_DEP_3) | instskip(NEXT) | instid1(VALU_DEP_3)
	v_cndmask_b32_e64 v18, v18, v23, s1
	v_cndmask_b32_e64 v23, v23, v19, s1
	;; [unrolled: 1-line block ×3, first 2 shown]
	s_delay_alu instid0(VALU_DEP_2) | instskip(NEXT) | instid1(VALU_DEP_2)
	v_alignbit_b32 v27, v18, v23, v25
	v_alignbit_b32 v24, v23, v19, v25
	;; [unrolled: 1-line block ×3, first 2 shown]
	s_delay_alu instid0(VALU_DEP_2) | instskip(NEXT) | instid1(VALU_DEP_2)
	v_dual_cndmask_b32 v18, v27, v18 :: v_dual_cndmask_b32 v21, v24, v23
	v_cndmask_b32_e32 v19, v25, v19, vcc_lo
	s_delay_alu instid0(VALU_DEP_2) | instskip(NEXT) | instid1(VALU_DEP_3)
	v_bfe_u32 v22, v18, 29, 1
	v_alignbit_b32 v23, v18, v21, 30
	s_delay_alu instid0(VALU_DEP_3) | instskip(SKIP_1) | instid1(VALU_DEP_4)
	v_alignbit_b32 v21, v21, v19, 30
	v_alignbit_b32 v19, v19, v20, 30
	v_sub_nc_u32_e32 v24, 0, v22
	s_delay_alu instid0(VALU_DEP_1) | instskip(NEXT) | instid1(VALU_DEP_4)
	v_xor_b32_e32 v23, v23, v24
	v_xor_b32_e32 v20, v21, v24
	s_delay_alu instid0(VALU_DEP_4) | instskip(NEXT) | instid1(VALU_DEP_3)
	v_dual_lshrrev_b32 v24, 29, v18 :: v_dual_bitop2_b32 v19, v19, v24 bitop3:0x14
	v_clz_i32_u32_e32 v25, v23
	s_delay_alu instid0(VALU_DEP_1) | instskip(NEXT) | instid1(VALU_DEP_1)
	v_min_u32_e32 v25, 32, v25
	v_dual_sub_nc_u32 v21, 31, v25 :: v_dual_lshlrev_b32 v26, 23, v25
	s_delay_alu instid0(VALU_DEP_1) | instskip(SKIP_2) | instid1(VALU_DEP_2)
	v_alignbit_b32 v23, v23, v20, v21
	v_alignbit_b32 v19, v20, v19, v21
	v_lshlrev_b32_e32 v20, 31, v24
	v_alignbit_b32 v21, v23, v19, 9
	s_delay_alu instid0(VALU_DEP_2) | instskip(SKIP_1) | instid1(VALU_DEP_3)
	v_dual_lshrrev_b32 v23, 9, v23 :: v_dual_bitop2_b32 v24, 0.5, v20 bitop3:0x54
	v_or_b32_e32 v20, 0x33000000, v20
	v_clz_i32_u32_e32 v27, v21
	s_delay_alu instid0(VALU_DEP_3) | instskip(NEXT) | instid1(VALU_DEP_2)
	v_sub_nc_u32_e32 v24, v24, v26
	v_min_u32_e32 v26, 32, v27
	s_delay_alu instid0(VALU_DEP_1) | instskip(NEXT) | instid1(VALU_DEP_3)
	v_add_lshl_u32 v25, v26, v25, 23
	v_or_b32_e32 v23, v23, v24
	v_not_b32_e32 v24, v26
	s_delay_alu instid0(VALU_DEP_2) | instskip(NEXT) | instid1(VALU_DEP_2)
	v_dual_mul_f32 v27, 0x3fc90fda, v23 :: v_dual_sub_nc_u32 v20, v20, v25
	v_alignbit_b32 v19, v21, v19, v24
	s_delay_alu instid0(VALU_DEP_2) | instskip(NEXT) | instid1(VALU_DEP_2)
	v_fma_f32 v21, 0x3fc90fda, v23, -v27
	v_lshrrev_b32_e32 v19, 9, v19
	s_delay_alu instid0(VALU_DEP_2) | instskip(NEXT) | instid1(VALU_DEP_2)
	v_fmamk_f32 v21, v23, 0x33a22168, v21
	v_or_b32_e32 v19, v20, v19
	s_delay_alu instid0(VALU_DEP_1) | instskip(NEXT) | instid1(VALU_DEP_1)
	v_fmac_f32_e32 v21, 0x3fc90fda, v19
	v_dual_add_f32 v18, v27, v21 :: v_dual_lshrrev_b32 v19, 30, v18
	s_delay_alu instid0(VALU_DEP_1)
	v_add_nc_u32_e32 v19, v22, v19
.LBB13_86:
	s_and_not1_saveexec_b32 s0, s2
; %bb.87:
	v_mul_f32_e64 v18, 0x3f22f983, |v7|
	s_delay_alu instid0(VALU_DEP_1) | instskip(NEXT) | instid1(VALU_DEP_1)
	v_rndne_f32_e32 v19, v18
	v_fma_f32 v18, 0xbfc90fda, v19, |v7|
	s_delay_alu instid0(VALU_DEP_1) | instskip(NEXT) | instid1(VALU_DEP_1)
	v_fmamk_f32 v18, v19, 0xb3a22168, v18
	v_fmamk_f32 v18, v19, 0xa7c234c4, v18
	v_cvt_i32_f32_e32 v19, v19
; %bb.88:
	s_or_b32 exec_lo, exec_lo, s0
	v_dual_mul_f32 v20, v16, v16 :: v_dual_bitop2_b32 v21, 1, v17 bitop3:0x40
	s_mov_b32 s0, 0xb94c1982
	s_mov_b32 s1, 0x37d75334
	v_dual_mul_f32 v24, v12, v12 :: v_dual_bitop2_b32 v14, v14, v1 bitop3:0x14
	s_delay_alu instid0(VALU_DEP_2) | instskip(SKIP_1) | instid1(VALU_DEP_3)
	v_dual_fmaak_f32 v22, s0, v20, 0x3c0881c4 :: v_dual_lshlrev_b32 v17, 30, v17
	v_cmp_eq_u32_e32 vcc_lo, 0, v21
	v_dual_fmaak_f32 v26, s0, v24, 0x3c0881c4 :: v_dual_mul_f32 v25, v9, v9
	s_delay_alu instid0(VALU_DEP_3)
	v_fmaak_f32 v22, v20, v22, 0xbe2aaa9d
	v_fmaak_f32 v23, s1, v20, 0xbab64f3b
	v_and_b32_e32 v17, 0x80000000, v17
	v_xor_b32_e32 v11, v11, v5
	v_xor_b32_e32 v8, v8, v3
	v_dual_mul_f32 v22, v20, v22 :: v_dual_fmaak_f32 v27, s1, v24, 0xbab64f3b
	s_delay_alu instid0(VALU_DEP_1) | instskip(SKIP_1) | instid1(VALU_DEP_1)
	v_dual_fmac_f32 v16, v16, v22 :: v_dual_bitop2_b32 v15, v15, v7 bitop3:0x14
	v_fmaak_f32 v23, v20, v23, 0x3d2aabf7
	v_fmaak_f32 v23, v20, v23, 0xbf000004
	s_delay_alu instid0(VALU_DEP_1) | instskip(NEXT) | instid1(VALU_DEP_1)
	v_fma_f32 v20, v20, v23, 1.0
	v_dual_cndmask_b32 v16, v20, v16, vcc_lo :: v_dual_bitop2_b32 v20, 1, v13 bitop3:0x40
	v_lshlrev_b32_e32 v13, 30, v13
	s_delay_alu instid0(VALU_DEP_2)
	v_xor3_b32 v14, v14, v17, v16
	v_mul_f32_e32 v17, v18, v18
	v_fmaak_f32 v26, v24, v26, 0xbe2aaa9d
	v_fmaak_f32 v22, s0, v25, 0x3c0881c4
	;; [unrolled: 1-line block ×4, first 2 shown]
	v_and_b32_e32 v13, 0x80000000, v13
	v_mul_f32_e32 v23, v24, v26
	v_fmaak_f32 v21, v25, v22, 0xbe2aaa9d
	v_fmaak_f32 v16, v25, v16, 0x3d2aabf7
	s_delay_alu instid0(VALU_DEP_3) | instskip(SKIP_1) | instid1(VALU_DEP_4)
	v_fmac_f32_e32 v12, v12, v23
	v_cmp_eq_u32_e32 vcc_lo, 0, v20
	v_mul_f32_e32 v20, v25, v21
	v_fmaak_f32 v26, v24, v27, 0xbf000004
	v_fmaak_f32 v21, s0, v17, 0x3c0881c4
	;; [unrolled: 1-line block ×3, first 2 shown]
	s_delay_alu instid0(VALU_DEP_4) | instskip(NEXT) | instid1(VALU_DEP_4)
	v_fmac_f32_e32 v9, v9, v20
	v_fma_f32 v22, v24, v26, 1.0
	s_delay_alu instid0(VALU_DEP_4) | instskip(NEXT) | instid1(VALU_DEP_4)
	v_fmaak_f32 v20, v17, v21, 0xbe2aaa9d
	v_fma_f32 v16, v25, v16, 1.0
	s_delay_alu instid0(VALU_DEP_3) | instskip(SKIP_1) | instid1(VALU_DEP_1)
	v_cndmask_b32_e32 v12, v22, v12, vcc_lo
	v_fmaak_f32 v22, s1, v17, 0xbab64f3b
	v_dual_mul_f32 v20, v17, v20 :: v_dual_fmaak_f32 v21, v17, v22, 0x3d2aabf7
	s_delay_alu instid0(VALU_DEP_1) | instskip(SKIP_1) | instid1(VALU_DEP_2)
	v_dual_fmac_f32 v18, v18, v20 :: v_dual_bitop2_b32 v22, 1, v10 bitop3:0x40
	v_lshlrev_b32_e32 v10, 30, v10
	v_cmp_eq_u32_e32 vcc_lo, 0, v22
	s_delay_alu instid0(VALU_DEP_2) | instskip(SKIP_2) | instid1(VALU_DEP_2)
	v_and_b32_e32 v10, 0x80000000, v10
	v_dual_cndmask_b32 v9, v16, v9, vcc_lo :: v_dual_bitop2_b32 v16, 1, v19 bitop3:0x40
	v_lshlrev_b32_e32 v19, 30, v19
	v_xor3_b32 v8, v8, v10, v9
	s_delay_alu instid0(VALU_DEP_3) | instskip(SKIP_2) | instid1(VALU_DEP_2)
	v_cmp_eq_u32_e32 vcc_lo, 0, v16
	v_fmaak_f32 v21, v17, v21, 0xbf000004
	v_xor3_b32 v9, v11, v13, v12
	v_fma_f32 v17, v17, v21, 1.0
	s_delay_alu instid0(VALU_DEP_1) | instskip(SKIP_4) | instid1(VALU_DEP_3)
	v_cndmask_b32_e32 v16, v17, v18, vcc_lo
	v_cmp_class_f32_e64 vcc_lo, v1, 0x1f8
	v_and_b32_e32 v17, 0x80000000, v19
	v_cndmask_b32_e32 v1, 0x7fc00000, v14, vcc_lo
	v_cmp_class_f32_e64 vcc_lo, v3, 0x1f8
	v_xor3_b32 v10, v15, v17, v16
	v_cndmask_b32_e32 v3, 0x7fc00000, v8, vcc_lo
	v_cmp_class_f32_e64 vcc_lo, v5, 0x1f8
	v_cndmask_b32_e32 v5, 0x7fc00000, v9, vcc_lo
	v_cmp_class_f32_e64 vcc_lo, v7, 0x1f8
	v_cndmask_b32_e32 v7, 0x7fc00000, v10, vcc_lo
	s_clause 0x3
	global_store_b32 v2, v3, s[4:5]
	global_store_b32 v4, v5, s[4:5]
	;; [unrolled: 1-line block ×4, first 2 shown]
	s_endpgm
.LBB13_89:
	v_dual_mov_b32 v3, 0 :: v_dual_mov_b32 v2, 0
	s_branch .LBB13_95
.LBB13_90:
	v_dual_mov_b32 v3, 0 :: v_dual_mov_b32 v2, 0
	s_branch .LBB13_115
.LBB13_91:
	v_mov_b64_e32 v[2:3], 0
	v_mov_b32_e32 v1, v0
	s_mov_b32 s0, 0
.LBB13_92:
	s_and_b32 s16, s1, 3
	s_mov_b32 s1, 0
	s_cmp_eq_u32 s16, 0
	s_cbranch_scc1 .LBB13_95
; %bb.93:
	s_lshl_b32 s24, s0, 3
	s_mov_b32 s25, s1
	s_mul_u64 s[26:27], s[0:1], 12
	s_add_nc_u64 s[24:25], s[2:3], s[24:25]
	s_delay_alu instid0(SALU_CYCLE_1)
	s_add_nc_u64 s[0:1], s[24:25], 0xc4
	s_add_nc_u64 s[24:25], s[2:3], s[26:27]
.LBB13_94:                              ; =>This Inner Loop Header: Depth=1
	s_load_b96 s[40:42], s[24:25], 0x4
	s_load_b64 s[26:27], s[0:1], 0x0
	s_add_co_i32 s16, s16, -1
	s_wait_xcnt 0x0
	s_add_nc_u64 s[24:25], s[24:25], 12
	s_cmp_lg_u32 s16, 0
	s_add_nc_u64 s[0:1], s[0:1], 8
	s_wait_kmcnt 0x0
	v_mul_hi_u32 v4, s41, v1
	s_delay_alu instid0(VALU_DEP_1) | instskip(NEXT) | instid1(VALU_DEP_1)
	v_add_nc_u32_e32 v4, v1, v4
	v_lshrrev_b32_e32 v4, s42, v4
	s_delay_alu instid0(VALU_DEP_1) | instskip(NEXT) | instid1(VALU_DEP_1)
	v_mul_lo_u32 v5, v4, s40
	v_sub_nc_u32_e32 v1, v1, v5
	s_delay_alu instid0(VALU_DEP_1)
	v_mad_u32 v3, v1, s27, v3
	v_mad_u32 v2, v1, s26, v2
	v_mov_b32_e32 v1, v4
	s_cbranch_scc1 .LBB13_94
.LBB13_95:
	s_cbranch_execnz .LBB13_98
.LBB13_96:
	v_mov_b32_e32 v1, 0
	s_and_not1_b32 vcc_lo, exec_lo, s33
	s_delay_alu instid0(VALU_DEP_1) | instskip(NEXT) | instid1(VALU_DEP_1)
	v_mul_u64_e32 v[2:3], s[18:19], v[0:1]
	v_add_nc_u32_e32 v2, v0, v3
	s_delay_alu instid0(VALU_DEP_1) | instskip(NEXT) | instid1(VALU_DEP_1)
	v_lshrrev_b32_e32 v4, s10, v2
	v_mul_lo_u32 v2, v4, s8
	s_delay_alu instid0(VALU_DEP_1) | instskip(NEXT) | instid1(VALU_DEP_1)
	v_sub_nc_u32_e32 v2, v0, v2
	v_mul_lo_u32 v3, v2, s13
	v_mul_lo_u32 v2, v2, s12
	s_cbranch_vccnz .LBB13_98
; %bb.97:
	v_mov_b32_e32 v5, v1
	s_delay_alu instid0(VALU_DEP_1) | instskip(NEXT) | instid1(VALU_DEP_1)
	v_mul_u64_e32 v[6:7], s[20:21], v[4:5]
	v_add_nc_u32_e32 v1, v4, v7
	s_delay_alu instid0(VALU_DEP_1) | instskip(NEXT) | instid1(VALU_DEP_1)
	v_lshrrev_b32_e32 v1, s17, v1
	v_mul_lo_u32 v1, v1, s11
	s_delay_alu instid0(VALU_DEP_1) | instskip(NEXT) | instid1(VALU_DEP_1)
	v_sub_nc_u32_e32 v1, v4, v1
	v_mad_u32 v2, v1, s14, v2
	v_mad_u32 v3, v1, s15, v3
.LBB13_98:
	global_load_b32 v1, v3, s[6:7]
                                        ; implicit-def: $vgpr5
                                        ; implicit-def: $vgpr4
	s_mov_b32 s1, exec_lo
	s_wait_loadcnt 0x0
	v_and_b32_e32 v3, 0x7fffffff, v1
	v_cmpx_ngt_f32_e64 0x48000000, |v1|
	s_xor_b32 s16, exec_lo, s1
	s_cbranch_execz .LBB13_100
; %bb.99:
	s_mov_b32 s0, 0x7fffff
	v_mov_b32_e32 v5, 0
	v_and_or_b32 v4, v3, s0, 0x800000
	s_mov_b64 s[0:1], 0xfe5163ab
	s_delay_alu instid0(VALU_DEP_1) | instid1(SALU_CYCLE_1)
	v_mul_u64_e32 v[6:7], s[0:1], v[4:5]
	s_delay_alu instid0(VALU_DEP_1) | instskip(SKIP_2) | instid1(VALU_DEP_3)
	v_dual_mov_b32 v8, v7 :: v_dual_mov_b32 v9, v5
	v_dual_mov_b32 v11, v5 :: v_dual_mov_b32 v13, v5
	v_dual_mov_b32 v15, v5 :: v_dual_lshrrev_b32 v7, 23, v3
	v_mad_nc_u64_u32 v[8:9], 0x3c439041, v4, v[8:9]
	s_delay_alu instid0(VALU_DEP_1) | instskip(NEXT) | instid1(VALU_DEP_1)
	v_mov_b32_e32 v10, v9
	v_mad_nc_u64_u32 v[10:11], 0xdb629599, v4, v[10:11]
	s_delay_alu instid0(VALU_DEP_1) | instskip(NEXT) | instid1(VALU_DEP_1)
	v_mov_b32_e32 v12, v11
	;; [unrolled: 3-line block ×3, first 2 shown]
	v_mad_nc_u64_u32 v[14:15], 0xfc2757d1, v4, v[14:15]
	s_delay_alu instid0(VALU_DEP_1) | instskip(NEXT) | instid1(VALU_DEP_1)
	v_dual_mov_b32 v17, v5 :: v_dual_mov_b32 v16, v15
	v_mad_nc_u64_u32 v[16:17], 0x4e441529, v4, v[16:17]
	s_delay_alu instid0(VALU_DEP_1) | instskip(NEXT) | instid1(VALU_DEP_1)
	v_dual_mov_b32 v18, v17 :: v_dual_add_nc_u32 v7, 0xffffff88, v7
	v_cmp_lt_u32_e32 vcc_lo, 63, v7
	v_mov_b32_e32 v19, v5
	v_cndmask_b32_e64 v9, 0, 0xffffffc0, vcc_lo
	s_delay_alu instid0(VALU_DEP_2) | instskip(SKIP_1) | instid1(VALU_DEP_3)
	v_mad_nc_u64_u32 v[4:5], 0xa2f9836e, v4, v[18:19]
	v_dual_cndmask_b32 v11, v16, v12, vcc_lo :: v_dual_cndmask_b32 v13, v14, v10, vcc_lo
	v_dual_cndmask_b32 v8, v12, v8 :: v_dual_add_nc_u32 v7, v9, v7
	v_cndmask_b32_e32 v6, v10, v6, vcc_lo
	s_delay_alu instid0(VALU_DEP_2) | instskip(SKIP_1) | instid1(VALU_DEP_2)
	v_cmp_lt_u32_e64 s0, 31, v7
	v_dual_cndmask_b32 v4, v4, v14 :: v_dual_cndmask_b32 v5, v5, v16
	v_cndmask_b32_e64 v9, 0, 0xffffffe0, s0
	s_delay_alu instid0(VALU_DEP_4) | instskip(NEXT) | instid1(VALU_DEP_2)
	v_dual_cndmask_b32 v12, v13, v8, s0 :: v_dual_cndmask_b32 v6, v8, v6, s0
	v_add_nc_u32_e32 v7, v9, v7
	s_delay_alu instid0(VALU_DEP_1) | instskip(NEXT) | instid1(VALU_DEP_1)
	v_cmp_lt_u32_e64 s1, 31, v7
	v_cndmask_b32_e64 v9, 0, 0xffffffe0, s1
	s_delay_alu instid0(VALU_DEP_1) | instskip(SKIP_1) | instid1(VALU_DEP_2)
	v_dual_cndmask_b32 v6, v12, v6, s1 :: v_dual_add_nc_u32 v7, v9, v7
	v_dual_cndmask_b32 v9, v4, v11, s0 :: v_dual_cndmask_b32 v4, v5, v4, s0
	v_dual_cndmask_b32 v5, v11, v13, s0 :: v_dual_sub_nc_u32 v11, 32, v7
	v_cmp_eq_u32_e32 vcc_lo, 0, v7
	s_delay_alu instid0(VALU_DEP_3) | instskip(NEXT) | instid1(VALU_DEP_3)
	v_cndmask_b32_e64 v4, v4, v9, s1
	v_cndmask_b32_e64 v9, v9, v5, s1
	;; [unrolled: 1-line block ×3, first 2 shown]
	s_delay_alu instid0(VALU_DEP_2) | instskip(NEXT) | instid1(VALU_DEP_2)
	v_alignbit_b32 v13, v4, v9, v11
	v_alignbit_b32 v10, v9, v5, v11
	;; [unrolled: 1-line block ×3, first 2 shown]
	s_delay_alu instid0(VALU_DEP_2) | instskip(NEXT) | instid1(VALU_DEP_2)
	v_dual_cndmask_b32 v4, v13, v4 :: v_dual_cndmask_b32 v7, v10, v9
	v_cndmask_b32_e32 v5, v11, v5, vcc_lo
	s_delay_alu instid0(VALU_DEP_2) | instskip(NEXT) | instid1(VALU_DEP_3)
	v_bfe_u32 v8, v4, 29, 1
	v_alignbit_b32 v9, v4, v7, 30
	s_delay_alu instid0(VALU_DEP_3) | instskip(SKIP_1) | instid1(VALU_DEP_4)
	v_alignbit_b32 v7, v7, v5, 30
	v_alignbit_b32 v5, v5, v6, 30
	v_sub_nc_u32_e32 v10, 0, v8
	s_delay_alu instid0(VALU_DEP_1) | instskip(NEXT) | instid1(VALU_DEP_4)
	v_xor_b32_e32 v9, v9, v10
	v_xor_b32_e32 v6, v7, v10
	s_delay_alu instid0(VALU_DEP_4) | instskip(NEXT) | instid1(VALU_DEP_3)
	v_dual_lshrrev_b32 v10, 29, v4 :: v_dual_bitop2_b32 v5, v5, v10 bitop3:0x14
	v_clz_i32_u32_e32 v11, v9
	s_delay_alu instid0(VALU_DEP_1) | instskip(NEXT) | instid1(VALU_DEP_1)
	v_min_u32_e32 v11, 32, v11
	v_dual_sub_nc_u32 v7, 31, v11 :: v_dual_lshlrev_b32 v12, 23, v11
	s_delay_alu instid0(VALU_DEP_1) | instskip(SKIP_2) | instid1(VALU_DEP_2)
	v_alignbit_b32 v9, v9, v6, v7
	v_alignbit_b32 v5, v6, v5, v7
	v_lshlrev_b32_e32 v6, 31, v10
	v_alignbit_b32 v7, v9, v5, 9
	s_delay_alu instid0(VALU_DEP_2) | instskip(SKIP_1) | instid1(VALU_DEP_3)
	v_dual_lshrrev_b32 v9, 9, v9 :: v_dual_bitop2_b32 v10, 0.5, v6 bitop3:0x54
	v_or_b32_e32 v6, 0x33000000, v6
	v_clz_i32_u32_e32 v13, v7
	s_delay_alu instid0(VALU_DEP_3) | instskip(NEXT) | instid1(VALU_DEP_2)
	v_sub_nc_u32_e32 v10, v10, v12
	v_min_u32_e32 v12, 32, v13
	s_delay_alu instid0(VALU_DEP_1) | instskip(NEXT) | instid1(VALU_DEP_3)
	v_add_lshl_u32 v11, v12, v11, 23
	v_or_b32_e32 v9, v9, v10
	v_not_b32_e32 v10, v12
	s_delay_alu instid0(VALU_DEP_2) | instskip(NEXT) | instid1(VALU_DEP_2)
	v_dual_mul_f32 v13, 0x3fc90fda, v9 :: v_dual_sub_nc_u32 v6, v6, v11
	v_alignbit_b32 v5, v7, v5, v10
	s_delay_alu instid0(VALU_DEP_2) | instskip(NEXT) | instid1(VALU_DEP_2)
	v_fma_f32 v7, 0x3fc90fda, v9, -v13
	v_lshrrev_b32_e32 v5, 9, v5
	s_delay_alu instid0(VALU_DEP_2) | instskip(NEXT) | instid1(VALU_DEP_2)
	v_fmamk_f32 v7, v9, 0x33a22168, v7
	v_or_b32_e32 v5, v6, v5
	s_delay_alu instid0(VALU_DEP_1) | instskip(NEXT) | instid1(VALU_DEP_1)
	v_fmac_f32_e32 v7, 0x3fc90fda, v5
	v_dual_add_f32 v4, v13, v7 :: v_dual_lshrrev_b32 v5, 30, v4
	s_delay_alu instid0(VALU_DEP_1)
	v_add_nc_u32_e32 v5, v8, v5
.LBB13_100:
	s_and_not1_saveexec_b32 s0, s16
; %bb.101:
	v_mul_f32_e64 v4, 0x3f22f983, |v1|
	s_delay_alu instid0(VALU_DEP_1) | instskip(NEXT) | instid1(VALU_DEP_1)
	v_rndne_f32_e32 v5, v4
	v_fma_f32 v4, 0xbfc90fda, v5, |v1|
	s_delay_alu instid0(VALU_DEP_1) | instskip(NEXT) | instid1(VALU_DEP_1)
	v_fmamk_f32 v4, v5, 0xb3a22168, v4
	v_fmamk_f32 v4, v5, 0xa7c234c4, v4
	v_cvt_i32_f32_e32 v5, v5
; %bb.102:
	s_or_b32 exec_lo, exec_lo, s0
	s_delay_alu instid0(VALU_DEP_1) | instskip(SKIP_3) | instid1(VALU_DEP_2)
	v_dual_mul_f32 v6, v4, v4 :: v_dual_bitop2_b32 v9, 1, v5 bitop3:0x40
	s_mov_b32 s0, 0xb94c1982
	s_mov_b32 s1, 0x37d75334
	v_add_nc_u32_e32 v0, 0x80, v0
	v_fmaak_f32 v7, s0, v6, 0x3c0881c4
	v_cmp_eq_u32_e32 vcc_lo, 0, v9
	v_lshlrev_b32_e32 v5, 30, v5
	v_xor_b32_e32 v3, v3, v1
	s_delay_alu instid0(VALU_DEP_4) | instskip(SKIP_1) | instid1(VALU_DEP_4)
	v_fmaak_f32 v7, v6, v7, 0xbe2aaa9d
	v_fmaak_f32 v8, s1, v6, 0xbab64f3b
	v_and_b32_e32 v5, 0x80000000, v5
	s_delay_alu instid0(VALU_DEP_2) | instskip(NEXT) | instid1(VALU_DEP_1)
	v_dual_mul_f32 v7, v6, v7 :: v_dual_fmaak_f32 v8, v6, v8, 0x3d2aabf7
	v_fmac_f32_e32 v4, v4, v7
	s_delay_alu instid0(VALU_DEP_2) | instskip(NEXT) | instid1(VALU_DEP_1)
	v_fmaak_f32 v8, v6, v8, 0xbf000004
	v_fma_f32 v6, v6, v8, 1.0
	s_delay_alu instid0(VALU_DEP_1) | instskip(SKIP_1) | instid1(VALU_DEP_2)
	v_cndmask_b32_e32 v4, v6, v4, vcc_lo
	v_cmp_class_f32_e64 vcc_lo, v1, 0x1f8
	v_xor3_b32 v3, v3, v5, v4
	s_delay_alu instid0(VALU_DEP_1) | instskip(SKIP_3) | instid1(SALU_CYCLE_1)
	v_cndmask_b32_e32 v1, 0x7fc00000, v3, vcc_lo
	global_store_b32 v2, v1, s[4:5]
	s_wait_xcnt 0x0
	s_or_b32 exec_lo, exec_lo, s9
	s_mov_b32 s9, exec_lo
	v_cmpx_gt_i32_e64 s34, v0
	s_cbranch_execnz .LBB13_15
.LBB13_103:
	s_or_b32 exec_lo, exec_lo, s9
	s_delay_alu instid0(SALU_CYCLE_1)
	s_mov_b32 s9, exec_lo
	v_cmpx_gt_i32_e64 s34, v0
	s_cbranch_execz .LBB13_123
.LBB13_104:
	s_and_not1_b32 vcc_lo, exec_lo, s30
	s_cbranch_vccnz .LBB13_109
; %bb.105:
	s_and_not1_b32 vcc_lo, exec_lo, s36
	s_cbranch_vccnz .LBB13_110
; %bb.106:
	s_add_co_i32 s1, s35, 1
	s_cmp_eq_u32 s29, 2
	s_cbranch_scc1 .LBB13_126
; %bb.107:
	v_dual_mov_b32 v2, 0 :: v_dual_mov_b32 v3, 0
	v_mov_b32_e32 v1, v0
	s_and_b32 s0, s1, 28
	s_mov_b32 s16, 0
	s_mov_b64 s[24:25], s[2:3]
	s_mov_b64 s[26:27], s[22:23]
.LBB13_108:                             ; =>This Inner Loop Header: Depth=1
	s_clause 0x1
	s_load_b256 s[40:47], s[24:25], 0x4
	s_load_b128 s[56:59], s[24:25], 0x24
	s_load_b256 s[48:55], s[26:27], 0x0
	s_add_co_i32 s16, s16, 4
	s_wait_xcnt 0x0
	s_add_nc_u64 s[24:25], s[24:25], 48
	s_cmp_eq_u32 s0, s16
	s_add_nc_u64 s[26:27], s[26:27], 32
	s_wait_kmcnt 0x0
	v_mul_hi_u32 v4, s41, v1
	s_delay_alu instid0(VALU_DEP_1) | instskip(NEXT) | instid1(VALU_DEP_1)
	v_add_nc_u32_e32 v4, v1, v4
	v_lshrrev_b32_e32 v4, s42, v4
	s_delay_alu instid0(VALU_DEP_1) | instskip(NEXT) | instid1(VALU_DEP_1)
	v_mul_hi_u32 v5, s44, v4
	v_add_nc_u32_e32 v5, v4, v5
	s_delay_alu instid0(VALU_DEP_1) | instskip(NEXT) | instid1(VALU_DEP_1)
	v_lshrrev_b32_e32 v5, s45, v5
	v_mul_hi_u32 v6, s47, v5
	s_delay_alu instid0(VALU_DEP_1) | instskip(SKIP_1) | instid1(VALU_DEP_1)
	v_add_nc_u32_e32 v6, v5, v6
	v_mul_lo_u32 v7, v4, s40
	v_sub_nc_u32_e32 v1, v1, v7
	v_mul_lo_u32 v7, v5, s43
	s_delay_alu instid0(VALU_DEP_4) | instskip(NEXT) | instid1(VALU_DEP_3)
	v_lshrrev_b32_e32 v6, s56, v6
	v_mad_u32 v3, v1, s49, v3
	v_mad_u32 v1, v1, s48, v2
	s_delay_alu instid0(VALU_DEP_4) | instskip(NEXT) | instid1(VALU_DEP_4)
	v_sub_nc_u32_e32 v2, v4, v7
	v_mul_hi_u32 v8, s58, v6
	v_mul_lo_u32 v4, v6, s46
	s_delay_alu instid0(VALU_DEP_3) | instskip(SKIP_1) | instid1(VALU_DEP_4)
	v_mad_u32 v3, v2, s51, v3
	v_mad_u32 v2, v2, s50, v1
	v_add_nc_u32_e32 v7, v6, v8
	s_delay_alu instid0(VALU_DEP_1) | instskip(NEXT) | instid1(VALU_DEP_1)
	v_dual_sub_nc_u32 v4, v5, v4 :: v_dual_lshrrev_b32 v1, s59, v7
	v_mad_u32 v3, v4, s53, v3
	s_delay_alu instid0(VALU_DEP_4) | instskip(NEXT) | instid1(VALU_DEP_3)
	v_mad_u32 v2, v4, s52, v2
	v_mul_lo_u32 v5, v1, s57
	s_delay_alu instid0(VALU_DEP_1) | instskip(NEXT) | instid1(VALU_DEP_1)
	v_sub_nc_u32_e32 v4, v6, v5
	v_mad_u32 v3, v4, s55, v3
	s_delay_alu instid0(VALU_DEP_4)
	v_mad_u32 v2, v4, s54, v2
	s_cbranch_scc0 .LBB13_108
	s_branch .LBB13_127
.LBB13_109:
                                        ; implicit-def: $vgpr3
	s_branch .LBB13_131
.LBB13_110:
	v_dual_mov_b32 v3, 0 :: v_dual_mov_b32 v2, 0
	s_branch .LBB13_130
.LBB13_111:
	v_mov_b64_e32 v[2:3], 0
	v_mov_b32_e32 v1, v0
	s_mov_b32 s0, 0
.LBB13_112:
	s_and_b32 s16, s1, 3
	s_mov_b32 s1, 0
	s_cmp_eq_u32 s16, 0
	s_cbranch_scc1 .LBB13_115
; %bb.113:
	s_lshl_b32 s24, s0, 3
	s_mov_b32 s25, s1
	s_mul_u64 s[26:27], s[0:1], 12
	s_add_nc_u64 s[24:25], s[2:3], s[24:25]
	s_delay_alu instid0(SALU_CYCLE_1)
	s_add_nc_u64 s[0:1], s[24:25], 0xc4
	s_add_nc_u64 s[24:25], s[2:3], s[26:27]
.LBB13_114:                             ; =>This Inner Loop Header: Depth=1
	s_load_b96 s[40:42], s[24:25], 0x4
	s_load_b64 s[26:27], s[0:1], 0x0
	s_add_co_i32 s16, s16, -1
	s_wait_xcnt 0x0
	s_add_nc_u64 s[24:25], s[24:25], 12
	s_cmp_lg_u32 s16, 0
	s_add_nc_u64 s[0:1], s[0:1], 8
	s_wait_kmcnt 0x0
	v_mul_hi_u32 v4, s41, v1
	s_delay_alu instid0(VALU_DEP_1) | instskip(NEXT) | instid1(VALU_DEP_1)
	v_add_nc_u32_e32 v4, v1, v4
	v_lshrrev_b32_e32 v4, s42, v4
	s_delay_alu instid0(VALU_DEP_1) | instskip(NEXT) | instid1(VALU_DEP_1)
	v_mul_lo_u32 v5, v4, s40
	v_sub_nc_u32_e32 v1, v1, v5
	s_delay_alu instid0(VALU_DEP_1)
	v_mad_u32 v3, v1, s27, v3
	v_mad_u32 v2, v1, s26, v2
	v_mov_b32_e32 v1, v4
	s_cbranch_scc1 .LBB13_114
.LBB13_115:
	s_cbranch_execnz .LBB13_118
.LBB13_116:
	v_mov_b32_e32 v1, 0
	s_and_not1_b32 vcc_lo, exec_lo, s33
	s_delay_alu instid0(VALU_DEP_1) | instskip(NEXT) | instid1(VALU_DEP_1)
	v_mul_u64_e32 v[2:3], s[18:19], v[0:1]
	v_add_nc_u32_e32 v2, v0, v3
	s_delay_alu instid0(VALU_DEP_1) | instskip(NEXT) | instid1(VALU_DEP_1)
	v_lshrrev_b32_e32 v4, s10, v2
	v_mul_lo_u32 v2, v4, s8
	s_delay_alu instid0(VALU_DEP_1) | instskip(NEXT) | instid1(VALU_DEP_1)
	v_sub_nc_u32_e32 v2, v0, v2
	v_mul_lo_u32 v3, v2, s13
	v_mul_lo_u32 v2, v2, s12
	s_cbranch_vccnz .LBB13_118
; %bb.117:
	v_mov_b32_e32 v5, v1
	s_delay_alu instid0(VALU_DEP_1) | instskip(NEXT) | instid1(VALU_DEP_1)
	v_mul_u64_e32 v[6:7], s[20:21], v[4:5]
	v_add_nc_u32_e32 v1, v4, v7
	s_delay_alu instid0(VALU_DEP_1) | instskip(NEXT) | instid1(VALU_DEP_1)
	v_lshrrev_b32_e32 v1, s17, v1
	v_mul_lo_u32 v1, v1, s11
	s_delay_alu instid0(VALU_DEP_1) | instskip(NEXT) | instid1(VALU_DEP_1)
	v_sub_nc_u32_e32 v1, v4, v1
	v_mad_u32 v2, v1, s14, v2
	v_mad_u32 v3, v1, s15, v3
.LBB13_118:
	global_load_b32 v1, v3, s[6:7]
                                        ; implicit-def: $vgpr5
                                        ; implicit-def: $vgpr4
	s_mov_b32 s1, exec_lo
	s_wait_loadcnt 0x0
	v_and_b32_e32 v3, 0x7fffffff, v1
	v_cmpx_ngt_f32_e64 0x48000000, |v1|
	s_xor_b32 s16, exec_lo, s1
	s_cbranch_execz .LBB13_120
; %bb.119:
	s_mov_b32 s0, 0x7fffff
	v_mov_b32_e32 v5, 0
	v_and_or_b32 v4, v3, s0, 0x800000
	s_mov_b64 s[0:1], 0xfe5163ab
	s_delay_alu instid0(VALU_DEP_1) | instid1(SALU_CYCLE_1)
	v_mul_u64_e32 v[6:7], s[0:1], v[4:5]
	s_delay_alu instid0(VALU_DEP_1) | instskip(SKIP_2) | instid1(VALU_DEP_3)
	v_dual_mov_b32 v8, v7 :: v_dual_mov_b32 v9, v5
	v_dual_mov_b32 v11, v5 :: v_dual_mov_b32 v13, v5
	v_dual_mov_b32 v15, v5 :: v_dual_lshrrev_b32 v7, 23, v3
	v_mad_nc_u64_u32 v[8:9], 0x3c439041, v4, v[8:9]
	s_delay_alu instid0(VALU_DEP_1) | instskip(NEXT) | instid1(VALU_DEP_1)
	v_mov_b32_e32 v10, v9
	v_mad_nc_u64_u32 v[10:11], 0xdb629599, v4, v[10:11]
	s_delay_alu instid0(VALU_DEP_1) | instskip(NEXT) | instid1(VALU_DEP_1)
	v_mov_b32_e32 v12, v11
	;; [unrolled: 3-line block ×3, first 2 shown]
	v_mad_nc_u64_u32 v[14:15], 0xfc2757d1, v4, v[14:15]
	s_delay_alu instid0(VALU_DEP_1) | instskip(NEXT) | instid1(VALU_DEP_1)
	v_dual_mov_b32 v17, v5 :: v_dual_mov_b32 v16, v15
	v_mad_nc_u64_u32 v[16:17], 0x4e441529, v4, v[16:17]
	s_delay_alu instid0(VALU_DEP_1) | instskip(NEXT) | instid1(VALU_DEP_1)
	v_dual_mov_b32 v18, v17 :: v_dual_add_nc_u32 v7, 0xffffff88, v7
	v_cmp_lt_u32_e32 vcc_lo, 63, v7
	v_mov_b32_e32 v19, v5
	v_cndmask_b32_e64 v9, 0, 0xffffffc0, vcc_lo
	s_delay_alu instid0(VALU_DEP_2) | instskip(SKIP_1) | instid1(VALU_DEP_3)
	v_mad_nc_u64_u32 v[4:5], 0xa2f9836e, v4, v[18:19]
	v_dual_cndmask_b32 v11, v16, v12, vcc_lo :: v_dual_cndmask_b32 v13, v14, v10, vcc_lo
	v_dual_cndmask_b32 v8, v12, v8 :: v_dual_add_nc_u32 v7, v9, v7
	v_cndmask_b32_e32 v6, v10, v6, vcc_lo
	s_delay_alu instid0(VALU_DEP_2) | instskip(SKIP_1) | instid1(VALU_DEP_2)
	v_cmp_lt_u32_e64 s0, 31, v7
	v_dual_cndmask_b32 v4, v4, v14 :: v_dual_cndmask_b32 v5, v5, v16
	v_cndmask_b32_e64 v9, 0, 0xffffffe0, s0
	s_delay_alu instid0(VALU_DEP_4) | instskip(NEXT) | instid1(VALU_DEP_2)
	v_dual_cndmask_b32 v12, v13, v8, s0 :: v_dual_cndmask_b32 v6, v8, v6, s0
	v_add_nc_u32_e32 v7, v9, v7
	s_delay_alu instid0(VALU_DEP_1) | instskip(NEXT) | instid1(VALU_DEP_1)
	v_cmp_lt_u32_e64 s1, 31, v7
	v_cndmask_b32_e64 v9, 0, 0xffffffe0, s1
	s_delay_alu instid0(VALU_DEP_1) | instskip(SKIP_1) | instid1(VALU_DEP_2)
	v_dual_cndmask_b32 v6, v12, v6, s1 :: v_dual_add_nc_u32 v7, v9, v7
	v_dual_cndmask_b32 v9, v4, v11, s0 :: v_dual_cndmask_b32 v4, v5, v4, s0
	v_dual_cndmask_b32 v5, v11, v13, s0 :: v_dual_sub_nc_u32 v11, 32, v7
	v_cmp_eq_u32_e32 vcc_lo, 0, v7
	s_delay_alu instid0(VALU_DEP_3) | instskip(NEXT) | instid1(VALU_DEP_3)
	v_cndmask_b32_e64 v4, v4, v9, s1
	v_cndmask_b32_e64 v9, v9, v5, s1
	v_cndmask_b32_e64 v5, v5, v12, s1
	s_delay_alu instid0(VALU_DEP_2) | instskip(NEXT) | instid1(VALU_DEP_2)
	v_alignbit_b32 v13, v4, v9, v11
	v_alignbit_b32 v10, v9, v5, v11
	v_alignbit_b32 v11, v5, v6, v11
	s_delay_alu instid0(VALU_DEP_2) | instskip(NEXT) | instid1(VALU_DEP_2)
	v_dual_cndmask_b32 v4, v13, v4 :: v_dual_cndmask_b32 v7, v10, v9
	v_cndmask_b32_e32 v5, v11, v5, vcc_lo
	s_delay_alu instid0(VALU_DEP_2) | instskip(NEXT) | instid1(VALU_DEP_3)
	v_bfe_u32 v8, v4, 29, 1
	v_alignbit_b32 v9, v4, v7, 30
	s_delay_alu instid0(VALU_DEP_3) | instskip(SKIP_1) | instid1(VALU_DEP_4)
	v_alignbit_b32 v7, v7, v5, 30
	v_alignbit_b32 v5, v5, v6, 30
	v_sub_nc_u32_e32 v10, 0, v8
	s_delay_alu instid0(VALU_DEP_1) | instskip(NEXT) | instid1(VALU_DEP_4)
	v_xor_b32_e32 v9, v9, v10
	v_xor_b32_e32 v6, v7, v10
	s_delay_alu instid0(VALU_DEP_4) | instskip(NEXT) | instid1(VALU_DEP_3)
	v_dual_lshrrev_b32 v10, 29, v4 :: v_dual_bitop2_b32 v5, v5, v10 bitop3:0x14
	v_clz_i32_u32_e32 v11, v9
	s_delay_alu instid0(VALU_DEP_1) | instskip(NEXT) | instid1(VALU_DEP_1)
	v_min_u32_e32 v11, 32, v11
	v_dual_sub_nc_u32 v7, 31, v11 :: v_dual_lshlrev_b32 v12, 23, v11
	s_delay_alu instid0(VALU_DEP_1) | instskip(SKIP_2) | instid1(VALU_DEP_2)
	v_alignbit_b32 v9, v9, v6, v7
	v_alignbit_b32 v5, v6, v5, v7
	v_lshlrev_b32_e32 v6, 31, v10
	v_alignbit_b32 v7, v9, v5, 9
	s_delay_alu instid0(VALU_DEP_2) | instskip(SKIP_1) | instid1(VALU_DEP_3)
	v_dual_lshrrev_b32 v9, 9, v9 :: v_dual_bitop2_b32 v10, 0.5, v6 bitop3:0x54
	v_or_b32_e32 v6, 0x33000000, v6
	v_clz_i32_u32_e32 v13, v7
	s_delay_alu instid0(VALU_DEP_3) | instskip(NEXT) | instid1(VALU_DEP_2)
	v_sub_nc_u32_e32 v10, v10, v12
	v_min_u32_e32 v12, 32, v13
	s_delay_alu instid0(VALU_DEP_1) | instskip(NEXT) | instid1(VALU_DEP_3)
	v_add_lshl_u32 v11, v12, v11, 23
	v_or_b32_e32 v9, v9, v10
	v_not_b32_e32 v10, v12
	s_delay_alu instid0(VALU_DEP_2) | instskip(NEXT) | instid1(VALU_DEP_2)
	v_dual_mul_f32 v13, 0x3fc90fda, v9 :: v_dual_sub_nc_u32 v6, v6, v11
	v_alignbit_b32 v5, v7, v5, v10
	s_delay_alu instid0(VALU_DEP_2) | instskip(NEXT) | instid1(VALU_DEP_2)
	v_fma_f32 v7, 0x3fc90fda, v9, -v13
	v_lshrrev_b32_e32 v5, 9, v5
	s_delay_alu instid0(VALU_DEP_2) | instskip(NEXT) | instid1(VALU_DEP_2)
	v_fmamk_f32 v7, v9, 0x33a22168, v7
	v_or_b32_e32 v5, v6, v5
	s_delay_alu instid0(VALU_DEP_1) | instskip(NEXT) | instid1(VALU_DEP_1)
	v_fmac_f32_e32 v7, 0x3fc90fda, v5
	v_dual_add_f32 v4, v13, v7 :: v_dual_lshrrev_b32 v5, 30, v4
	s_delay_alu instid0(VALU_DEP_1)
	v_add_nc_u32_e32 v5, v8, v5
.LBB13_120:
	s_and_not1_saveexec_b32 s0, s16
; %bb.121:
	v_mul_f32_e64 v4, 0x3f22f983, |v1|
	s_delay_alu instid0(VALU_DEP_1) | instskip(NEXT) | instid1(VALU_DEP_1)
	v_rndne_f32_e32 v5, v4
	v_fma_f32 v4, 0xbfc90fda, v5, |v1|
	s_delay_alu instid0(VALU_DEP_1) | instskip(NEXT) | instid1(VALU_DEP_1)
	v_fmamk_f32 v4, v5, 0xb3a22168, v4
	v_fmamk_f32 v4, v5, 0xa7c234c4, v4
	v_cvt_i32_f32_e32 v5, v5
; %bb.122:
	s_or_b32 exec_lo, exec_lo, s0
	s_delay_alu instid0(VALU_DEP_1) | instskip(SKIP_3) | instid1(VALU_DEP_2)
	v_dual_mul_f32 v6, v4, v4 :: v_dual_bitop2_b32 v9, 1, v5 bitop3:0x40
	s_mov_b32 s0, 0xb94c1982
	s_mov_b32 s1, 0x37d75334
	v_add_nc_u32_e32 v0, 0x80, v0
	v_fmaak_f32 v7, s0, v6, 0x3c0881c4
	v_cmp_eq_u32_e32 vcc_lo, 0, v9
	v_lshlrev_b32_e32 v5, 30, v5
	v_xor_b32_e32 v3, v3, v1
	s_delay_alu instid0(VALU_DEP_4) | instskip(SKIP_1) | instid1(VALU_DEP_4)
	v_fmaak_f32 v7, v6, v7, 0xbe2aaa9d
	v_fmaak_f32 v8, s1, v6, 0xbab64f3b
	v_and_b32_e32 v5, 0x80000000, v5
	s_delay_alu instid0(VALU_DEP_2) | instskip(NEXT) | instid1(VALU_DEP_1)
	v_dual_mul_f32 v7, v6, v7 :: v_dual_fmaak_f32 v8, v6, v8, 0x3d2aabf7
	v_fmac_f32_e32 v4, v4, v7
	s_delay_alu instid0(VALU_DEP_2) | instskip(NEXT) | instid1(VALU_DEP_1)
	v_fmaak_f32 v8, v6, v8, 0xbf000004
	v_fma_f32 v6, v6, v8, 1.0
	s_delay_alu instid0(VALU_DEP_1) | instskip(SKIP_1) | instid1(VALU_DEP_2)
	v_cndmask_b32_e32 v4, v6, v4, vcc_lo
	v_cmp_class_f32_e64 vcc_lo, v1, 0x1f8
	v_xor3_b32 v3, v3, v5, v4
	s_delay_alu instid0(VALU_DEP_1) | instskip(SKIP_3) | instid1(SALU_CYCLE_1)
	v_cndmask_b32_e32 v1, 0x7fc00000, v3, vcc_lo
	global_store_b32 v2, v1, s[4:5]
	s_wait_xcnt 0x0
	s_or_b32 exec_lo, exec_lo, s9
	s_mov_b32 s9, exec_lo
	v_cmpx_gt_i32_e64 s34, v0
	s_cbranch_execnz .LBB13_104
.LBB13_123:
	s_or_b32 exec_lo, exec_lo, s9
	s_delay_alu instid0(SALU_CYCLE_1)
	s_mov_b32 s9, exec_lo
	v_cmpx_gt_i32_e64 s34, v0
	s_cbranch_execnz .LBB13_138
.LBB13_124:
	s_or_b32 exec_lo, exec_lo, s9
                                        ; implicit-def: $vgpr8
                                        ; implicit-def: $vgpr0
	s_and_not1_saveexec_b32 s0, s31
	s_cbranch_execnz .LBB13_8
.LBB13_125:
	s_endpgm
.LBB13_126:
	v_mov_b64_e32 v[2:3], 0
	v_mov_b32_e32 v1, v0
	s_mov_b32 s0, 0
.LBB13_127:
	s_and_b32 s16, s1, 3
	s_mov_b32 s1, 0
	s_cmp_eq_u32 s16, 0
	s_cbranch_scc1 .LBB13_130
; %bb.128:
	s_lshl_b32 s24, s0, 3
	s_mov_b32 s25, s1
	s_mul_u64 s[26:27], s[0:1], 12
	s_add_nc_u64 s[24:25], s[2:3], s[24:25]
	s_delay_alu instid0(SALU_CYCLE_1)
	s_add_nc_u64 s[0:1], s[24:25], 0xc4
	s_add_nc_u64 s[24:25], s[2:3], s[26:27]
.LBB13_129:                             ; =>This Inner Loop Header: Depth=1
	s_load_b96 s[40:42], s[24:25], 0x4
	s_load_b64 s[26:27], s[0:1], 0x0
	s_add_co_i32 s16, s16, -1
	s_wait_xcnt 0x0
	s_add_nc_u64 s[24:25], s[24:25], 12
	s_cmp_lg_u32 s16, 0
	s_add_nc_u64 s[0:1], s[0:1], 8
	s_wait_kmcnt 0x0
	v_mul_hi_u32 v4, s41, v1
	s_delay_alu instid0(VALU_DEP_1) | instskip(NEXT) | instid1(VALU_DEP_1)
	v_add_nc_u32_e32 v4, v1, v4
	v_lshrrev_b32_e32 v4, s42, v4
	s_delay_alu instid0(VALU_DEP_1) | instskip(NEXT) | instid1(VALU_DEP_1)
	v_mul_lo_u32 v5, v4, s40
	v_sub_nc_u32_e32 v1, v1, v5
	s_delay_alu instid0(VALU_DEP_1)
	v_mad_u32 v3, v1, s27, v3
	v_mad_u32 v2, v1, s26, v2
	v_mov_b32_e32 v1, v4
	s_cbranch_scc1 .LBB13_129
.LBB13_130:
	s_cbranch_execnz .LBB13_133
.LBB13_131:
	v_mov_b32_e32 v1, 0
	s_and_not1_b32 vcc_lo, exec_lo, s33
	s_delay_alu instid0(VALU_DEP_1) | instskip(NEXT) | instid1(VALU_DEP_1)
	v_mul_u64_e32 v[2:3], s[18:19], v[0:1]
	v_add_nc_u32_e32 v2, v0, v3
	s_delay_alu instid0(VALU_DEP_1) | instskip(NEXT) | instid1(VALU_DEP_1)
	v_lshrrev_b32_e32 v4, s10, v2
	v_mul_lo_u32 v2, v4, s8
	s_delay_alu instid0(VALU_DEP_1) | instskip(NEXT) | instid1(VALU_DEP_1)
	v_sub_nc_u32_e32 v2, v0, v2
	v_mul_lo_u32 v3, v2, s13
	v_mul_lo_u32 v2, v2, s12
	s_cbranch_vccnz .LBB13_133
; %bb.132:
	v_mov_b32_e32 v5, v1
	s_delay_alu instid0(VALU_DEP_1) | instskip(NEXT) | instid1(VALU_DEP_1)
	v_mul_u64_e32 v[6:7], s[20:21], v[4:5]
	v_add_nc_u32_e32 v1, v4, v7
	s_delay_alu instid0(VALU_DEP_1) | instskip(NEXT) | instid1(VALU_DEP_1)
	v_lshrrev_b32_e32 v1, s17, v1
	v_mul_lo_u32 v1, v1, s11
	s_delay_alu instid0(VALU_DEP_1) | instskip(NEXT) | instid1(VALU_DEP_1)
	v_sub_nc_u32_e32 v1, v4, v1
	v_mad_u32 v2, v1, s14, v2
	v_mad_u32 v3, v1, s15, v3
.LBB13_133:
	global_load_b32 v1, v3, s[6:7]
                                        ; implicit-def: $vgpr5
                                        ; implicit-def: $vgpr4
	s_mov_b32 s1, exec_lo
	s_wait_loadcnt 0x0
	v_and_b32_e32 v3, 0x7fffffff, v1
	v_cmpx_ngt_f32_e64 0x48000000, |v1|
	s_xor_b32 s16, exec_lo, s1
	s_cbranch_execz .LBB13_135
; %bb.134:
	s_mov_b32 s0, 0x7fffff
	v_mov_b32_e32 v5, 0
	v_and_or_b32 v4, v3, s0, 0x800000
	s_mov_b64 s[0:1], 0xfe5163ab
	s_delay_alu instid0(VALU_DEP_1) | instid1(SALU_CYCLE_1)
	v_mul_u64_e32 v[6:7], s[0:1], v[4:5]
	s_delay_alu instid0(VALU_DEP_1) | instskip(SKIP_2) | instid1(VALU_DEP_3)
	v_dual_mov_b32 v8, v7 :: v_dual_mov_b32 v9, v5
	v_dual_mov_b32 v11, v5 :: v_dual_mov_b32 v13, v5
	v_dual_mov_b32 v15, v5 :: v_dual_lshrrev_b32 v7, 23, v3
	v_mad_nc_u64_u32 v[8:9], 0x3c439041, v4, v[8:9]
	s_delay_alu instid0(VALU_DEP_1) | instskip(NEXT) | instid1(VALU_DEP_1)
	v_mov_b32_e32 v10, v9
	v_mad_nc_u64_u32 v[10:11], 0xdb629599, v4, v[10:11]
	s_delay_alu instid0(VALU_DEP_1) | instskip(NEXT) | instid1(VALU_DEP_1)
	v_mov_b32_e32 v12, v11
	v_mad_nc_u64_u32 v[12:13], 0xf534ddc0, v4, v[12:13]
	s_delay_alu instid0(VALU_DEP_1) | instskip(NEXT) | instid1(VALU_DEP_1)
	v_mov_b32_e32 v14, v13
	v_mad_nc_u64_u32 v[14:15], 0xfc2757d1, v4, v[14:15]
	s_delay_alu instid0(VALU_DEP_1) | instskip(NEXT) | instid1(VALU_DEP_1)
	v_dual_mov_b32 v17, v5 :: v_dual_mov_b32 v16, v15
	v_mad_nc_u64_u32 v[16:17], 0x4e441529, v4, v[16:17]
	s_delay_alu instid0(VALU_DEP_1) | instskip(NEXT) | instid1(VALU_DEP_1)
	v_dual_mov_b32 v18, v17 :: v_dual_add_nc_u32 v7, 0xffffff88, v7
	v_cmp_lt_u32_e32 vcc_lo, 63, v7
	v_mov_b32_e32 v19, v5
	v_cndmask_b32_e64 v9, 0, 0xffffffc0, vcc_lo
	s_delay_alu instid0(VALU_DEP_2) | instskip(SKIP_1) | instid1(VALU_DEP_3)
	v_mad_nc_u64_u32 v[4:5], 0xa2f9836e, v4, v[18:19]
	v_dual_cndmask_b32 v11, v16, v12, vcc_lo :: v_dual_cndmask_b32 v13, v14, v10, vcc_lo
	v_dual_cndmask_b32 v8, v12, v8 :: v_dual_add_nc_u32 v7, v9, v7
	v_cndmask_b32_e32 v6, v10, v6, vcc_lo
	s_delay_alu instid0(VALU_DEP_2) | instskip(SKIP_1) | instid1(VALU_DEP_2)
	v_cmp_lt_u32_e64 s0, 31, v7
	v_dual_cndmask_b32 v4, v4, v14 :: v_dual_cndmask_b32 v5, v5, v16
	v_cndmask_b32_e64 v9, 0, 0xffffffe0, s0
	s_delay_alu instid0(VALU_DEP_4) | instskip(NEXT) | instid1(VALU_DEP_2)
	v_dual_cndmask_b32 v12, v13, v8, s0 :: v_dual_cndmask_b32 v6, v8, v6, s0
	v_add_nc_u32_e32 v7, v9, v7
	s_delay_alu instid0(VALU_DEP_1) | instskip(NEXT) | instid1(VALU_DEP_1)
	v_cmp_lt_u32_e64 s1, 31, v7
	v_cndmask_b32_e64 v9, 0, 0xffffffe0, s1
	s_delay_alu instid0(VALU_DEP_1) | instskip(SKIP_1) | instid1(VALU_DEP_2)
	v_dual_cndmask_b32 v6, v12, v6, s1 :: v_dual_add_nc_u32 v7, v9, v7
	v_dual_cndmask_b32 v9, v4, v11, s0 :: v_dual_cndmask_b32 v4, v5, v4, s0
	v_dual_cndmask_b32 v5, v11, v13, s0 :: v_dual_sub_nc_u32 v11, 32, v7
	v_cmp_eq_u32_e32 vcc_lo, 0, v7
	s_delay_alu instid0(VALU_DEP_3) | instskip(NEXT) | instid1(VALU_DEP_3)
	v_cndmask_b32_e64 v4, v4, v9, s1
	v_cndmask_b32_e64 v9, v9, v5, s1
	;; [unrolled: 1-line block ×3, first 2 shown]
	s_delay_alu instid0(VALU_DEP_2) | instskip(NEXT) | instid1(VALU_DEP_2)
	v_alignbit_b32 v13, v4, v9, v11
	v_alignbit_b32 v10, v9, v5, v11
	;; [unrolled: 1-line block ×3, first 2 shown]
	s_delay_alu instid0(VALU_DEP_2) | instskip(NEXT) | instid1(VALU_DEP_2)
	v_dual_cndmask_b32 v4, v13, v4 :: v_dual_cndmask_b32 v7, v10, v9
	v_cndmask_b32_e32 v5, v11, v5, vcc_lo
	s_delay_alu instid0(VALU_DEP_2) | instskip(NEXT) | instid1(VALU_DEP_3)
	v_bfe_u32 v8, v4, 29, 1
	v_alignbit_b32 v9, v4, v7, 30
	s_delay_alu instid0(VALU_DEP_3) | instskip(SKIP_1) | instid1(VALU_DEP_4)
	v_alignbit_b32 v7, v7, v5, 30
	v_alignbit_b32 v5, v5, v6, 30
	v_sub_nc_u32_e32 v10, 0, v8
	s_delay_alu instid0(VALU_DEP_1) | instskip(NEXT) | instid1(VALU_DEP_4)
	v_xor_b32_e32 v9, v9, v10
	v_xor_b32_e32 v6, v7, v10
	s_delay_alu instid0(VALU_DEP_4) | instskip(NEXT) | instid1(VALU_DEP_3)
	v_dual_lshrrev_b32 v10, 29, v4 :: v_dual_bitop2_b32 v5, v5, v10 bitop3:0x14
	v_clz_i32_u32_e32 v11, v9
	s_delay_alu instid0(VALU_DEP_1) | instskip(NEXT) | instid1(VALU_DEP_1)
	v_min_u32_e32 v11, 32, v11
	v_dual_sub_nc_u32 v7, 31, v11 :: v_dual_lshlrev_b32 v12, 23, v11
	s_delay_alu instid0(VALU_DEP_1) | instskip(SKIP_2) | instid1(VALU_DEP_2)
	v_alignbit_b32 v9, v9, v6, v7
	v_alignbit_b32 v5, v6, v5, v7
	v_lshlrev_b32_e32 v6, 31, v10
	v_alignbit_b32 v7, v9, v5, 9
	s_delay_alu instid0(VALU_DEP_2) | instskip(SKIP_1) | instid1(VALU_DEP_3)
	v_dual_lshrrev_b32 v9, 9, v9 :: v_dual_bitop2_b32 v10, 0.5, v6 bitop3:0x54
	v_or_b32_e32 v6, 0x33000000, v6
	v_clz_i32_u32_e32 v13, v7
	s_delay_alu instid0(VALU_DEP_3) | instskip(NEXT) | instid1(VALU_DEP_2)
	v_sub_nc_u32_e32 v10, v10, v12
	v_min_u32_e32 v12, 32, v13
	s_delay_alu instid0(VALU_DEP_1) | instskip(NEXT) | instid1(VALU_DEP_3)
	v_add_lshl_u32 v11, v12, v11, 23
	v_or_b32_e32 v9, v9, v10
	v_not_b32_e32 v10, v12
	s_delay_alu instid0(VALU_DEP_2) | instskip(NEXT) | instid1(VALU_DEP_2)
	v_dual_mul_f32 v13, 0x3fc90fda, v9 :: v_dual_sub_nc_u32 v6, v6, v11
	v_alignbit_b32 v5, v7, v5, v10
	s_delay_alu instid0(VALU_DEP_2) | instskip(NEXT) | instid1(VALU_DEP_2)
	v_fma_f32 v7, 0x3fc90fda, v9, -v13
	v_lshrrev_b32_e32 v5, 9, v5
	s_delay_alu instid0(VALU_DEP_2) | instskip(NEXT) | instid1(VALU_DEP_2)
	v_fmamk_f32 v7, v9, 0x33a22168, v7
	v_or_b32_e32 v5, v6, v5
	s_delay_alu instid0(VALU_DEP_1) | instskip(NEXT) | instid1(VALU_DEP_1)
	v_fmac_f32_e32 v7, 0x3fc90fda, v5
	v_dual_add_f32 v4, v13, v7 :: v_dual_lshrrev_b32 v5, 30, v4
	s_delay_alu instid0(VALU_DEP_1)
	v_add_nc_u32_e32 v5, v8, v5
.LBB13_135:
	s_and_not1_saveexec_b32 s0, s16
; %bb.136:
	v_mul_f32_e64 v4, 0x3f22f983, |v1|
	s_delay_alu instid0(VALU_DEP_1) | instskip(NEXT) | instid1(VALU_DEP_1)
	v_rndne_f32_e32 v5, v4
	v_fma_f32 v4, 0xbfc90fda, v5, |v1|
	s_delay_alu instid0(VALU_DEP_1) | instskip(NEXT) | instid1(VALU_DEP_1)
	v_fmamk_f32 v4, v5, 0xb3a22168, v4
	v_fmamk_f32 v4, v5, 0xa7c234c4, v4
	v_cvt_i32_f32_e32 v5, v5
; %bb.137:
	s_or_b32 exec_lo, exec_lo, s0
	s_delay_alu instid0(VALU_DEP_1) | instskip(SKIP_3) | instid1(VALU_DEP_2)
	v_dual_mul_f32 v6, v4, v4 :: v_dual_bitop2_b32 v9, 1, v5 bitop3:0x40
	s_mov_b32 s0, 0xb94c1982
	s_mov_b32 s1, 0x37d75334
	v_add_nc_u32_e32 v0, 0x80, v0
	v_fmaak_f32 v7, s0, v6, 0x3c0881c4
	v_cmp_eq_u32_e32 vcc_lo, 0, v9
	v_lshlrev_b32_e32 v5, 30, v5
	v_xor_b32_e32 v3, v3, v1
	s_delay_alu instid0(VALU_DEP_4) | instskip(SKIP_1) | instid1(VALU_DEP_4)
	v_fmaak_f32 v7, v6, v7, 0xbe2aaa9d
	v_fmaak_f32 v8, s1, v6, 0xbab64f3b
	v_and_b32_e32 v5, 0x80000000, v5
	s_delay_alu instid0(VALU_DEP_2) | instskip(NEXT) | instid1(VALU_DEP_1)
	v_dual_mul_f32 v7, v6, v7 :: v_dual_fmaak_f32 v8, v6, v8, 0x3d2aabf7
	v_fmac_f32_e32 v4, v4, v7
	s_delay_alu instid0(VALU_DEP_2) | instskip(NEXT) | instid1(VALU_DEP_1)
	v_fmaak_f32 v8, v6, v8, 0xbf000004
	v_fma_f32 v6, v6, v8, 1.0
	s_delay_alu instid0(VALU_DEP_1) | instskip(SKIP_1) | instid1(VALU_DEP_2)
	v_cndmask_b32_e32 v4, v6, v4, vcc_lo
	v_cmp_class_f32_e64 vcc_lo, v1, 0x1f8
	v_xor3_b32 v3, v3, v5, v4
	s_delay_alu instid0(VALU_DEP_1) | instskip(SKIP_3) | instid1(SALU_CYCLE_1)
	v_cndmask_b32_e32 v1, 0x7fc00000, v3, vcc_lo
	global_store_b32 v2, v1, s[4:5]
	s_wait_xcnt 0x0
	s_or_b32 exec_lo, exec_lo, s9
	s_mov_b32 s9, exec_lo
	v_cmpx_gt_i32_e64 s34, v0
	s_cbranch_execz .LBB13_124
.LBB13_138:
	s_and_not1_b32 vcc_lo, exec_lo, s30
	s_cbranch_vccnz .LBB13_143
; %bb.139:
	s_and_not1_b32 vcc_lo, exec_lo, s36
	s_cbranch_vccnz .LBB13_144
; %bb.140:
	s_add_co_i32 s35, s35, 1
	s_cmp_eq_u32 s29, 2
	s_cbranch_scc1 .LBB13_145
; %bb.141:
	v_dual_mov_b32 v2, 0 :: v_dual_mov_b32 v3, 0
	v_mov_b32_e32 v1, v0
	s_and_b32 s0, s35, 28
	s_mov_b32 s1, 0
	s_mov_b64 s[24:25], s[2:3]
.LBB13_142:                             ; =>This Inner Loop Header: Depth=1
	s_clause 0x1
	s_load_b256 s[36:43], s[24:25], 0x4
	s_load_b128 s[52:55], s[24:25], 0x24
	s_load_b256 s[44:51], s[22:23], 0x0
	s_add_co_i32 s1, s1, 4
	s_wait_xcnt 0x0
	s_add_nc_u64 s[24:25], s[24:25], 48
	s_cmp_eq_u32 s0, s1
	s_add_nc_u64 s[22:23], s[22:23], 32
	s_wait_kmcnt 0x0
	v_mul_hi_u32 v4, s37, v1
	s_delay_alu instid0(VALU_DEP_1) | instskip(NEXT) | instid1(VALU_DEP_1)
	v_add_nc_u32_e32 v4, v1, v4
	v_lshrrev_b32_e32 v4, s38, v4
	s_delay_alu instid0(VALU_DEP_1) | instskip(NEXT) | instid1(VALU_DEP_1)
	v_mul_hi_u32 v5, s40, v4
	v_add_nc_u32_e32 v5, v4, v5
	s_delay_alu instid0(VALU_DEP_1) | instskip(NEXT) | instid1(VALU_DEP_1)
	v_lshrrev_b32_e32 v5, s41, v5
	v_mul_hi_u32 v6, s43, v5
	s_delay_alu instid0(VALU_DEP_1) | instskip(SKIP_1) | instid1(VALU_DEP_1)
	v_add_nc_u32_e32 v6, v5, v6
	v_mul_lo_u32 v7, v4, s36
	v_sub_nc_u32_e32 v1, v1, v7
	v_mul_lo_u32 v7, v5, s39
	s_delay_alu instid0(VALU_DEP_4) | instskip(NEXT) | instid1(VALU_DEP_3)
	v_lshrrev_b32_e32 v6, s52, v6
	v_mad_u32 v3, v1, s45, v3
	v_mad_u32 v1, v1, s44, v2
	s_delay_alu instid0(VALU_DEP_4) | instskip(NEXT) | instid1(VALU_DEP_4)
	v_sub_nc_u32_e32 v2, v4, v7
	v_mul_hi_u32 v8, s54, v6
	v_mul_lo_u32 v4, v6, s42
	s_delay_alu instid0(VALU_DEP_3) | instskip(SKIP_1) | instid1(VALU_DEP_4)
	v_mad_u32 v3, v2, s47, v3
	v_mad_u32 v2, v2, s46, v1
	v_add_nc_u32_e32 v7, v6, v8
	s_delay_alu instid0(VALU_DEP_1) | instskip(NEXT) | instid1(VALU_DEP_1)
	v_dual_sub_nc_u32 v4, v5, v4 :: v_dual_lshrrev_b32 v1, s55, v7
	v_mad_u32 v3, v4, s49, v3
	s_delay_alu instid0(VALU_DEP_4) | instskip(NEXT) | instid1(VALU_DEP_3)
	v_mad_u32 v2, v4, s48, v2
	v_mul_lo_u32 v5, v1, s53
	s_delay_alu instid0(VALU_DEP_1) | instskip(NEXT) | instid1(VALU_DEP_1)
	v_sub_nc_u32_e32 v4, v6, v5
	v_mad_u32 v3, v4, s51, v3
	s_delay_alu instid0(VALU_DEP_4)
	v_mad_u32 v2, v4, s50, v2
	s_cbranch_scc0 .LBB13_142
	s_branch .LBB13_146
.LBB13_143:
                                        ; implicit-def: $vgpr3
	s_branch .LBB13_150
.LBB13_144:
	v_dual_mov_b32 v3, 0 :: v_dual_mov_b32 v2, 0
	s_branch .LBB13_149
.LBB13_145:
	v_mov_b64_e32 v[2:3], 0
	v_mov_b32_e32 v1, v0
	s_mov_b32 s0, 0
.LBB13_146:
	s_and_b32 s16, s35, 3
	s_mov_b32 s1, 0
	s_cmp_eq_u32 s16, 0
	s_cbranch_scc1 .LBB13_149
; %bb.147:
	s_lshl_b32 s22, s0, 3
	s_mov_b32 s23, s1
	s_mul_u64 s[24:25], s[0:1], 12
	s_add_nc_u64 s[22:23], s[2:3], s[22:23]
	s_delay_alu instid0(SALU_CYCLE_1)
	s_add_nc_u64 s[0:1], s[22:23], 0xc4
	s_add_nc_u64 s[22:23], s[2:3], s[24:25]
.LBB13_148:                             ; =>This Inner Loop Header: Depth=1
	s_load_b96 s[24:26], s[22:23], 0x4
	s_add_co_i32 s16, s16, -1
	s_wait_xcnt 0x0
	s_add_nc_u64 s[22:23], s[22:23], 12
	s_cmp_lg_u32 s16, 0
	s_wait_kmcnt 0x0
	v_mul_hi_u32 v4, s25, v1
	s_delay_alu instid0(VALU_DEP_1) | instskip(NEXT) | instid1(VALU_DEP_1)
	v_add_nc_u32_e32 v4, v1, v4
	v_lshrrev_b32_e32 v4, s26, v4
	s_load_b64 s[26:27], s[0:1], 0x0
	s_wait_xcnt 0x0
	s_add_nc_u64 s[0:1], s[0:1], 8
	s_delay_alu instid0(VALU_DEP_1) | instskip(NEXT) | instid1(VALU_DEP_1)
	v_mul_lo_u32 v5, v4, s24
	v_sub_nc_u32_e32 v1, v1, v5
	s_wait_kmcnt 0x0
	s_delay_alu instid0(VALU_DEP_1)
	v_mad_u32 v3, v1, s27, v3
	v_mad_u32 v2, v1, s26, v2
	v_mov_b32_e32 v1, v4
	s_cbranch_scc1 .LBB13_148
.LBB13_149:
	s_cbranch_execnz .LBB13_152
.LBB13_150:
	v_mov_b32_e32 v1, 0
	s_and_not1_b32 vcc_lo, exec_lo, s33
	s_delay_alu instid0(VALU_DEP_1) | instskip(NEXT) | instid1(VALU_DEP_1)
	v_mul_u64_e32 v[2:3], s[18:19], v[0:1]
	v_add_nc_u32_e32 v2, v0, v3
	s_delay_alu instid0(VALU_DEP_1) | instskip(NEXT) | instid1(VALU_DEP_1)
	v_lshrrev_b32_e32 v4, s10, v2
	v_mul_lo_u32 v2, v4, s8
	s_delay_alu instid0(VALU_DEP_1) | instskip(NEXT) | instid1(VALU_DEP_1)
	v_sub_nc_u32_e32 v0, v0, v2
	v_mul_lo_u32 v3, v0, s13
	v_mul_lo_u32 v2, v0, s12
	s_cbranch_vccnz .LBB13_152
; %bb.151:
	v_mov_b32_e32 v5, v1
	s_delay_alu instid0(VALU_DEP_1) | instskip(NEXT) | instid1(VALU_DEP_1)
	v_mul_u64_e32 v[0:1], s[20:21], v[4:5]
	v_add_nc_u32_e32 v0, v4, v1
	s_delay_alu instid0(VALU_DEP_1) | instskip(NEXT) | instid1(VALU_DEP_1)
	v_lshrrev_b32_e32 v0, s17, v0
	v_mul_lo_u32 v0, v0, s11
	s_delay_alu instid0(VALU_DEP_1) | instskip(NEXT) | instid1(VALU_DEP_1)
	v_sub_nc_u32_e32 v0, v4, v0
	v_mad_u32 v2, v0, s14, v2
	v_mad_u32 v3, v0, s15, v3
.LBB13_152:
	global_load_b32 v0, v3, s[6:7]
                                        ; implicit-def: $vgpr4
                                        ; implicit-def: $vgpr3
	s_mov_b32 s1, exec_lo
	s_wait_loadcnt 0x0
	v_and_b32_e32 v1, 0x7fffffff, v0
	s_wait_xcnt 0x0
	v_cmpx_ngt_f32_e64 0x48000000, |v0|
	s_xor_b32 s6, exec_lo, s1
	s_cbranch_execz .LBB13_154
; %bb.153:
	s_mov_b32 s0, 0x7fffff
	v_mov_b32_e32 v5, 0
	v_and_or_b32 v4, v1, s0, 0x800000
	s_mov_b64 s[0:1], 0xfe5163ab
	v_lshrrev_b32_e32 v3, 23, v1
	s_delay_alu instid0(VALU_DEP_2) | instskip(NEXT) | instid1(VALU_DEP_1)
	v_mul_u64_e32 v[6:7], s[0:1], v[4:5]
	v_dual_mov_b32 v8, v7 :: v_dual_mov_b32 v9, v5
	v_dual_mov_b32 v11, v5 :: v_dual_mov_b32 v13, v5
	;; [unrolled: 1-line block ×3, first 2 shown]
	s_delay_alu instid0(VALU_DEP_3) | instskip(NEXT) | instid1(VALU_DEP_1)
	v_mad_nc_u64_u32 v[8:9], 0x3c439041, v4, v[8:9]
	v_mov_b32_e32 v10, v9
	s_delay_alu instid0(VALU_DEP_1) | instskip(NEXT) | instid1(VALU_DEP_1)
	v_mad_nc_u64_u32 v[10:11], 0xdb629599, v4, v[10:11]
	v_mov_b32_e32 v12, v11
	s_delay_alu instid0(VALU_DEP_1) | instskip(NEXT) | instid1(VALU_DEP_1)
	;; [unrolled: 3-line block ×3, first 2 shown]
	v_mad_nc_u64_u32 v[14:15], 0xfc2757d1, v4, v[14:15]
	v_dual_mov_b32 v17, v5 :: v_dual_mov_b32 v16, v15
	s_delay_alu instid0(VALU_DEP_1) | instskip(NEXT) | instid1(VALU_DEP_1)
	v_mad_nc_u64_u32 v[16:17], 0x4e441529, v4, v[16:17]
	v_dual_mov_b32 v18, v17 :: v_dual_add_nc_u32 v3, 0xffffff88, v3
	s_delay_alu instid0(VALU_DEP_1) | instskip(NEXT) | instid1(VALU_DEP_2)
	v_cmp_lt_u32_e32 vcc_lo, 63, v3
	v_mad_nc_u64_u32 v[4:5], 0xa2f9836e, v4, v[18:19]
	v_cndmask_b32_e64 v7, 0, 0xffffffc0, vcc_lo
	v_dual_cndmask_b32 v9, v16, v12 :: v_dual_cndmask_b32 v6, v10, v6
	s_delay_alu instid0(VALU_DEP_2) | instskip(NEXT) | instid1(VALU_DEP_1)
	v_add_nc_u32_e32 v3, v7, v3
	v_cmp_lt_u32_e64 s0, 31, v3
	v_dual_cndmask_b32 v4, v4, v14 :: v_dual_cndmask_b32 v5, v5, v16
	s_delay_alu instid0(VALU_DEP_2) | instskip(NEXT) | instid1(VALU_DEP_1)
	v_cndmask_b32_e64 v7, 0, 0xffffffe0, s0
	v_add_nc_u32_e32 v3, v7, v3
	s_delay_alu instid0(VALU_DEP_1) | instskip(NEXT) | instid1(VALU_DEP_1)
	v_cmp_lt_u32_e64 s1, 31, v3
	v_cndmask_b32_e64 v7, 0, 0xffffffe0, s1
	s_delay_alu instid0(VALU_DEP_1) | instskip(SKIP_2) | instid1(VALU_DEP_3)
	v_dual_cndmask_b32 v11, v14, v10, vcc_lo :: v_dual_add_nc_u32 v3, v7, v3
	v_cndmask_b32_e32 v7, v12, v8, vcc_lo
	v_dual_cndmask_b32 v8, v4, v9, s0 :: v_dual_cndmask_b32 v4, v5, v4, s0
	v_cndmask_b32_e64 v5, v9, v11, s0
	s_delay_alu instid0(VALU_DEP_4) | instskip(NEXT) | instid1(VALU_DEP_4)
	v_sub_nc_u32_e32 v9, 32, v3
	v_cndmask_b32_e64 v11, v11, v7, s0
	v_cmp_eq_u32_e32 vcc_lo, 0, v3
	v_cndmask_b32_e64 v4, v4, v8, s1
	s_delay_alu instid0(VALU_DEP_3) | instskip(NEXT) | instid1(VALU_DEP_1)
	v_dual_cndmask_b32 v8, v8, v5, s1 :: v_dual_cndmask_b32 v5, v5, v11, s1
	v_alignbit_b32 v12, v4, v8, v9
	s_delay_alu instid0(VALU_DEP_2) | instskip(NEXT) | instid1(VALU_DEP_2)
	v_alignbit_b32 v10, v8, v5, v9
	v_dual_cndmask_b32 v3, v12, v4, vcc_lo :: v_dual_cndmask_b32 v4, v7, v6, s0
	s_delay_alu instid0(VALU_DEP_1) | instskip(NEXT) | instid1(VALU_DEP_1)
	v_bfe_u32 v7, v3, 29, 1
	v_dual_cndmask_b32 v6, v10, v8, vcc_lo :: v_dual_sub_nc_u32 v10, 0, v7
	s_delay_alu instid0(VALU_DEP_1) | instskip(NEXT) | instid1(VALU_DEP_1)
	v_alignbit_b32 v8, v3, v6, 30
	v_dual_cndmask_b32 v4, v11, v4, s1 :: v_dual_bitop2_b32 v8, v8, v10 bitop3:0x14
	s_delay_alu instid0(VALU_DEP_1) | instskip(NEXT) | instid1(VALU_DEP_1)
	v_alignbit_b32 v9, v5, v4, v9
	v_cndmask_b32_e32 v5, v9, v5, vcc_lo
	s_delay_alu instid0(VALU_DEP_3) | instskip(NEXT) | instid1(VALU_DEP_2)
	v_clz_i32_u32_e32 v9, v8
	v_alignbit_b32 v4, v5, v4, 30
	s_delay_alu instid0(VALU_DEP_2) | instskip(NEXT) | instid1(VALU_DEP_2)
	v_min_u32_e32 v9, 32, v9
	v_xor_b32_e32 v4, v4, v10
	v_alignbit_b32 v6, v6, v5, 30
	s_delay_alu instid0(VALU_DEP_1) | instskip(SKIP_1) | instid1(VALU_DEP_1)
	v_dual_lshlrev_b32 v11, 23, v9 :: v_dual_bitop2_b32 v5, v6, v10 bitop3:0x14
	v_dual_sub_nc_u32 v6, 31, v9 :: v_dual_lshrrev_b32 v10, 29, v3
	v_alignbit_b32 v8, v8, v5, v6
	v_alignbit_b32 v4, v5, v4, v6
	s_delay_alu instid0(VALU_DEP_3) | instskip(NEXT) | instid1(VALU_DEP_2)
	v_lshlrev_b32_e32 v5, 31, v10
	v_alignbit_b32 v6, v8, v4, 9
	s_delay_alu instid0(VALU_DEP_2) | instskip(NEXT) | instid1(VALU_DEP_2)
	v_dual_lshrrev_b32 v8, 9, v8 :: v_dual_bitop2_b32 v10, 0.5, v5 bitop3:0x54
	v_clz_i32_u32_e32 v12, v6
	s_delay_alu instid0(VALU_DEP_2) | instskip(SKIP_1) | instid1(VALU_DEP_3)
	v_sub_nc_u32_e32 v10, v10, v11
	v_or_b32_e32 v5, 0x33000000, v5
	v_min_u32_e32 v11, 32, v12
	s_delay_alu instid0(VALU_DEP_1) | instskip(NEXT) | instid1(VALU_DEP_4)
	v_add_lshl_u32 v9, v11, v9, 23
	v_or_b32_e32 v8, v8, v10
	v_not_b32_e32 v10, v11
	s_delay_alu instid0(VALU_DEP_2) | instskip(NEXT) | instid1(VALU_DEP_2)
	v_dual_mul_f32 v12, 0x3fc90fda, v8 :: v_dual_sub_nc_u32 v5, v5, v9
	v_alignbit_b32 v4, v6, v4, v10
	s_delay_alu instid0(VALU_DEP_2) | instskip(NEXT) | instid1(VALU_DEP_2)
	v_fma_f32 v6, 0x3fc90fda, v8, -v12
	v_lshrrev_b32_e32 v4, 9, v4
	s_delay_alu instid0(VALU_DEP_2) | instskip(NEXT) | instid1(VALU_DEP_2)
	v_fmamk_f32 v6, v8, 0x33a22168, v6
	v_or_b32_e32 v4, v5, v4
	s_delay_alu instid0(VALU_DEP_1) | instskip(NEXT) | instid1(VALU_DEP_1)
	v_fmac_f32_e32 v6, 0x3fc90fda, v4
	v_dual_add_f32 v3, v12, v6 :: v_dual_lshrrev_b32 v4, 30, v3
	s_delay_alu instid0(VALU_DEP_1)
	v_add_nc_u32_e32 v4, v7, v4
.LBB13_154:
	s_and_not1_saveexec_b32 s0, s6
; %bb.155:
	v_mul_f32_e64 v3, 0x3f22f983, |v0|
	s_delay_alu instid0(VALU_DEP_1) | instskip(NEXT) | instid1(VALU_DEP_1)
	v_rndne_f32_e32 v4, v3
	v_fma_f32 v3, 0xbfc90fda, v4, |v0|
	s_delay_alu instid0(VALU_DEP_1) | instskip(NEXT) | instid1(VALU_DEP_1)
	v_fmamk_f32 v3, v4, 0xb3a22168, v3
	v_fmamk_f32 v3, v4, 0xa7c234c4, v3
	v_cvt_i32_f32_e32 v4, v4
; %bb.156:
	s_or_b32 exec_lo, exec_lo, s0
	s_delay_alu instid0(VALU_DEP_1) | instskip(SKIP_3) | instid1(VALU_DEP_2)
	v_dual_mul_f32 v5, v3, v3 :: v_dual_bitop2_b32 v8, 1, v4 bitop3:0x40
	s_mov_b32 s0, 0xb94c1982
	s_mov_b32 s1, 0x37d75334
	v_lshlrev_b32_e32 v4, 30, v4
	v_fmaak_f32 v6, s0, v5, 0x3c0881c4
	v_cmp_eq_u32_e32 vcc_lo, 0, v8
	v_xor_b32_e32 v1, v1, v0
	s_delay_alu instid0(VALU_DEP_4) | instskip(NEXT) | instid1(VALU_DEP_4)
	v_and_b32_e32 v4, 0x80000000, v4
	v_fmaak_f32 v6, v5, v6, 0xbe2aaa9d
	s_delay_alu instid0(VALU_DEP_1) | instskip(NEXT) | instid1(VALU_DEP_1)
	v_dual_fmaak_f32 v7, s1, v5, 0xbab64f3b :: v_dual_mul_f32 v6, v5, v6
	v_fmaak_f32 v7, v5, v7, 0x3d2aabf7
	s_delay_alu instid0(VALU_DEP_2) | instskip(NEXT) | instid1(VALU_DEP_2)
	v_fmac_f32_e32 v3, v3, v6
	v_fmaak_f32 v7, v5, v7, 0xbf000004
	s_delay_alu instid0(VALU_DEP_1) | instskip(NEXT) | instid1(VALU_DEP_1)
	v_fma_f32 v5, v5, v7, 1.0
	v_cndmask_b32_e32 v3, v5, v3, vcc_lo
	v_cmp_class_f32_e64 vcc_lo, v0, 0x1f8
	s_delay_alu instid0(VALU_DEP_2) | instskip(NEXT) | instid1(VALU_DEP_1)
	v_xor3_b32 v1, v1, v4, v3
	v_cndmask_b32_e32 v0, 0x7fc00000, v1, vcc_lo
	global_store_b32 v2, v0, s[4:5]
	s_wait_xcnt 0x0
	s_or_b32 exec_lo, exec_lo, s9
                                        ; implicit-def: $vgpr8
                                        ; implicit-def: $vgpr0
	s_and_not1_saveexec_b32 s0, s31
	s_cbranch_execz .LBB13_125
	s_branch .LBB13_8
	.section	.rodata,"a",@progbits
	.p2align	6, 0x0
	.amdhsa_kernel _ZN2at6native32elementwise_kernel_manual_unrollILi128ELi4EZNS0_22gpu_kernel_impl_nocastIZZZNS0_15sin_kernel_cudaERNS_18TensorIteratorBaseEENKUlvE0_clEvENKUlvE0_clEvEUlfE_EEvS4_RKT_EUlibE_EEviT1_
		.amdhsa_group_segment_fixed_size 0
		.amdhsa_private_segment_fixed_size 0
		.amdhsa_kernarg_size 360
		.amdhsa_user_sgpr_count 2
		.amdhsa_user_sgpr_dispatch_ptr 0
		.amdhsa_user_sgpr_queue_ptr 0
		.amdhsa_user_sgpr_kernarg_segment_ptr 1
		.amdhsa_user_sgpr_dispatch_id 0
		.amdhsa_user_sgpr_kernarg_preload_length 0
		.amdhsa_user_sgpr_kernarg_preload_offset 0
		.amdhsa_user_sgpr_private_segment_size 0
		.amdhsa_wavefront_size32 1
		.amdhsa_uses_dynamic_stack 0
		.amdhsa_enable_private_segment 0
		.amdhsa_system_sgpr_workgroup_id_x 1
		.amdhsa_system_sgpr_workgroup_id_y 0
		.amdhsa_system_sgpr_workgroup_id_z 0
		.amdhsa_system_sgpr_workgroup_info 0
		.amdhsa_system_vgpr_workitem_id 0
		.amdhsa_next_free_vgpr 34
		.amdhsa_next_free_sgpr 60
		.amdhsa_named_barrier_count 0
		.amdhsa_reserve_vcc 1
		.amdhsa_float_round_mode_32 0
		.amdhsa_float_round_mode_16_64 0
		.amdhsa_float_denorm_mode_32 3
		.amdhsa_float_denorm_mode_16_64 3
		.amdhsa_fp16_overflow 0
		.amdhsa_memory_ordered 1
		.amdhsa_forward_progress 1
		.amdhsa_inst_pref_size 109
		.amdhsa_round_robin_scheduling 0
		.amdhsa_exception_fp_ieee_invalid_op 0
		.amdhsa_exception_fp_denorm_src 0
		.amdhsa_exception_fp_ieee_div_zero 0
		.amdhsa_exception_fp_ieee_overflow 0
		.amdhsa_exception_fp_ieee_underflow 0
		.amdhsa_exception_fp_ieee_inexact 0
		.amdhsa_exception_int_div_zero 0
	.end_amdhsa_kernel
	.section	.text._ZN2at6native32elementwise_kernel_manual_unrollILi128ELi4EZNS0_22gpu_kernel_impl_nocastIZZZNS0_15sin_kernel_cudaERNS_18TensorIteratorBaseEENKUlvE0_clEvENKUlvE0_clEvEUlfE_EEvS4_RKT_EUlibE_EEviT1_,"axG",@progbits,_ZN2at6native32elementwise_kernel_manual_unrollILi128ELi4EZNS0_22gpu_kernel_impl_nocastIZZZNS0_15sin_kernel_cudaERNS_18TensorIteratorBaseEENKUlvE0_clEvENKUlvE0_clEvEUlfE_EEvS4_RKT_EUlibE_EEviT1_,comdat
.Lfunc_end13:
	.size	_ZN2at6native32elementwise_kernel_manual_unrollILi128ELi4EZNS0_22gpu_kernel_impl_nocastIZZZNS0_15sin_kernel_cudaERNS_18TensorIteratorBaseEENKUlvE0_clEvENKUlvE0_clEvEUlfE_EEvS4_RKT_EUlibE_EEviT1_, .Lfunc_end13-_ZN2at6native32elementwise_kernel_manual_unrollILi128ELi4EZNS0_22gpu_kernel_impl_nocastIZZZNS0_15sin_kernel_cudaERNS_18TensorIteratorBaseEENKUlvE0_clEvENKUlvE0_clEvEUlfE_EEvS4_RKT_EUlibE_EEviT1_
                                        ; -- End function
	.set _ZN2at6native32elementwise_kernel_manual_unrollILi128ELi4EZNS0_22gpu_kernel_impl_nocastIZZZNS0_15sin_kernel_cudaERNS_18TensorIteratorBaseEENKUlvE0_clEvENKUlvE0_clEvEUlfE_EEvS4_RKT_EUlibE_EEviT1_.num_vgpr, 34
	.set _ZN2at6native32elementwise_kernel_manual_unrollILi128ELi4EZNS0_22gpu_kernel_impl_nocastIZZZNS0_15sin_kernel_cudaERNS_18TensorIteratorBaseEENKUlvE0_clEvENKUlvE0_clEvEUlfE_EEvS4_RKT_EUlibE_EEviT1_.num_agpr, 0
	.set _ZN2at6native32elementwise_kernel_manual_unrollILi128ELi4EZNS0_22gpu_kernel_impl_nocastIZZZNS0_15sin_kernel_cudaERNS_18TensorIteratorBaseEENKUlvE0_clEvENKUlvE0_clEvEUlfE_EEvS4_RKT_EUlibE_EEviT1_.numbered_sgpr, 60
	.set _ZN2at6native32elementwise_kernel_manual_unrollILi128ELi4EZNS0_22gpu_kernel_impl_nocastIZZZNS0_15sin_kernel_cudaERNS_18TensorIteratorBaseEENKUlvE0_clEvENKUlvE0_clEvEUlfE_EEvS4_RKT_EUlibE_EEviT1_.num_named_barrier, 0
	.set _ZN2at6native32elementwise_kernel_manual_unrollILi128ELi4EZNS0_22gpu_kernel_impl_nocastIZZZNS0_15sin_kernel_cudaERNS_18TensorIteratorBaseEENKUlvE0_clEvENKUlvE0_clEvEUlfE_EEvS4_RKT_EUlibE_EEviT1_.private_seg_size, 0
	.set _ZN2at6native32elementwise_kernel_manual_unrollILi128ELi4EZNS0_22gpu_kernel_impl_nocastIZZZNS0_15sin_kernel_cudaERNS_18TensorIteratorBaseEENKUlvE0_clEvENKUlvE0_clEvEUlfE_EEvS4_RKT_EUlibE_EEviT1_.uses_vcc, 1
	.set _ZN2at6native32elementwise_kernel_manual_unrollILi128ELi4EZNS0_22gpu_kernel_impl_nocastIZZZNS0_15sin_kernel_cudaERNS_18TensorIteratorBaseEENKUlvE0_clEvENKUlvE0_clEvEUlfE_EEvS4_RKT_EUlibE_EEviT1_.uses_flat_scratch, 0
	.set _ZN2at6native32elementwise_kernel_manual_unrollILi128ELi4EZNS0_22gpu_kernel_impl_nocastIZZZNS0_15sin_kernel_cudaERNS_18TensorIteratorBaseEENKUlvE0_clEvENKUlvE0_clEvEUlfE_EEvS4_RKT_EUlibE_EEviT1_.has_dyn_sized_stack, 0
	.set _ZN2at6native32elementwise_kernel_manual_unrollILi128ELi4EZNS0_22gpu_kernel_impl_nocastIZZZNS0_15sin_kernel_cudaERNS_18TensorIteratorBaseEENKUlvE0_clEvENKUlvE0_clEvEUlfE_EEvS4_RKT_EUlibE_EEviT1_.has_recursion, 0
	.set _ZN2at6native32elementwise_kernel_manual_unrollILi128ELi4EZNS0_22gpu_kernel_impl_nocastIZZZNS0_15sin_kernel_cudaERNS_18TensorIteratorBaseEENKUlvE0_clEvENKUlvE0_clEvEUlfE_EEvS4_RKT_EUlibE_EEviT1_.has_indirect_call, 0
	.section	.AMDGPU.csdata,"",@progbits
; Kernel info:
; codeLenInByte = 13932
; TotalNumSgprs: 62
; NumVgprs: 34
; ScratchSize: 0
; MemoryBound: 0
; FloatMode: 240
; IeeeMode: 1
; LDSByteSize: 0 bytes/workgroup (compile time only)
; SGPRBlocks: 0
; VGPRBlocks: 2
; NumSGPRsForWavesPerEU: 62
; NumVGPRsForWavesPerEU: 34
; NamedBarCnt: 0
; Occupancy: 16
; WaveLimiterHint : 1
; COMPUTE_PGM_RSRC2:SCRATCH_EN: 0
; COMPUTE_PGM_RSRC2:USER_SGPR: 2
; COMPUTE_PGM_RSRC2:TRAP_HANDLER: 0
; COMPUTE_PGM_RSRC2:TGID_X_EN: 1
; COMPUTE_PGM_RSRC2:TGID_Y_EN: 0
; COMPUTE_PGM_RSRC2:TGID_Z_EN: 0
; COMPUTE_PGM_RSRC2:TIDIG_COMP_CNT: 0
	.section	.text._ZN2at6native32elementwise_kernel_manual_unrollILi128ELi4EZNS0_15gpu_kernel_implIZZZNS0_15sin_kernel_cudaERNS_18TensorIteratorBaseEENKUlvE0_clEvENKUlvE0_clEvEUlfE_EEvS4_RKT_EUlibE_EEviT1_,"axG",@progbits,_ZN2at6native32elementwise_kernel_manual_unrollILi128ELi4EZNS0_15gpu_kernel_implIZZZNS0_15sin_kernel_cudaERNS_18TensorIteratorBaseEENKUlvE0_clEvENKUlvE0_clEvEUlfE_EEvS4_RKT_EUlibE_EEviT1_,comdat
	.globl	_ZN2at6native32elementwise_kernel_manual_unrollILi128ELi4EZNS0_15gpu_kernel_implIZZZNS0_15sin_kernel_cudaERNS_18TensorIteratorBaseEENKUlvE0_clEvENKUlvE0_clEvEUlfE_EEvS4_RKT_EUlibE_EEviT1_ ; -- Begin function _ZN2at6native32elementwise_kernel_manual_unrollILi128ELi4EZNS0_15gpu_kernel_implIZZZNS0_15sin_kernel_cudaERNS_18TensorIteratorBaseEENKUlvE0_clEvENKUlvE0_clEvEUlfE_EEvS4_RKT_EUlibE_EEviT1_
	.p2align	8
	.type	_ZN2at6native32elementwise_kernel_manual_unrollILi128ELi4EZNS0_15gpu_kernel_implIZZZNS0_15sin_kernel_cudaERNS_18TensorIteratorBaseEENKUlvE0_clEvENKUlvE0_clEvEUlfE_EEvS4_RKT_EUlibE_EEviT1_,@function
_ZN2at6native32elementwise_kernel_manual_unrollILi128ELi4EZNS0_15gpu_kernel_implIZZZNS0_15sin_kernel_cudaERNS_18TensorIteratorBaseEENKUlvE0_clEvENKUlvE0_clEvEUlfE_EEvS4_RKT_EUlibE_EEviT1_: ; @_ZN2at6native32elementwise_kernel_manual_unrollILi128ELi4EZNS0_15gpu_kernel_implIZZZNS0_15sin_kernel_cudaERNS_18TensorIteratorBaseEENKUlvE0_clEvENKUlvE0_clEvEUlfE_EEvS4_RKT_EUlibE_EEviT1_
; %bb.0:
	v_mov_b32_e32 v1, 0
	s_bfe_u32 s10, ttmp6, 0x4000c
	s_clause 0x1
	s_load_b32 s13, s[0:1], 0x0
	s_load_b128 s[4:7], s[0:1], 0x8
	s_add_co_i32 s10, s10, 1
	s_and_b32 s9, ttmp6, 15
	global_load_u16 v1, v1, s[0:1] offset:33
	s_load_b64 s[2:3], s[0:1], 0x18
	s_wait_xcnt 0x0
	s_mul_i32 s1, ttmp9, s10
	s_getreg_b32 s11, hwreg(HW_REG_IB_STS2, 6, 4)
	s_add_co_i32 s9, s9, s1
	s_mov_b32 s12, 0
	s_wait_loadcnt 0x0
	v_readfirstlane_b32 s8, v1
	s_and_b32 s0, 0xffff, s8
	s_delay_alu instid0(SALU_CYCLE_1)
	s_lshr_b32 s10, s0, 8
	s_cmp_eq_u32 s11, 0
	s_cselect_b32 s0, ttmp9, s9
	s_mov_b32 s9, 0
	v_lshl_or_b32 v4, s0, 9, v0
	s_mov_b32 s0, exec_lo
	s_delay_alu instid0(VALU_DEP_1) | instskip(SKIP_1) | instid1(VALU_DEP_1)
	v_or_b32_e32 v0, 0x180, v4
	s_wait_kmcnt 0x0
	v_cmpx_le_i32_e64 s13, v0
	s_xor_b32 s11, exec_lo, s0
	s_cbranch_execz .LBB14_1044
; %bb.1:
	s_mov_b32 s1, -1
	s_mov_b32 s16, 0
	s_mov_b32 s14, 0
	s_mov_b32 s15, exec_lo
	v_cmpx_gt_i32_e64 s13, v4
	s_cbranch_execz .LBB14_256
; %bb.2:
	v_mul_lo_u32 v0, v4, s3
	s_and_b32 s0, 0xffff, s10
	s_delay_alu instid0(SALU_CYCLE_1) | instskip(NEXT) | instid1(VALU_DEP_1)
	s_cmp_lt_i32 s0, 11
	v_ashrrev_i32_e32 v1, 31, v0
	s_delay_alu instid0(VALU_DEP_1)
	v_add_nc_u64_e32 v[0:1], s[6:7], v[0:1]
	s_cbranch_scc1 .LBB14_9
; %bb.3:
	s_cmp_gt_i32 s0, 25
	s_cbranch_scc0 .LBB14_61
; %bb.4:
	s_cmp_gt_i32 s0, 28
	s_cbranch_scc0 .LBB14_62
	;; [unrolled: 3-line block ×4, first 2 shown]
; %bb.7:
	s_cmp_eq_u32 s0, 46
	s_cbranch_scc0 .LBB14_68
; %bb.8:
	global_load_b32 v2, v[0:1], off
	s_wait_loadcnt 0x0
	v_lshlrev_b32_e32 v2, 16, v2
	s_branch .LBB14_70
.LBB14_9:
	s_mov_b32 s1, 0
                                        ; implicit-def: $vgpr2
	s_cbranch_execnz .LBB14_206
.LBB14_10:
	s_and_not1_b32 vcc_lo, exec_lo, s1
	s_cbranch_vccnz .LBB14_253
.LBB14_11:
	s_wait_loadcnt 0x0
	s_delay_alu instid0(VALU_DEP_1)
	v_and_b32_e32 v0, 0x7fffffff, v2
                                        ; implicit-def: $vgpr3
                                        ; implicit-def: $vgpr1
	s_mov_b32 s1, exec_lo
	v_cmpx_ngt_f32_e64 0x48000000, |v2|
	s_xor_b32 s12, exec_lo, s1
	s_cbranch_execz .LBB14_13
; %bb.12:
	s_mov_b32 s0, 0x7fffff
	v_mov_b32_e32 v7, 0
	v_and_or_b32 v6, v0, s0, 0x800000
	s_mov_b64 s[0:1], 0xfe5163ab
	v_lshrrev_b32_e32 v1, 23, v0
	s_delay_alu instid0(VALU_DEP_2) | instskip(NEXT) | instid1(VALU_DEP_1)
	v_mul_u64_e32 v[8:9], s[0:1], v[6:7]
	v_dual_mov_b32 v10, v9 :: v_dual_mov_b32 v11, v7
	v_dual_mov_b32 v13, v7 :: v_dual_mov_b32 v15, v7
	v_mov_b32_e32 v17, v7
	s_delay_alu instid0(VALU_DEP_3) | instskip(NEXT) | instid1(VALU_DEP_1)
	v_mad_nc_u64_u32 v[10:11], 0x3c439041, v6, v[10:11]
	v_mov_b32_e32 v12, v11
	s_delay_alu instid0(VALU_DEP_1) | instskip(NEXT) | instid1(VALU_DEP_1)
	v_mad_nc_u64_u32 v[12:13], 0xdb629599, v6, v[12:13]
	v_mov_b32_e32 v14, v13
	s_delay_alu instid0(VALU_DEP_1) | instskip(NEXT) | instid1(VALU_DEP_1)
	;; [unrolled: 3-line block ×3, first 2 shown]
	v_mad_nc_u64_u32 v[16:17], 0xfc2757d1, v6, v[16:17]
	v_dual_mov_b32 v19, v7 :: v_dual_mov_b32 v18, v17
	s_delay_alu instid0(VALU_DEP_1) | instskip(NEXT) | instid1(VALU_DEP_1)
	v_mad_nc_u64_u32 v[18:19], 0x4e441529, v6, v[18:19]
	v_dual_mov_b32 v20, v19 :: v_dual_add_nc_u32 v1, 0xffffff88, v1
	s_delay_alu instid0(VALU_DEP_1) | instskip(SKIP_2) | instid1(VALU_DEP_2)
	v_cmp_lt_u32_e32 vcc_lo, 63, v1
	v_mov_b32_e32 v21, v7
	v_cndmask_b32_e64 v3, 0, 0xffffffc0, vcc_lo
	v_mad_nc_u64_u32 v[6:7], 0xa2f9836e, v6, v[20:21]
	v_dual_cndmask_b32 v5, v18, v14, vcc_lo :: v_dual_cndmask_b32 v9, v16, v12, vcc_lo
	s_delay_alu instid0(VALU_DEP_3) | instskip(NEXT) | instid1(VALU_DEP_1)
	v_dual_cndmask_b32 v8, v12, v8 :: v_dual_add_nc_u32 v1, v3, v1
	v_cmp_lt_u32_e64 s0, 31, v1
	s_delay_alu instid0(VALU_DEP_4) | instskip(NEXT) | instid1(VALU_DEP_2)
	v_dual_cndmask_b32 v6, v6, v16 :: v_dual_cndmask_b32 v7, v7, v18
	v_cndmask_b32_e64 v3, 0, 0xffffffe0, s0
	s_delay_alu instid0(VALU_DEP_1) | instskip(NEXT) | instid1(VALU_DEP_1)
	v_add_nc_u32_e32 v1, v3, v1
	v_cmp_lt_u32_e64 s1, 31, v1
	s_delay_alu instid0(VALU_DEP_1) | instskip(NEXT) | instid1(VALU_DEP_1)
	v_cndmask_b32_e64 v3, 0, 0xffffffe0, s1
	v_dual_add_nc_u32 v1, v3, v1 :: v_dual_cndmask_b32 v3, v14, v10, vcc_lo
	v_dual_cndmask_b32 v10, v6, v5, s0 :: v_dual_cndmask_b32 v6, v7, v6, s0
	v_cndmask_b32_e64 v5, v5, v9, s0
	s_delay_alu instid0(VALU_DEP_3) | instskip(SKIP_1) | instid1(VALU_DEP_4)
	v_dual_sub_nc_u32 v7, 32, v1 :: v_dual_cndmask_b32 v9, v9, v3, s0
	v_cmp_eq_u32_e32 vcc_lo, 0, v1
	v_cndmask_b32_e64 v6, v6, v10, s1
	s_delay_alu instid0(VALU_DEP_4) | instskip(NEXT) | instid1(VALU_DEP_4)
	v_cndmask_b32_e64 v10, v10, v5, s1
	v_cndmask_b32_e64 v5, v5, v9, s1
	s_delay_alu instid0(VALU_DEP_2) | instskip(NEXT) | instid1(VALU_DEP_2)
	v_alignbit_b32 v11, v6, v10, v7
	v_alignbit_b32 v12, v10, v5, v7
	v_cndmask_b32_e64 v3, v3, v8, s0
	s_delay_alu instid0(VALU_DEP_3) | instskip(NEXT) | instid1(VALU_DEP_2)
	v_cndmask_b32_e32 v1, v11, v6, vcc_lo
	v_dual_cndmask_b32 v6, v12, v10, vcc_lo :: v_dual_cndmask_b32 v3, v9, v3, s1
	s_delay_alu instid0(VALU_DEP_2) | instskip(NEXT) | instid1(VALU_DEP_2)
	v_bfe_u32 v8, v1, 29, 1
	v_alignbit_b32 v9, v1, v6, 30
	s_delay_alu instid0(VALU_DEP_3) | instskip(NEXT) | instid1(VALU_DEP_1)
	v_alignbit_b32 v7, v5, v3, v7
	v_dual_cndmask_b32 v5, v7, v5 :: v_dual_sub_nc_u32 v10, 0, v8
	s_delay_alu instid0(VALU_DEP_1) | instskip(NEXT) | instid1(VALU_DEP_2)
	v_xor_b32_e32 v9, v9, v10
	v_alignbit_b32 v6, v6, v5, 30
	v_alignbit_b32 v3, v5, v3, 30
	s_delay_alu instid0(VALU_DEP_3) | instskip(NEXT) | instid1(VALU_DEP_3)
	v_clz_i32_u32_e32 v7, v9
	v_xor_b32_e32 v5, v6, v10
	s_delay_alu instid0(VALU_DEP_3) | instskip(NEXT) | instid1(VALU_DEP_3)
	v_xor_b32_e32 v3, v3, v10
	v_min_u32_e32 v7, 32, v7
	s_delay_alu instid0(VALU_DEP_1) | instskip(SKIP_1) | instid1(VALU_DEP_2)
	v_dual_lshrrev_b32 v10, 29, v1 :: v_dual_sub_nc_u32 v6, 31, v7
	v_lshlrev_b32_e32 v11, 23, v7
	v_alignbit_b32 v9, v9, v5, v6
	v_alignbit_b32 v3, v5, v3, v6
	s_delay_alu instid0(VALU_DEP_4) | instskip(NEXT) | instid1(VALU_DEP_2)
	v_lshlrev_b32_e32 v5, 31, v10
	v_alignbit_b32 v6, v9, v3, 9
	s_delay_alu instid0(VALU_DEP_2) | instskip(SKIP_2) | instid1(VALU_DEP_4)
	v_or_b32_e32 v10, 0.5, v5
	v_lshrrev_b32_e32 v9, 9, v9
	v_or_b32_e32 v5, 0x33000000, v5
	v_clz_i32_u32_e32 v12, v6
	s_delay_alu instid0(VALU_DEP_4) | instskip(NEXT) | instid1(VALU_DEP_2)
	v_sub_nc_u32_e32 v10, v10, v11
	v_min_u32_e32 v11, 32, v12
	s_delay_alu instid0(VALU_DEP_2) | instskip(NEXT) | instid1(VALU_DEP_2)
	v_or_b32_e32 v9, v9, v10
	v_not_b32_e32 v10, v11
	v_add_lshl_u32 v7, v11, v7, 23
	s_delay_alu instid0(VALU_DEP_2) | instskip(NEXT) | instid1(VALU_DEP_2)
	v_alignbit_b32 v3, v6, v3, v10
	v_sub_nc_u32_e32 v5, v5, v7
	s_delay_alu instid0(VALU_DEP_2) | instskip(NEXT) | instid1(VALU_DEP_1)
	v_dual_mul_f32 v12, 0x3fc90fda, v9 :: v_dual_lshrrev_b32 v3, 9, v3
	v_or_b32_e32 v3, v5, v3
	s_delay_alu instid0(VALU_DEP_2) | instskip(NEXT) | instid1(VALU_DEP_1)
	v_fma_f32 v6, 0x3fc90fda, v9, -v12
	v_fmamk_f32 v6, v9, 0x33a22168, v6
	s_delay_alu instid0(VALU_DEP_1) | instskip(NEXT) | instid1(VALU_DEP_1)
	v_dual_fmac_f32 v6, 0x3fc90fda, v3 :: v_dual_lshrrev_b32 v3, 30, v1
	v_add_nc_u32_e32 v3, v8, v3
	s_delay_alu instid0(VALU_DEP_2)
	v_add_f32_e32 v1, v12, v6
.LBB14_13:
	s_and_not1_saveexec_b32 s0, s12
; %bb.14:
	v_mul_f32_e64 v1, 0x3f22f983, |v2|
	s_delay_alu instid0(VALU_DEP_1) | instskip(NEXT) | instid1(VALU_DEP_1)
	v_rndne_f32_e32 v3, v1
	v_fma_f32 v1, 0xbfc90fda, v3, |v2|
	s_delay_alu instid0(VALU_DEP_1) | instskip(NEXT) | instid1(VALU_DEP_1)
	v_fmamk_f32 v1, v3, 0xb3a22168, v1
	v_fmamk_f32 v1, v3, 0xa7c234c4, v1
	v_cvt_i32_f32_e32 v3, v3
; %bb.15:
	s_or_b32 exec_lo, exec_lo, s0
	s_delay_alu instid0(VALU_DEP_1) | instskip(SKIP_3) | instid1(VALU_DEP_1)
	v_dual_mul_f32 v5, v1, v1 :: v_dual_bitop2_b32 v9, 1, v3 bitop3:0x40
	s_mov_b32 s0, 0xb94c1982
	s_mov_b32 s1, 0x37d75334
	s_mov_b32 s12, -1
	v_dual_fmaak_f32 v6, s0, v5, 0x3c0881c4 :: v_dual_lshlrev_b32 v3, 30, v3
	v_cmp_eq_u32_e32 vcc_lo, 0, v9
	s_mov_b32 s0, 0
	s_mov_b32 s17, 0
	s_delay_alu instid0(VALU_DEP_2) | instskip(SKIP_4) | instid1(VALU_DEP_3)
	v_fmaak_f32 v6, v5, v6, 0xbe2aaa9d
	v_fmaak_f32 v7, s1, v5, 0xbab64f3b
	v_and_b32_e32 v3, 0x80000000, v3
	s_and_b32 s1, s8, 0xff
	v_xor_b32_e32 v0, v0, v2
	v_dual_mul_f32 v8, v5, v6 :: v_dual_fmaak_f32 v7, v5, v7, 0x3d2aabf7
	v_mul_lo_u32 v6, v4, s2
	s_cmp_lt_i32 s1, 11
	s_delay_alu instid0(VALU_DEP_2) | instskip(NEXT) | instid1(VALU_DEP_3)
	v_fmac_f32_e32 v1, v1, v8
	v_fmaak_f32 v7, v5, v7, 0xbf000004
	s_delay_alu instid0(VALU_DEP_1) | instskip(NEXT) | instid1(VALU_DEP_1)
	v_fma_f32 v5, v5, v7, 1.0
	v_cndmask_b32_e32 v1, v5, v1, vcc_lo
	v_cmp_class_f32_e64 vcc_lo, v2, 0x1f8
	s_delay_alu instid0(VALU_DEP_2) | instskip(NEXT) | instid1(VALU_DEP_1)
	v_xor3_b32 v3, v0, v3, v1
	v_dual_cndmask_b32 v2, 0x7fc00000, v3 :: v_dual_ashrrev_i32 v7, 31, v6
	s_delay_alu instid0(VALU_DEP_1)
	v_add_nc_u64_e32 v[0:1], s[4:5], v[6:7]
	s_cbranch_scc1 .LBB14_22
; %bb.16:
	s_and_b32 s12, 0xffff, s1
	s_delay_alu instid0(SALU_CYCLE_1)
	s_cmp_gt_i32 s12, 25
	s_cbranch_scc0 .LBB14_63
; %bb.17:
	s_cmp_gt_i32 s12, 28
	s_cbranch_scc0 .LBB14_65
; %bb.18:
	;; [unrolled: 3-line block ×4, first 2 shown]
	s_mov_b32 s18, 0
	s_mov_b32 s0, -1
	s_cmp_eq_u32 s12, 46
	s_cbranch_scc0 .LBB14_74
; %bb.21:
	v_bfe_u32 v3, v2, 16, 1
	v_cmp_o_f32_e32 vcc_lo, v2, v2
	s_mov_b32 s17, -1
	s_mov_b32 s0, 0
	s_delay_alu instid0(VALU_DEP_2) | instskip(NEXT) | instid1(VALU_DEP_1)
	v_add3_u32 v3, v2, v3, 0x7fff
	v_lshrrev_b32_e32 v3, 16, v3
	s_delay_alu instid0(VALU_DEP_1)
	v_cndmask_b32_e32 v3, 0x7fc0, v3, vcc_lo
	global_store_b32 v[0:1], v3, off
	s_branch .LBB14_74
.LBB14_22:
	s_and_b32 vcc_lo, exec_lo, s12
	s_cbranch_vccz .LBB14_143
; %bb.23:
	s_and_b32 s1, 0xffff, s1
	s_mov_b32 s12, -1
	s_cmp_lt_i32 s1, 5
	s_cbranch_scc1 .LBB14_44
; %bb.24:
	s_cmp_lt_i32 s1, 8
	s_cbranch_scc1 .LBB14_34
; %bb.25:
	;; [unrolled: 3-line block ×3, first 2 shown]
	s_cmp_gt_i32 s1, 9
	s_cbranch_scc0 .LBB14_28
; %bb.27:
	s_wait_xcnt 0x0
	v_cvt_f64_f32_e32 v[6:7], v2
	v_mov_b32_e32 v8, 0
	s_mov_b32 s12, 0
	s_delay_alu instid0(VALU_DEP_1)
	v_mov_b32_e32 v9, v8
	global_store_b128 v[0:1], v[6:9], off
.LBB14_28:
	s_and_not1_b32 vcc_lo, exec_lo, s12
	s_cbranch_vccnz .LBB14_30
; %bb.29:
	s_wait_xcnt 0x0
	v_mov_b32_e32 v3, 0
	global_store_b64 v[0:1], v[2:3], off
.LBB14_30:
	s_mov_b32 s12, 0
.LBB14_31:
	s_delay_alu instid0(SALU_CYCLE_1)
	s_and_not1_b32 vcc_lo, exec_lo, s12
	s_cbranch_vccnz .LBB14_33
; %bb.32:
	s_wait_xcnt 0x0
	v_cvt_f16_f32_e32 v3, v2
	s_delay_alu instid0(VALU_DEP_1)
	v_and_b32_e32 v3, 0xffff, v3
	global_store_b32 v[0:1], v3, off
.LBB14_33:
	s_mov_b32 s12, 0
.LBB14_34:
	s_delay_alu instid0(SALU_CYCLE_1)
	s_and_not1_b32 vcc_lo, exec_lo, s12
	s_cbranch_vccnz .LBB14_43
; %bb.35:
	s_cmp_lt_i32 s1, 6
	s_mov_b32 s12, -1
	s_cbranch_scc1 .LBB14_41
; %bb.36:
	s_cmp_gt_i32 s1, 6
	s_cbranch_scc0 .LBB14_38
; %bb.37:
	s_wait_xcnt 0x0
	v_cvt_f64_f32_e32 v[6:7], v2
	s_mov_b32 s12, 0
	global_store_b64 v[0:1], v[6:7], off
.LBB14_38:
	s_and_not1_b32 vcc_lo, exec_lo, s12
	s_cbranch_vccnz .LBB14_40
; %bb.39:
	global_store_b32 v[0:1], v2, off
.LBB14_40:
	s_mov_b32 s12, 0
.LBB14_41:
	s_delay_alu instid0(SALU_CYCLE_1)
	s_and_not1_b32 vcc_lo, exec_lo, s12
	s_cbranch_vccnz .LBB14_43
; %bb.42:
	s_wait_xcnt 0x0
	v_cvt_f16_f32_e32 v3, v2
	global_store_b16 v[0:1], v3, off
.LBB14_43:
	s_mov_b32 s12, 0
.LBB14_44:
	s_delay_alu instid0(SALU_CYCLE_1)
	s_and_not1_b32 vcc_lo, exec_lo, s12
	s_cbranch_vccnz .LBB14_60
; %bb.45:
	s_cmp_lt_i32 s1, 2
	s_mov_b32 s12, -1
	s_cbranch_scc1 .LBB14_55
; %bb.46:
	s_cmp_lt_i32 s1, 3
	s_cbranch_scc1 .LBB14_52
; %bb.47:
	s_cmp_gt_i32 s1, 3
	s_cbranch_scc0 .LBB14_49
; %bb.48:
	s_wait_xcnt 0x0
	v_trunc_f32_e32 v3, v2
	s_mov_b32 s12, 0
	s_delay_alu instid0(VALU_DEP_1) | instskip(SKIP_1) | instid1(VALU_DEP_2)
	v_mul_f32_e64 v5, 0x2f800000, |v3|
	v_ashrrev_i32_e32 v6, 31, v3
	v_floor_f32_e32 v5, v5
	s_delay_alu instid0(VALU_DEP_1) | instskip(SKIP_1) | instid1(VALU_DEP_2)
	v_fma_f32 v7, 0xcf800000, v5, |v3|
	v_cvt_u32_f32_e32 v3, v5
	v_cvt_u32_f32_e32 v5, v7
	s_delay_alu instid0(VALU_DEP_2) | instskip(NEXT) | instid1(VALU_DEP_2)
	v_dual_mov_b32 v7, v6 :: v_dual_bitop2_b32 v9, v3, v6 bitop3:0x14
	v_xor_b32_e32 v8, v5, v6
	s_delay_alu instid0(VALU_DEP_1)
	v_sub_nc_u64_e32 v[6:7], v[8:9], v[6:7]
	global_store_b64 v[0:1], v[6:7], off
.LBB14_49:
	s_and_not1_b32 vcc_lo, exec_lo, s12
	s_cbranch_vccnz .LBB14_51
; %bb.50:
	s_wait_xcnt 0x0
	v_cvt_i32_f32_e32 v3, v2
	global_store_b32 v[0:1], v3, off
.LBB14_51:
	s_mov_b32 s12, 0
.LBB14_52:
	s_delay_alu instid0(SALU_CYCLE_1)
	s_and_not1_b32 vcc_lo, exec_lo, s12
	s_cbranch_vccnz .LBB14_54
; %bb.53:
	s_wait_xcnt 0x0
	v_cvt_i32_f32_e32 v3, v2
	global_store_b16 v[0:1], v3, off
.LBB14_54:
	s_mov_b32 s12, 0
.LBB14_55:
	s_delay_alu instid0(SALU_CYCLE_1)
	s_and_not1_b32 vcc_lo, exec_lo, s12
	s_cbranch_vccnz .LBB14_60
; %bb.56:
	s_cmp_gt_i32 s1, 0
	s_mov_b32 s1, -1
	s_cbranch_scc0 .LBB14_58
; %bb.57:
	s_wait_xcnt 0x0
	v_cvt_i32_f32_e32 v3, v2
	s_mov_b32 s1, 0
	global_store_b8 v[0:1], v3, off
.LBB14_58:
	s_and_not1_b32 vcc_lo, exec_lo, s1
	s_cbranch_vccnz .LBB14_60
; %bb.59:
	s_wait_xcnt 0x0
	v_trunc_f32_e32 v2, v2
	s_delay_alu instid0(VALU_DEP_1) | instskip(NEXT) | instid1(VALU_DEP_1)
	v_mul_f32_e64 v3, 0x2f800000, |v2|
	v_floor_f32_e32 v3, v3
	s_delay_alu instid0(VALU_DEP_1) | instskip(SKIP_1) | instid1(VALU_DEP_2)
	v_fma_f32 v3, 0xcf800000, v3, |v2|
	v_ashrrev_i32_e32 v2, 31, v2
	v_cvt_u32_f32_e32 v3, v3
	s_delay_alu instid0(VALU_DEP_1) | instskip(NEXT) | instid1(VALU_DEP_1)
	v_xor_b32_e32 v3, v3, v2
	v_sub_nc_u32_e32 v2, v3, v2
	global_store_b8 v[0:1], v2, off
.LBB14_60:
	s_branch .LBB14_144
.LBB14_61:
	s_mov_b32 s1, 0
                                        ; implicit-def: $vgpr2
	s_cbranch_execnz .LBB14_171
	s_branch .LBB14_205
.LBB14_62:
	s_mov_b32 s12, -1
	s_mov_b32 s1, 0
                                        ; implicit-def: $vgpr2
	s_branch .LBB14_152
.LBB14_63:
	s_mov_b32 s18, -1
	s_branch .LBB14_101
.LBB14_64:
	s_mov_b32 s12, -1
	s_mov_b32 s1, 0
                                        ; implicit-def: $vgpr2
	s_branch .LBB14_147
.LBB14_65:
	s_mov_b32 s18, -1
	s_branch .LBB14_84
.LBB14_66:
	s_mov_b32 s12, -1
	s_branch .LBB14_69
.LBB14_67:
	s_mov_b32 s18, -1
	s_branch .LBB14_80
.LBB14_68:
	s_mov_b32 s14, -1
.LBB14_69:
	s_mov_b32 s1, 0
                                        ; implicit-def: $vgpr2
.LBB14_70:
	s_and_b32 vcc_lo, exec_lo, s12
	s_cbranch_vccz .LBB14_146
; %bb.71:
	s_cmp_eq_u32 s0, 44
	s_cbranch_scc0 .LBB14_145
; %bb.72:
	global_load_u8 v2, v[0:1], off
	s_mov_b32 s14, 0
	s_mov_b32 s1, -1
	s_wait_loadcnt 0x0
	v_lshlrev_b32_e32 v3, 23, v2
	v_cmp_ne_u32_e32 vcc_lo, 0xff, v2
	s_delay_alu instid0(VALU_DEP_2) | instskip(SKIP_1) | instid1(VALU_DEP_2)
	v_cndmask_b32_e32 v3, 0x7f800001, v3, vcc_lo
	v_cmp_ne_u32_e32 vcc_lo, 0, v2
	v_cndmask_b32_e32 v2, 0x400000, v3, vcc_lo
	s_branch .LBB14_146
.LBB14_73:
	s_mov_b32 s18, -1
.LBB14_74:
	s_delay_alu instid0(SALU_CYCLE_1)
	s_and_b32 vcc_lo, exec_lo, s18
	s_cbranch_vccz .LBB14_79
; %bb.75:
	s_cmp_eq_u32 s12, 44
	s_mov_b32 s0, -1
	s_cbranch_scc0 .LBB14_79
; %bb.76:
	v_bfe_u32 v5, v2, 23, 8
	s_wait_xcnt 0x0
	v_mov_b32_e32 v3, 0xff
	s_mov_b32 s17, exec_lo
	s_delay_alu instid0(VALU_DEP_2)
	v_cmpx_ne_u32_e32 0xff, v5
	s_cbranch_execz .LBB14_78
; %bb.77:
	v_and_b32_e32 v3, 0x400000, v2
	v_and_or_b32 v5, 0x3fffff, v2, v5
	s_delay_alu instid0(VALU_DEP_2) | instskip(NEXT) | instid1(VALU_DEP_2)
	v_cmp_ne_u32_e32 vcc_lo, 0, v3
	v_cmp_ne_u32_e64 s0, 0, v5
	v_lshrrev_b32_e32 v3, 23, v2
	s_and_b32 s0, vcc_lo, s0
	s_delay_alu instid0(SALU_CYCLE_1) | instskip(NEXT) | instid1(VALU_DEP_1)
	v_cndmask_b32_e64 v5, 0, 1, s0
	v_add_nc_u32_e32 v3, v3, v5
.LBB14_78:
	s_or_b32 exec_lo, exec_lo, s17
	s_mov_b32 s17, -1
	s_mov_b32 s0, 0
	global_store_b8 v[0:1], v3, off
.LBB14_79:
	s_mov_b32 s18, 0
.LBB14_80:
	s_delay_alu instid0(SALU_CYCLE_1)
	s_and_b32 vcc_lo, exec_lo, s18
	s_cbranch_vccz .LBB14_83
; %bb.81:
	s_cmp_eq_u32 s12, 29
	s_mov_b32 s0, -1
	s_cbranch_scc0 .LBB14_83
; %bb.82:
	s_wait_xcnt 0x0
	v_trunc_f32_e32 v3, v2
	s_mov_b32 s17, -1
	s_mov_b32 s0, 0
	s_mov_b32 s18, 0
	s_delay_alu instid0(VALU_DEP_1) | instskip(NEXT) | instid1(VALU_DEP_1)
	v_mul_f32_e32 v5, 0x2f800000, v3
	v_floor_f32_e32 v5, v5
	s_delay_alu instid0(VALU_DEP_1) | instskip(SKIP_1) | instid1(VALU_DEP_2)
	v_fmamk_f32 v3, v5, 0xcf800000, v3
	v_cvt_u32_f32_e32 v7, v5
	v_cvt_u32_f32_e32 v6, v3
	global_store_b64 v[0:1], v[6:7], off
	s_branch .LBB14_84
.LBB14_83:
	s_mov_b32 s18, 0
.LBB14_84:
	s_delay_alu instid0(SALU_CYCLE_1)
	s_and_b32 vcc_lo, exec_lo, s18
	s_cbranch_vccz .LBB14_100
; %bb.85:
	s_cmp_lt_i32 s12, 27
	s_mov_b32 s17, -1
	s_cbranch_scc1 .LBB14_91
; %bb.86:
	s_wait_xcnt 0x0
	v_cvt_u32_f32_e32 v3, v2
	s_cmp_gt_i32 s12, 27
	s_cbranch_scc0 .LBB14_88
; %bb.87:
	s_mov_b32 s17, 0
	global_store_b32 v[0:1], v3, off
.LBB14_88:
	s_and_not1_b32 vcc_lo, exec_lo, s17
	s_cbranch_vccnz .LBB14_90
; %bb.89:
	global_store_b16 v[0:1], v3, off
.LBB14_90:
	s_mov_b32 s17, 0
.LBB14_91:
	s_delay_alu instid0(SALU_CYCLE_1)
	s_and_not1_b32 vcc_lo, exec_lo, s17
	s_cbranch_vccnz .LBB14_99
; %bb.92:
	s_wait_xcnt 0x0
	v_and_b32_e32 v3, 0x7fffffff, v2
	v_mov_b32_e32 v5, 0x80
	s_mov_b32 s17, exec_lo
	s_delay_alu instid0(VALU_DEP_2)
	v_cmpx_gt_u32_e32 0x43800000, v3
	s_cbranch_execz .LBB14_98
; %bb.93:
	v_cmp_lt_u32_e32 vcc_lo, 0x3bffffff, v3
	s_mov_b32 s18, 0
                                        ; implicit-def: $vgpr3
	s_and_saveexec_b32 s19, vcc_lo
	s_delay_alu instid0(SALU_CYCLE_1)
	s_xor_b32 s19, exec_lo, s19
	s_cbranch_execz .LBB14_326
; %bb.94:
	v_bfe_u32 v3, v2, 20, 1
	s_mov_b32 s18, exec_lo
	s_delay_alu instid0(VALU_DEP_1) | instskip(NEXT) | instid1(VALU_DEP_1)
	v_add3_u32 v3, v2, v3, 0x487ffff
	v_lshrrev_b32_e32 v3, 20, v3
	s_and_not1_saveexec_b32 s19, s19
	s_cbranch_execnz .LBB14_327
.LBB14_95:
	s_or_b32 exec_lo, exec_lo, s19
	v_mov_b32_e32 v5, 0
	s_and_saveexec_b32 s19, s18
.LBB14_96:
	v_lshrrev_b32_e32 v5, 24, v2
	s_delay_alu instid0(VALU_DEP_1)
	v_and_or_b32 v5, 0x80, v5, v3
.LBB14_97:
	s_or_b32 exec_lo, exec_lo, s19
.LBB14_98:
	s_delay_alu instid0(SALU_CYCLE_1)
	s_or_b32 exec_lo, exec_lo, s17
	global_store_b8 v[0:1], v5, off
.LBB14_99:
	s_mov_b32 s17, -1
.LBB14_100:
	s_mov_b32 s18, 0
.LBB14_101:
	s_delay_alu instid0(SALU_CYCLE_1)
	s_and_b32 vcc_lo, exec_lo, s18
	s_cbranch_vccz .LBB14_142
; %bb.102:
	s_cmp_gt_i32 s12, 22
	s_mov_b32 s18, -1
	s_cbranch_scc0 .LBB14_134
; %bb.103:
	s_cmp_lt_i32 s12, 24
	s_mov_b32 s17, -1
	s_cbranch_scc1 .LBB14_123
; %bb.104:
	s_cmp_gt_i32 s12, 24
	s_cbranch_scc0 .LBB14_112
; %bb.105:
	s_wait_xcnt 0x0
	v_and_b32_e32 v3, 0x7fffffff, v2
	v_mov_b32_e32 v5, 0x80
	s_mov_b32 s17, exec_lo
	s_delay_alu instid0(VALU_DEP_2)
	v_cmpx_gt_u32_e32 0x47800000, v3
	s_cbranch_execz .LBB14_111
; %bb.106:
	v_cmp_lt_u32_e32 vcc_lo, 0x37ffffff, v3
	s_mov_b32 s18, 0
                                        ; implicit-def: $vgpr3
	s_and_saveexec_b32 s19, vcc_lo
	s_delay_alu instid0(SALU_CYCLE_1)
	s_xor_b32 s19, exec_lo, s19
	s_cbranch_execz .LBB14_330
; %bb.107:
	v_bfe_u32 v3, v2, 21, 1
	s_mov_b32 s18, exec_lo
	s_delay_alu instid0(VALU_DEP_1) | instskip(NEXT) | instid1(VALU_DEP_1)
	v_add3_u32 v3, v2, v3, 0x88fffff
	v_lshrrev_b32_e32 v3, 21, v3
	s_and_not1_saveexec_b32 s19, s19
	s_cbranch_execnz .LBB14_331
.LBB14_108:
	s_or_b32 exec_lo, exec_lo, s19
	v_mov_b32_e32 v5, 0
	s_and_saveexec_b32 s19, s18
.LBB14_109:
	v_lshrrev_b32_e32 v5, 24, v2
	s_delay_alu instid0(VALU_DEP_1)
	v_and_or_b32 v5, 0x80, v5, v3
.LBB14_110:
	s_or_b32 exec_lo, exec_lo, s19
.LBB14_111:
	s_delay_alu instid0(SALU_CYCLE_1)
	s_or_b32 exec_lo, exec_lo, s17
	s_mov_b32 s17, 0
	global_store_b8 v[0:1], v5, off
.LBB14_112:
	s_and_b32 vcc_lo, exec_lo, s17
	s_cbranch_vccz .LBB14_122
; %bb.113:
	s_wait_xcnt 0x0
	v_and_b32_e32 v5, 0x7fffffff, v2
	s_mov_b32 s17, exec_lo
                                        ; implicit-def: $vgpr3
	s_delay_alu instid0(VALU_DEP_1)
	v_cmpx_gt_u32_e32 0x43f00000, v5
	s_xor_b32 s17, exec_lo, s17
	s_cbranch_execz .LBB14_119
; %bb.114:
	s_mov_b32 s18, exec_lo
                                        ; implicit-def: $vgpr3
	v_cmpx_lt_u32_e32 0x3c7fffff, v5
	s_xor_b32 s18, exec_lo, s18
; %bb.115:
	v_bfe_u32 v3, v2, 20, 1
	s_delay_alu instid0(VALU_DEP_1) | instskip(NEXT) | instid1(VALU_DEP_1)
	v_add3_u32 v3, v2, v3, 0x407ffff
	v_and_b32_e32 v5, 0xff00000, v3
	v_lshrrev_b32_e32 v3, 20, v3
	s_delay_alu instid0(VALU_DEP_2) | instskip(NEXT) | instid1(VALU_DEP_2)
	v_cmp_ne_u32_e32 vcc_lo, 0x7f00000, v5
	v_cndmask_b32_e32 v3, 0x7e, v3, vcc_lo
; %bb.116:
	s_and_not1_saveexec_b32 s18, s18
; %bb.117:
	v_add_f32_e64 v3, 0x46800000, |v2|
; %bb.118:
	s_or_b32 exec_lo, exec_lo, s18
                                        ; implicit-def: $vgpr5
.LBB14_119:
	s_and_not1_saveexec_b32 s17, s17
; %bb.120:
	v_mov_b32_e32 v3, 0x7f
	v_cmp_lt_u32_e32 vcc_lo, 0x7f800000, v5
	s_delay_alu instid0(VALU_DEP_2)
	v_cndmask_b32_e32 v3, 0x7e, v3, vcc_lo
; %bb.121:
	s_or_b32 exec_lo, exec_lo, s17
	v_lshrrev_b32_e32 v5, 24, v2
	s_delay_alu instid0(VALU_DEP_1)
	v_and_or_b32 v3, 0x80, v5, v3
	global_store_b8 v[0:1], v3, off
.LBB14_122:
	s_mov_b32 s17, 0
.LBB14_123:
	s_delay_alu instid0(SALU_CYCLE_1)
	s_and_not1_b32 vcc_lo, exec_lo, s17
	s_cbranch_vccnz .LBB14_133
; %bb.124:
	s_wait_xcnt 0x0
	v_and_b32_e32 v5, 0x7fffffff, v2
	s_mov_b32 s17, exec_lo
                                        ; implicit-def: $vgpr3
	s_delay_alu instid0(VALU_DEP_1)
	v_cmpx_gt_u32_e32 0x47800000, v5
	s_xor_b32 s17, exec_lo, s17
	s_cbranch_execz .LBB14_130
; %bb.125:
	s_mov_b32 s18, exec_lo
                                        ; implicit-def: $vgpr3
	v_cmpx_lt_u32_e32 0x387fffff, v5
	s_xor_b32 s18, exec_lo, s18
; %bb.126:
	v_bfe_u32 v3, v2, 21, 1
	s_delay_alu instid0(VALU_DEP_1) | instskip(NEXT) | instid1(VALU_DEP_1)
	v_add3_u32 v3, v2, v3, 0x80fffff
	v_lshrrev_b32_e32 v3, 21, v3
; %bb.127:
	s_and_not1_saveexec_b32 s18, s18
; %bb.128:
	v_add_f32_e64 v3, 0x43000000, |v2|
; %bb.129:
	s_or_b32 exec_lo, exec_lo, s18
                                        ; implicit-def: $vgpr5
.LBB14_130:
	s_and_not1_saveexec_b32 s17, s17
; %bb.131:
	v_mov_b32_e32 v3, 0x7f
	v_cmp_lt_u32_e32 vcc_lo, 0x7f800000, v5
	s_delay_alu instid0(VALU_DEP_2)
	v_cndmask_b32_e32 v3, 0x7c, v3, vcc_lo
; %bb.132:
	s_or_b32 exec_lo, exec_lo, s17
	v_lshrrev_b32_e32 v5, 24, v2
	s_delay_alu instid0(VALU_DEP_1)
	v_and_or_b32 v3, 0x80, v5, v3
	global_store_b8 v[0:1], v3, off
.LBB14_133:
	s_mov_b32 s18, 0
	s_mov_b32 s17, -1
.LBB14_134:
	s_and_not1_b32 vcc_lo, exec_lo, s18
	s_cbranch_vccnz .LBB14_142
; %bb.135:
	s_cmp_gt_i32 s12, 14
	s_mov_b32 s18, -1
	s_cbranch_scc0 .LBB14_139
; %bb.136:
	s_cmp_eq_u32 s12, 15
	s_mov_b32 s0, -1
	s_cbranch_scc0 .LBB14_138
; %bb.137:
	s_wait_xcnt 0x0
	v_bfe_u32 v3, v2, 16, 1
	v_cmp_o_f32_e32 vcc_lo, v2, v2
	s_mov_b32 s17, -1
	s_mov_b32 s0, 0
	s_delay_alu instid0(VALU_DEP_2) | instskip(NEXT) | instid1(VALU_DEP_1)
	v_add3_u32 v3, v2, v3, 0x7fff
	v_lshrrev_b32_e32 v3, 16, v3
	s_delay_alu instid0(VALU_DEP_1)
	v_cndmask_b32_e32 v3, 0x7fc0, v3, vcc_lo
	global_store_b16 v[0:1], v3, off
.LBB14_138:
	s_mov_b32 s18, 0
.LBB14_139:
	s_delay_alu instid0(SALU_CYCLE_1)
	s_and_b32 vcc_lo, exec_lo, s18
	s_cbranch_vccz .LBB14_142
; %bb.140:
	s_cmp_eq_u32 s12, 11
	s_mov_b32 s0, -1
	s_cbranch_scc0 .LBB14_142
; %bb.141:
	v_cmp_neq_f32_e32 vcc_lo, 0, v2
	s_mov_b32 s0, 0
	s_mov_b32 s17, -1
	s_wait_xcnt 0x0
	v_cndmask_b32_e64 v3, 0, 1, vcc_lo
	global_store_b8 v[0:1], v3, off
.LBB14_142:
.LBB14_143:
	s_and_not1_b32 vcc_lo, exec_lo, s17
	s_cbranch_vccnz .LBB14_254
.LBB14_144:
	v_add_nc_u32_e32 v4, 0x80, v4
	s_mov_b32 s1, -1
	s_branch .LBB14_255
.LBB14_145:
	s_mov_b32 s14, -1
                                        ; implicit-def: $vgpr2
.LBB14_146:
	s_mov_b32 s12, 0
.LBB14_147:
	s_delay_alu instid0(SALU_CYCLE_1)
	s_and_b32 vcc_lo, exec_lo, s12
	s_cbranch_vccz .LBB14_151
; %bb.148:
	s_cmp_eq_u32 s0, 29
	s_cbranch_scc0 .LBB14_150
; %bb.149:
	global_load_b64 v[2:3], v[0:1], off
	s_mov_b32 s1, -1
	s_mov_b32 s14, 0
	s_mov_b32 s12, 0
	s_wait_loadcnt 0x0
	v_clz_i32_u32_e32 v5, v3
	s_delay_alu instid0(VALU_DEP_1) | instskip(NEXT) | instid1(VALU_DEP_1)
	v_min_u32_e32 v5, 32, v5
	v_lshlrev_b64_e32 v[2:3], v5, v[2:3]
	s_delay_alu instid0(VALU_DEP_1) | instskip(NEXT) | instid1(VALU_DEP_1)
	v_min_u32_e32 v2, 1, v2
	v_dual_sub_nc_u32 v3, 32, v5 :: v_dual_bitop2_b32 v2, v3, v2 bitop3:0x54
	s_delay_alu instid0(VALU_DEP_1) | instskip(NEXT) | instid1(VALU_DEP_1)
	v_cvt_f32_u32_e32 v2, v2
	v_ldexp_f32 v2, v2, v3
	s_branch .LBB14_152
.LBB14_150:
	s_mov_b32 s14, -1
                                        ; implicit-def: $vgpr2
.LBB14_151:
	s_mov_b32 s12, 0
.LBB14_152:
	s_delay_alu instid0(SALU_CYCLE_1)
	s_and_b32 vcc_lo, exec_lo, s12
	s_cbranch_vccz .LBB14_170
; %bb.153:
	s_cmp_lt_i32 s0, 27
	s_cbranch_scc1 .LBB14_156
; %bb.154:
	s_cmp_gt_i32 s0, 27
	s_cbranch_scc0 .LBB14_157
; %bb.155:
	global_load_b32 v2, v[0:1], off
	s_mov_b32 s1, 0
	s_wait_loadcnt 0x0
	v_cvt_f32_u32_e32 v2, v2
	s_branch .LBB14_158
.LBB14_156:
	s_mov_b32 s1, -1
                                        ; implicit-def: $vgpr2
	s_branch .LBB14_161
.LBB14_157:
	s_mov_b32 s1, -1
                                        ; implicit-def: $vgpr2
.LBB14_158:
	s_delay_alu instid0(SALU_CYCLE_1)
	s_and_not1_b32 vcc_lo, exec_lo, s1
	s_cbranch_vccnz .LBB14_160
; %bb.159:
	global_load_u16 v2, v[0:1], off
	s_wait_loadcnt 0x0
	v_cvt_f32_u32_e32 v2, v2
.LBB14_160:
	s_mov_b32 s1, 0
.LBB14_161:
	s_delay_alu instid0(SALU_CYCLE_1)
	s_and_not1_b32 vcc_lo, exec_lo, s1
	s_cbranch_vccnz .LBB14_169
; %bb.162:
	global_load_u8 v3, v[0:1], off
	s_mov_b32 s1, 0
	s_mov_b32 s12, exec_lo
	s_wait_loadcnt 0x0
	v_cmpx_lt_i16_e32 0x7f, v3
	s_xor_b32 s12, exec_lo, s12
	s_cbranch_execz .LBB14_182
; %bb.163:
	s_mov_b32 s1, -1
	s_mov_b32 s17, exec_lo
	v_cmpx_eq_u16_e32 0x80, v3
; %bb.164:
	s_xor_b32 s1, exec_lo, -1
; %bb.165:
	s_or_b32 exec_lo, exec_lo, s17
	s_delay_alu instid0(SALU_CYCLE_1)
	s_and_b32 s1, s1, exec_lo
	s_or_saveexec_b32 s12, s12
	v_mov_b32_e32 v2, 0x7f800001
	s_xor_b32 exec_lo, exec_lo, s12
	s_cbranch_execnz .LBB14_183
.LBB14_166:
	s_or_b32 exec_lo, exec_lo, s12
	s_and_saveexec_b32 s12, s1
	s_cbranch_execz .LBB14_168
.LBB14_167:
	v_and_b32_e32 v2, 0xffff, v3
	s_delay_alu instid0(VALU_DEP_1) | instskip(SKIP_1) | instid1(VALU_DEP_2)
	v_dual_lshlrev_b32 v3, 24, v3 :: v_dual_bitop2_b32 v5, 7, v2 bitop3:0x40
	v_bfe_u32 v8, v2, 3, 4
	v_and_b32_e32 v3, 0x80000000, v3
	s_delay_alu instid0(VALU_DEP_3) | instskip(NEXT) | instid1(VALU_DEP_3)
	v_clz_i32_u32_e32 v6, v5
	v_cmp_eq_u32_e32 vcc_lo, 0, v8
	s_delay_alu instid0(VALU_DEP_2) | instskip(NEXT) | instid1(VALU_DEP_1)
	v_min_u32_e32 v6, 32, v6
	v_subrev_nc_u32_e32 v7, 28, v6
	v_sub_nc_u32_e32 v6, 29, v6
	s_delay_alu instid0(VALU_DEP_2) | instskip(NEXT) | instid1(VALU_DEP_2)
	v_lshlrev_b32_e32 v2, v7, v2
	v_cndmask_b32_e32 v6, v8, v6, vcc_lo
	s_delay_alu instid0(VALU_DEP_2) | instskip(NEXT) | instid1(VALU_DEP_1)
	v_and_b32_e32 v2, 7, v2
	v_cndmask_b32_e32 v2, v5, v2, vcc_lo
	s_delay_alu instid0(VALU_DEP_3) | instskip(NEXT) | instid1(VALU_DEP_2)
	v_lshl_add_u32 v5, v6, 23, 0x3b800000
	v_lshlrev_b32_e32 v2, 20, v2
	s_delay_alu instid0(VALU_DEP_1)
	v_or3_b32 v2, v3, v5, v2
.LBB14_168:
	s_or_b32 exec_lo, exec_lo, s12
.LBB14_169:
	s_mov_b32 s1, -1
.LBB14_170:
	s_branch .LBB14_205
.LBB14_171:
	s_cmp_gt_i32 s0, 22
	s_cbranch_scc0 .LBB14_181
; %bb.172:
	s_cmp_lt_i32 s0, 24
	s_cbranch_scc1 .LBB14_184
; %bb.173:
	s_cmp_gt_i32 s0, 24
	s_cbranch_scc0 .LBB14_185
; %bb.174:
	global_load_u8 v3, v[0:1], off
	s_mov_b32 s1, 0
	s_mov_b32 s12, exec_lo
	s_wait_loadcnt 0x0
	v_cmpx_lt_i16_e32 0x7f, v3
	s_xor_b32 s12, exec_lo, s12
	s_cbranch_execz .LBB14_197
; %bb.175:
	s_mov_b32 s1, -1
	s_mov_b32 s17, exec_lo
	v_cmpx_eq_u16_e32 0x80, v3
; %bb.176:
	s_xor_b32 s1, exec_lo, -1
; %bb.177:
	s_or_b32 exec_lo, exec_lo, s17
	s_delay_alu instid0(SALU_CYCLE_1)
	s_and_b32 s1, s1, exec_lo
	s_or_saveexec_b32 s12, s12
	v_mov_b32_e32 v2, 0x7f800001
	s_xor_b32 exec_lo, exec_lo, s12
	s_cbranch_execnz .LBB14_198
.LBB14_178:
	s_or_b32 exec_lo, exec_lo, s12
	s_and_saveexec_b32 s12, s1
	s_cbranch_execz .LBB14_180
.LBB14_179:
	v_and_b32_e32 v2, 0xffff, v3
	s_delay_alu instid0(VALU_DEP_1) | instskip(SKIP_1) | instid1(VALU_DEP_2)
	v_dual_lshlrev_b32 v3, 24, v3 :: v_dual_bitop2_b32 v5, 3, v2 bitop3:0x40
	v_bfe_u32 v8, v2, 2, 5
	v_and_b32_e32 v3, 0x80000000, v3
	s_delay_alu instid0(VALU_DEP_3) | instskip(NEXT) | instid1(VALU_DEP_3)
	v_clz_i32_u32_e32 v6, v5
	v_cmp_eq_u32_e32 vcc_lo, 0, v8
	s_delay_alu instid0(VALU_DEP_2) | instskip(NEXT) | instid1(VALU_DEP_1)
	v_min_u32_e32 v6, 32, v6
	v_subrev_nc_u32_e32 v7, 29, v6
	v_sub_nc_u32_e32 v6, 30, v6
	s_delay_alu instid0(VALU_DEP_2) | instskip(NEXT) | instid1(VALU_DEP_2)
	v_lshlrev_b32_e32 v2, v7, v2
	v_cndmask_b32_e32 v6, v8, v6, vcc_lo
	s_delay_alu instid0(VALU_DEP_2) | instskip(NEXT) | instid1(VALU_DEP_1)
	v_and_b32_e32 v2, 3, v2
	v_cndmask_b32_e32 v2, v5, v2, vcc_lo
	s_delay_alu instid0(VALU_DEP_3) | instskip(NEXT) | instid1(VALU_DEP_2)
	v_lshl_add_u32 v5, v6, 23, 0x37800000
	v_lshlrev_b32_e32 v2, 21, v2
	s_delay_alu instid0(VALU_DEP_1)
	v_or3_b32 v2, v3, v5, v2
.LBB14_180:
	s_or_b32 exec_lo, exec_lo, s12
	s_mov_b32 s1, 0
	s_branch .LBB14_186
.LBB14_181:
	s_mov_b32 s12, -1
                                        ; implicit-def: $vgpr2
	s_branch .LBB14_192
.LBB14_182:
	s_or_saveexec_b32 s12, s12
	v_mov_b32_e32 v2, 0x7f800001
	s_xor_b32 exec_lo, exec_lo, s12
	s_cbranch_execz .LBB14_166
.LBB14_183:
	v_cmp_ne_u16_e32 vcc_lo, 0, v3
	v_mov_b32_e32 v2, 0
	s_and_not1_b32 s1, s1, exec_lo
	s_and_b32 s17, vcc_lo, exec_lo
	s_delay_alu instid0(SALU_CYCLE_1)
	s_or_b32 s1, s1, s17
	s_or_b32 exec_lo, exec_lo, s12
	s_and_saveexec_b32 s12, s1
	s_cbranch_execnz .LBB14_167
	s_branch .LBB14_168
.LBB14_184:
	s_mov_b32 s1, -1
                                        ; implicit-def: $vgpr2
	s_branch .LBB14_189
.LBB14_185:
	s_mov_b32 s1, -1
                                        ; implicit-def: $vgpr2
.LBB14_186:
	s_delay_alu instid0(SALU_CYCLE_1)
	s_and_b32 vcc_lo, exec_lo, s1
	s_cbranch_vccz .LBB14_188
; %bb.187:
	global_load_u8 v2, v[0:1], off
	s_wait_loadcnt 0x0
	v_lshlrev_b32_e32 v2, 24, v2
	s_delay_alu instid0(VALU_DEP_1) | instskip(NEXT) | instid1(VALU_DEP_1)
	v_and_b32_e32 v3, 0x7f000000, v2
	v_clz_i32_u32_e32 v5, v3
	v_add_nc_u32_e32 v7, 0x1000000, v3
	v_cmp_ne_u32_e32 vcc_lo, 0, v3
	s_delay_alu instid0(VALU_DEP_3) | instskip(NEXT) | instid1(VALU_DEP_1)
	v_min_u32_e32 v5, 32, v5
	v_sub_nc_u32_e64 v5, v5, 4 clamp
	s_delay_alu instid0(VALU_DEP_1) | instskip(NEXT) | instid1(VALU_DEP_1)
	v_dual_lshlrev_b32 v6, v5, v3 :: v_dual_lshlrev_b32 v5, 23, v5
	v_lshrrev_b32_e32 v6, 4, v6
	s_delay_alu instid0(VALU_DEP_1) | instskip(NEXT) | instid1(VALU_DEP_1)
	v_dual_sub_nc_u32 v5, v6, v5 :: v_dual_ashrrev_i32 v6, 8, v7
	v_add_nc_u32_e32 v5, 0x3c000000, v5
	s_delay_alu instid0(VALU_DEP_1) | instskip(NEXT) | instid1(VALU_DEP_1)
	v_and_or_b32 v5, 0x7f800000, v6, v5
	v_cndmask_b32_e32 v3, 0, v5, vcc_lo
	s_delay_alu instid0(VALU_DEP_1)
	v_and_or_b32 v2, 0x80000000, v2, v3
.LBB14_188:
	s_mov_b32 s1, 0
.LBB14_189:
	s_delay_alu instid0(SALU_CYCLE_1)
	s_and_not1_b32 vcc_lo, exec_lo, s1
	s_cbranch_vccnz .LBB14_191
; %bb.190:
	global_load_u8 v2, v[0:1], off
	s_wait_loadcnt 0x0
	v_lshlrev_b32_e32 v3, 25, v2
	v_lshlrev_b16 v2, 8, v2
	s_delay_alu instid0(VALU_DEP_2) | instskip(NEXT) | instid1(VALU_DEP_2)
	v_cmp_gt_u32_e32 vcc_lo, 0x8000000, v3
	v_and_or_b32 v6, 0x7f00, v2, 0.5
	v_lshrrev_b32_e32 v5, 4, v3
	v_bfe_i32 v2, v2, 0, 16
	s_delay_alu instid0(VALU_DEP_3) | instskip(NEXT) | instid1(VALU_DEP_3)
	v_add_f32_e32 v6, -0.5, v6
	v_or_b32_e32 v5, 0x70000000, v5
	s_delay_alu instid0(VALU_DEP_1) | instskip(NEXT) | instid1(VALU_DEP_1)
	v_mul_f32_e32 v5, 0x7800000, v5
	v_cndmask_b32_e32 v3, v5, v6, vcc_lo
	s_delay_alu instid0(VALU_DEP_1)
	v_and_or_b32 v2, 0x80000000, v2, v3
.LBB14_191:
	s_mov_b32 s12, 0
	s_mov_b32 s1, -1
.LBB14_192:
	s_and_not1_b32 vcc_lo, exec_lo, s12
	s_cbranch_vccnz .LBB14_205
; %bb.193:
	s_cmp_gt_i32 s0, 14
	s_cbranch_scc0 .LBB14_196
; %bb.194:
	s_cmp_eq_u32 s0, 15
	s_cbranch_scc0 .LBB14_199
; %bb.195:
	global_load_u16 v2, v[0:1], off
	s_mov_b32 s1, -1
	s_mov_b32 s14, 0
	s_wait_loadcnt 0x0
	v_lshlrev_b32_e32 v2, 16, v2
	s_branch .LBB14_200
.LBB14_196:
	s_mov_b32 s12, -1
                                        ; implicit-def: $vgpr2
	s_branch .LBB14_201
.LBB14_197:
	s_or_saveexec_b32 s12, s12
	v_mov_b32_e32 v2, 0x7f800001
	s_xor_b32 exec_lo, exec_lo, s12
	s_cbranch_execz .LBB14_178
.LBB14_198:
	v_cmp_ne_u16_e32 vcc_lo, 0, v3
	v_mov_b32_e32 v2, 0
	s_and_not1_b32 s1, s1, exec_lo
	s_and_b32 s17, vcc_lo, exec_lo
	s_delay_alu instid0(SALU_CYCLE_1)
	s_or_b32 s1, s1, s17
	s_or_b32 exec_lo, exec_lo, s12
	s_and_saveexec_b32 s12, s1
	s_cbranch_execnz .LBB14_179
	s_branch .LBB14_180
.LBB14_199:
	s_mov_b32 s14, -1
                                        ; implicit-def: $vgpr2
.LBB14_200:
	s_mov_b32 s12, 0
.LBB14_201:
	s_delay_alu instid0(SALU_CYCLE_1)
	s_and_b32 vcc_lo, exec_lo, s12
	s_cbranch_vccz .LBB14_205
; %bb.202:
	s_cmp_eq_u32 s0, 11
	s_cbranch_scc0 .LBB14_204
; %bb.203:
	global_load_u8 v2, v[0:1], off
	s_mov_b32 s14, 0
	s_mov_b32 s1, -1
	s_wait_loadcnt 0x0
	v_cmp_ne_u16_e32 vcc_lo, 0, v2
	v_cndmask_b32_e64 v2, 0, 1.0, vcc_lo
	s_branch .LBB14_205
.LBB14_204:
	s_mov_b32 s14, -1
                                        ; implicit-def: $vgpr2
.LBB14_205:
	s_branch .LBB14_10
.LBB14_206:
	s_cmp_lt_i32 s0, 5
	s_cbranch_scc1 .LBB14_211
; %bb.207:
	s_cmp_lt_i32 s0, 8
	s_cbranch_scc1 .LBB14_212
; %bb.208:
	;; [unrolled: 3-line block ×3, first 2 shown]
	s_cmp_gt_i32 s0, 9
	s_cbranch_scc0 .LBB14_214
; %bb.210:
	global_load_b64 v[2:3], v[0:1], off
	s_mov_b32 s1, 0
	s_wait_loadcnt 0x0
	v_cvt_f32_f64_e32 v2, v[2:3]
	s_branch .LBB14_215
.LBB14_211:
                                        ; implicit-def: $vgpr2
	s_branch .LBB14_233
.LBB14_212:
	s_mov_b32 s1, -1
                                        ; implicit-def: $vgpr2
	s_branch .LBB14_221
.LBB14_213:
	s_mov_b32 s1, -1
                                        ; implicit-def: $vgpr2
	s_branch .LBB14_218
.LBB14_214:
	s_mov_b32 s1, -1
                                        ; implicit-def: $vgpr2
.LBB14_215:
	s_delay_alu instid0(SALU_CYCLE_1)
	s_and_not1_b32 vcc_lo, exec_lo, s1
	s_cbranch_vccnz .LBB14_217
; %bb.216:
	global_load_b32 v2, v[0:1], off
.LBB14_217:
	s_mov_b32 s1, 0
.LBB14_218:
	s_delay_alu instid0(SALU_CYCLE_1)
	s_and_not1_b32 vcc_lo, exec_lo, s1
	s_cbranch_vccnz .LBB14_220
; %bb.219:
	s_wait_loadcnt 0x0
	global_load_b32 v2, v[0:1], off
	s_wait_loadcnt 0x0
	v_cvt_f32_f16_e32 v2, v2
.LBB14_220:
	s_mov_b32 s1, 0
.LBB14_221:
	s_delay_alu instid0(SALU_CYCLE_1)
	s_and_not1_b32 vcc_lo, exec_lo, s1
	s_cbranch_vccnz .LBB14_232
; %bb.222:
	s_cmp_lt_i32 s0, 6
	s_cbranch_scc1 .LBB14_225
; %bb.223:
	s_cmp_gt_i32 s0, 6
	s_cbranch_scc0 .LBB14_226
; %bb.224:
	s_wait_loadcnt 0x0
	global_load_b64 v[2:3], v[0:1], off
	s_mov_b32 s1, 0
	s_wait_loadcnt 0x0
	v_cvt_f32_f64_e32 v2, v[2:3]
	s_branch .LBB14_227
.LBB14_225:
	s_mov_b32 s1, -1
                                        ; implicit-def: $vgpr2
	s_branch .LBB14_230
.LBB14_226:
	s_mov_b32 s1, -1
                                        ; implicit-def: $vgpr2
.LBB14_227:
	s_delay_alu instid0(SALU_CYCLE_1)
	s_and_not1_b32 vcc_lo, exec_lo, s1
	s_cbranch_vccnz .LBB14_229
; %bb.228:
	s_wait_loadcnt 0x0
	global_load_b32 v2, v[0:1], off
.LBB14_229:
	s_mov_b32 s1, 0
.LBB14_230:
	s_delay_alu instid0(SALU_CYCLE_1)
	s_and_not1_b32 vcc_lo, exec_lo, s1
	s_cbranch_vccnz .LBB14_232
; %bb.231:
	s_wait_loadcnt 0x0
	global_load_u16 v2, v[0:1], off
	s_wait_loadcnt 0x0
	v_cvt_f32_f16_e32 v2, v2
.LBB14_232:
	s_cbranch_execnz .LBB14_252
.LBB14_233:
	s_cmp_lt_i32 s0, 2
	s_cbranch_scc1 .LBB14_237
; %bb.234:
	s_cmp_lt_i32 s0, 3
	s_cbranch_scc1 .LBB14_238
; %bb.235:
	s_cmp_gt_i32 s0, 3
	s_cbranch_scc0 .LBB14_239
; %bb.236:
	s_wait_loadcnt 0x0
	global_load_b64 v[2:3], v[0:1], off
	s_mov_b32 s1, 0
	s_wait_loadcnt 0x0
	v_xor_b32_e32 v5, v2, v3
	v_cls_i32_e32 v6, v3
	s_delay_alu instid0(VALU_DEP_2) | instskip(NEXT) | instid1(VALU_DEP_1)
	v_ashrrev_i32_e32 v5, 31, v5
	v_add_nc_u32_e32 v5, 32, v5
	s_delay_alu instid0(VALU_DEP_1) | instskip(NEXT) | instid1(VALU_DEP_1)
	v_add_min_u32_e64 v5, v6, -1, v5
	v_lshlrev_b64_e32 v[2:3], v5, v[2:3]
	s_delay_alu instid0(VALU_DEP_1) | instskip(NEXT) | instid1(VALU_DEP_1)
	v_min_u32_e32 v2, 1, v2
	v_dual_sub_nc_u32 v3, 32, v5 :: v_dual_bitop2_b32 v2, v3, v2 bitop3:0x54
	s_delay_alu instid0(VALU_DEP_1) | instskip(NEXT) | instid1(VALU_DEP_1)
	v_cvt_f32_i32_e32 v2, v2
	v_ldexp_f32 v2, v2, v3
	s_branch .LBB14_240
.LBB14_237:
	s_mov_b32 s1, -1
                                        ; implicit-def: $vgpr2
	s_branch .LBB14_246
.LBB14_238:
	s_mov_b32 s1, -1
                                        ; implicit-def: $vgpr2
	s_branch .LBB14_243
.LBB14_239:
	s_mov_b32 s1, -1
                                        ; implicit-def: $vgpr2
.LBB14_240:
	s_delay_alu instid0(SALU_CYCLE_1)
	s_and_not1_b32 vcc_lo, exec_lo, s1
	s_cbranch_vccnz .LBB14_242
; %bb.241:
	s_wait_loadcnt 0x0
	global_load_b32 v2, v[0:1], off
	s_wait_loadcnt 0x0
	v_cvt_f32_i32_e32 v2, v2
.LBB14_242:
	s_mov_b32 s1, 0
.LBB14_243:
	s_delay_alu instid0(SALU_CYCLE_1)
	s_and_not1_b32 vcc_lo, exec_lo, s1
	s_cbranch_vccnz .LBB14_245
; %bb.244:
	s_wait_loadcnt 0x0
	global_load_i16 v2, v[0:1], off
	s_wait_loadcnt 0x0
	v_cvt_f32_i32_e32 v2, v2
.LBB14_245:
	s_mov_b32 s1, 0
.LBB14_246:
	s_delay_alu instid0(SALU_CYCLE_1)
	s_and_not1_b32 vcc_lo, exec_lo, s1
	s_cbranch_vccnz .LBB14_252
; %bb.247:
	s_cmp_gt_i32 s0, 0
	s_mov_b32 s0, 0
	s_cbranch_scc0 .LBB14_249
; %bb.248:
	s_wait_loadcnt 0x0
	global_load_i8 v2, v[0:1], off
	s_wait_loadcnt 0x0
	v_cvt_f32_i32_e32 v2, v2
	s_branch .LBB14_250
.LBB14_249:
	s_mov_b32 s0, -1
                                        ; implicit-def: $vgpr2
.LBB14_250:
	s_delay_alu instid0(SALU_CYCLE_1)
	s_and_not1_b32 vcc_lo, exec_lo, s0
	s_cbranch_vccnz .LBB14_252
; %bb.251:
	global_load_u8 v0, v[0:1], off
	s_wait_loadcnt 0x0
	v_cvt_f32_ubyte0_e32 v2, v0
.LBB14_252:
	s_branch .LBB14_11
.LBB14_253:
	s_mov_b32 s0, 0
.LBB14_254:
	s_mov_b32 s1, 0
                                        ; implicit-def: $vgpr4
.LBB14_255:
	s_and_b32 s12, s0, exec_lo
	s_and_b32 s14, s14, exec_lo
	s_or_not1_b32 s1, s1, exec_lo
.LBB14_256:
	s_wait_xcnt 0x0
	s_or_b32 exec_lo, exec_lo, s15
	s_mov_b32 s17, 0
	s_mov_b32 s0, 0
                                        ; implicit-def: $vgpr0_vgpr1
                                        ; implicit-def: $vgpr3
	s_and_saveexec_b32 s15, s1
	s_cbranch_execz .LBB14_265
; %bb.257:
	s_mov_b32 s0, -1
	s_mov_b32 s16, s14
	s_mov_b32 s17, s12
	s_mov_b32 s18, exec_lo
	v_cmpx_gt_i32_e64 s13, v4
	s_cbranch_execz .LBB14_522
; %bb.258:
	v_mul_lo_u32 v0, v4, s3
	s_and_b32 s0, 0xffff, s10
	s_delay_alu instid0(SALU_CYCLE_1) | instskip(NEXT) | instid1(VALU_DEP_1)
	s_cmp_lt_i32 s0, 11
	v_ashrrev_i32_e32 v1, 31, v0
	s_delay_alu instid0(VALU_DEP_1)
	v_add_nc_u64_e32 v[0:1], s[6:7], v[0:1]
	s_cbranch_scc1 .LBB14_268
; %bb.259:
	s_cmp_gt_i32 s0, 25
	s_cbranch_scc0 .LBB14_321
; %bb.260:
	s_cmp_gt_i32 s0, 28
	s_cbranch_scc0 .LBB14_322
	;; [unrolled: 3-line block ×4, first 2 shown]
; %bb.263:
	s_cmp_eq_u32 s0, 46
	s_mov_b32 s17, 0
	s_cbranch_scc0 .LBB14_332
; %bb.264:
	s_wait_loadcnt 0x0
	global_load_b32 v2, v[0:1], off
	s_mov_b32 s1, -1
	s_mov_b32 s16, 0
	s_wait_loadcnt 0x0
	v_lshlrev_b32_e32 v2, 16, v2
	s_branch .LBB14_334
.LBB14_265:
	s_or_b32 exec_lo, exec_lo, s15
	s_mov_b32 s13, 0
	s_and_saveexec_b32 s1, s14
	s_cbranch_execnz .LBB14_873
.LBB14_266:
	s_or_b32 exec_lo, exec_lo, s1
	s_and_saveexec_b32 s1, s16
	s_delay_alu instid0(SALU_CYCLE_1)
	s_xor_b32 s1, exec_lo, s1
	s_cbranch_execz .LBB14_874
.LBB14_267:
	s_wait_loadcnt 0x0
	global_load_u8 v2, v[0:1], off
	s_or_b32 s0, s0, exec_lo
	s_wait_loadcnt 0x0
	v_cmp_ne_u16_e32 vcc_lo, 0, v2
	v_cndmask_b32_e64 v3, 0, 1.0, vcc_lo
	s_wait_xcnt 0x0
	s_or_b32 exec_lo, exec_lo, s1
	s_and_saveexec_b32 s1, s17
	s_cbranch_execz .LBB14_920
	s_branch .LBB14_875
.LBB14_268:
	s_mov_b32 s1, 0
	s_mov_b32 s16, s14
                                        ; implicit-def: $vgpr2
	s_cbranch_execnz .LBB14_471
.LBB14_269:
	s_and_not1_b32 vcc_lo, exec_lo, s1
	s_cbranch_vccnz .LBB14_519
.LBB14_270:
	s_wait_loadcnt 0x0
	s_delay_alu instid0(VALU_DEP_1)
	v_and_b32_e32 v0, 0x7fffffff, v2
                                        ; implicit-def: $vgpr3
                                        ; implicit-def: $vgpr1
	s_mov_b32 s1, exec_lo
	v_cmpx_ngt_f32_e64 0x48000000, |v2|
	s_xor_b32 s17, exec_lo, s1
	s_cbranch_execz .LBB14_272
; %bb.271:
	s_mov_b32 s0, 0x7fffff
	v_mov_b32_e32 v7, 0
	v_and_or_b32 v6, v0, s0, 0x800000
	s_mov_b64 s[0:1], 0xfe5163ab
	v_lshrrev_b32_e32 v1, 23, v0
	s_delay_alu instid0(VALU_DEP_2) | instskip(NEXT) | instid1(VALU_DEP_1)
	v_mul_u64_e32 v[8:9], s[0:1], v[6:7]
	v_dual_mov_b32 v10, v9 :: v_dual_mov_b32 v11, v7
	v_dual_mov_b32 v13, v7 :: v_dual_mov_b32 v15, v7
	v_mov_b32_e32 v17, v7
	s_delay_alu instid0(VALU_DEP_3) | instskip(NEXT) | instid1(VALU_DEP_1)
	v_mad_nc_u64_u32 v[10:11], 0x3c439041, v6, v[10:11]
	v_mov_b32_e32 v12, v11
	s_delay_alu instid0(VALU_DEP_1) | instskip(NEXT) | instid1(VALU_DEP_1)
	v_mad_nc_u64_u32 v[12:13], 0xdb629599, v6, v[12:13]
	v_mov_b32_e32 v14, v13
	s_delay_alu instid0(VALU_DEP_1) | instskip(NEXT) | instid1(VALU_DEP_1)
	;; [unrolled: 3-line block ×3, first 2 shown]
	v_mad_nc_u64_u32 v[16:17], 0xfc2757d1, v6, v[16:17]
	v_dual_mov_b32 v19, v7 :: v_dual_mov_b32 v18, v17
	s_delay_alu instid0(VALU_DEP_1) | instskip(NEXT) | instid1(VALU_DEP_1)
	v_mad_nc_u64_u32 v[18:19], 0x4e441529, v6, v[18:19]
	v_dual_mov_b32 v20, v19 :: v_dual_add_nc_u32 v1, 0xffffff88, v1
	s_delay_alu instid0(VALU_DEP_1) | instskip(SKIP_2) | instid1(VALU_DEP_2)
	v_cmp_lt_u32_e32 vcc_lo, 63, v1
	v_mov_b32_e32 v21, v7
	v_cndmask_b32_e64 v3, 0, 0xffffffc0, vcc_lo
	v_mad_nc_u64_u32 v[6:7], 0xa2f9836e, v6, v[20:21]
	v_dual_cndmask_b32 v5, v18, v14, vcc_lo :: v_dual_cndmask_b32 v9, v16, v12, vcc_lo
	s_delay_alu instid0(VALU_DEP_3) | instskip(NEXT) | instid1(VALU_DEP_1)
	v_dual_cndmask_b32 v8, v12, v8 :: v_dual_add_nc_u32 v1, v3, v1
	v_cmp_lt_u32_e64 s0, 31, v1
	s_delay_alu instid0(VALU_DEP_4) | instskip(NEXT) | instid1(VALU_DEP_2)
	v_dual_cndmask_b32 v6, v6, v16 :: v_dual_cndmask_b32 v7, v7, v18
	v_cndmask_b32_e64 v3, 0, 0xffffffe0, s0
	s_delay_alu instid0(VALU_DEP_1) | instskip(NEXT) | instid1(VALU_DEP_1)
	v_add_nc_u32_e32 v1, v3, v1
	v_cmp_lt_u32_e64 s1, 31, v1
	s_delay_alu instid0(VALU_DEP_1) | instskip(NEXT) | instid1(VALU_DEP_1)
	v_cndmask_b32_e64 v3, 0, 0xffffffe0, s1
	v_dual_add_nc_u32 v1, v3, v1 :: v_dual_cndmask_b32 v3, v14, v10, vcc_lo
	v_dual_cndmask_b32 v10, v6, v5, s0 :: v_dual_cndmask_b32 v6, v7, v6, s0
	v_cndmask_b32_e64 v5, v5, v9, s0
	s_delay_alu instid0(VALU_DEP_3) | instskip(SKIP_1) | instid1(VALU_DEP_4)
	v_dual_sub_nc_u32 v7, 32, v1 :: v_dual_cndmask_b32 v9, v9, v3, s0
	v_cmp_eq_u32_e32 vcc_lo, 0, v1
	v_cndmask_b32_e64 v6, v6, v10, s1
	s_delay_alu instid0(VALU_DEP_4) | instskip(NEXT) | instid1(VALU_DEP_4)
	v_cndmask_b32_e64 v10, v10, v5, s1
	v_cndmask_b32_e64 v5, v5, v9, s1
	s_delay_alu instid0(VALU_DEP_2) | instskip(NEXT) | instid1(VALU_DEP_2)
	v_alignbit_b32 v11, v6, v10, v7
	v_alignbit_b32 v12, v10, v5, v7
	v_cndmask_b32_e64 v3, v3, v8, s0
	s_delay_alu instid0(VALU_DEP_3) | instskip(NEXT) | instid1(VALU_DEP_2)
	v_cndmask_b32_e32 v1, v11, v6, vcc_lo
	v_dual_cndmask_b32 v6, v12, v10, vcc_lo :: v_dual_cndmask_b32 v3, v9, v3, s1
	s_delay_alu instid0(VALU_DEP_2) | instskip(NEXT) | instid1(VALU_DEP_2)
	v_bfe_u32 v8, v1, 29, 1
	v_alignbit_b32 v9, v1, v6, 30
	s_delay_alu instid0(VALU_DEP_3) | instskip(NEXT) | instid1(VALU_DEP_1)
	v_alignbit_b32 v7, v5, v3, v7
	v_dual_cndmask_b32 v5, v7, v5 :: v_dual_sub_nc_u32 v10, 0, v8
	s_delay_alu instid0(VALU_DEP_1) | instskip(NEXT) | instid1(VALU_DEP_2)
	v_xor_b32_e32 v9, v9, v10
	v_alignbit_b32 v6, v6, v5, 30
	v_alignbit_b32 v3, v5, v3, 30
	s_delay_alu instid0(VALU_DEP_3) | instskip(NEXT) | instid1(VALU_DEP_3)
	v_clz_i32_u32_e32 v7, v9
	v_xor_b32_e32 v5, v6, v10
	s_delay_alu instid0(VALU_DEP_3) | instskip(NEXT) | instid1(VALU_DEP_3)
	v_xor_b32_e32 v3, v3, v10
	v_min_u32_e32 v7, 32, v7
	s_delay_alu instid0(VALU_DEP_1) | instskip(SKIP_1) | instid1(VALU_DEP_2)
	v_dual_lshrrev_b32 v10, 29, v1 :: v_dual_sub_nc_u32 v6, 31, v7
	v_lshlrev_b32_e32 v11, 23, v7
	v_alignbit_b32 v9, v9, v5, v6
	v_alignbit_b32 v3, v5, v3, v6
	s_delay_alu instid0(VALU_DEP_4) | instskip(NEXT) | instid1(VALU_DEP_2)
	v_lshlrev_b32_e32 v5, 31, v10
	v_alignbit_b32 v6, v9, v3, 9
	s_delay_alu instid0(VALU_DEP_2) | instskip(SKIP_2) | instid1(VALU_DEP_4)
	v_or_b32_e32 v10, 0.5, v5
	v_lshrrev_b32_e32 v9, 9, v9
	v_or_b32_e32 v5, 0x33000000, v5
	v_clz_i32_u32_e32 v12, v6
	s_delay_alu instid0(VALU_DEP_4) | instskip(NEXT) | instid1(VALU_DEP_2)
	v_sub_nc_u32_e32 v10, v10, v11
	v_min_u32_e32 v11, 32, v12
	s_delay_alu instid0(VALU_DEP_2) | instskip(NEXT) | instid1(VALU_DEP_2)
	v_or_b32_e32 v9, v9, v10
	v_not_b32_e32 v10, v11
	v_add_lshl_u32 v7, v11, v7, 23
	s_delay_alu instid0(VALU_DEP_2) | instskip(NEXT) | instid1(VALU_DEP_2)
	v_alignbit_b32 v3, v6, v3, v10
	v_sub_nc_u32_e32 v5, v5, v7
	s_delay_alu instid0(VALU_DEP_2) | instskip(NEXT) | instid1(VALU_DEP_1)
	v_dual_mul_f32 v12, 0x3fc90fda, v9 :: v_dual_lshrrev_b32 v3, 9, v3
	v_or_b32_e32 v3, v5, v3
	s_delay_alu instid0(VALU_DEP_2) | instskip(NEXT) | instid1(VALU_DEP_1)
	v_fma_f32 v6, 0x3fc90fda, v9, -v12
	v_fmamk_f32 v6, v9, 0x33a22168, v6
	s_delay_alu instid0(VALU_DEP_1) | instskip(NEXT) | instid1(VALU_DEP_1)
	v_dual_fmac_f32 v6, 0x3fc90fda, v3 :: v_dual_lshrrev_b32 v3, 30, v1
	v_add_nc_u32_e32 v3, v8, v3
	s_delay_alu instid0(VALU_DEP_2)
	v_add_f32_e32 v1, v12, v6
.LBB14_272:
	s_and_not1_saveexec_b32 s0, s17
; %bb.273:
	v_mul_f32_e64 v1, 0x3f22f983, |v2|
	s_delay_alu instid0(VALU_DEP_1) | instskip(NEXT) | instid1(VALU_DEP_1)
	v_rndne_f32_e32 v3, v1
	v_fma_f32 v1, 0xbfc90fda, v3, |v2|
	s_delay_alu instid0(VALU_DEP_1) | instskip(NEXT) | instid1(VALU_DEP_1)
	v_fmamk_f32 v1, v3, 0xb3a22168, v1
	v_fmamk_f32 v1, v3, 0xa7c234c4, v1
	v_cvt_i32_f32_e32 v3, v3
; %bb.274:
	s_or_b32 exec_lo, exec_lo, s0
	s_delay_alu instid0(VALU_DEP_1) | instskip(SKIP_3) | instid1(VALU_DEP_1)
	v_dual_mul_f32 v5, v1, v1 :: v_dual_bitop2_b32 v9, 1, v3 bitop3:0x40
	s_mov_b32 s0, 0xb94c1982
	s_mov_b32 s1, 0x37d75334
	;; [unrolled: 1-line block ×3, first 2 shown]
	v_dual_fmaak_f32 v6, s0, v5, 0x3c0881c4 :: v_dual_lshlrev_b32 v3, 30, v3
	v_cmp_eq_u32_e32 vcc_lo, 0, v9
	s_mov_b32 s17, -1
	s_mov_b32 s0, s12
	s_delay_alu instid0(VALU_DEP_2) | instskip(SKIP_4) | instid1(VALU_DEP_3)
	v_fmaak_f32 v6, v5, v6, 0xbe2aaa9d
	v_fmaak_f32 v7, s1, v5, 0xbab64f3b
	v_and_b32_e32 v3, 0x80000000, v3
	s_and_b32 s1, s8, 0xff
	v_xor_b32_e32 v0, v0, v2
	v_dual_mul_f32 v8, v5, v6 :: v_dual_fmaak_f32 v7, v5, v7, 0x3d2aabf7
	v_mul_lo_u32 v6, v4, s2
	s_cmp_lt_i32 s1, 11
	s_delay_alu instid0(VALU_DEP_2) | instskip(NEXT) | instid1(VALU_DEP_3)
	v_fmac_f32_e32 v1, v1, v8
	v_fmaak_f32 v7, v5, v7, 0xbf000004
	s_delay_alu instid0(VALU_DEP_1) | instskip(NEXT) | instid1(VALU_DEP_1)
	v_fma_f32 v5, v5, v7, 1.0
	v_cndmask_b32_e32 v1, v5, v1, vcc_lo
	v_cmp_class_f32_e64 vcc_lo, v2, 0x1f8
	s_delay_alu instid0(VALU_DEP_2) | instskip(NEXT) | instid1(VALU_DEP_1)
	v_xor3_b32 v3, v0, v3, v1
	v_dual_cndmask_b32 v2, 0x7fc00000, v3 :: v_dual_ashrrev_i32 v7, 31, v6
	s_delay_alu instid0(VALU_DEP_1)
	v_add_nc_u64_e32 v[0:1], s[4:5], v[6:7]
	s_cbranch_scc1 .LBB14_281
; %bb.275:
	s_and_b32 s17, 0xffff, s1
	s_delay_alu instid0(SALU_CYCLE_1)
	s_cmp_gt_i32 s17, 25
	s_cbranch_scc0 .LBB14_323
; %bb.276:
	s_cmp_gt_i32 s17, 28
	s_cbranch_scc0 .LBB14_325
; %bb.277:
	;; [unrolled: 3-line block ×4, first 2 shown]
	s_mov_b32 s20, 0
	s_mov_b32 s0, -1
	s_cmp_eq_u32 s17, 46
	s_cbranch_scc0 .LBB14_338
; %bb.280:
	v_bfe_u32 v3, v2, 16, 1
	v_cmp_o_f32_e32 vcc_lo, v2, v2
	s_mov_b32 s19, -1
	s_mov_b32 s0, 0
	s_delay_alu instid0(VALU_DEP_2) | instskip(NEXT) | instid1(VALU_DEP_1)
	v_add3_u32 v3, v2, v3, 0x7fff
	v_lshrrev_b32_e32 v3, 16, v3
	s_delay_alu instid0(VALU_DEP_1)
	v_cndmask_b32_e32 v3, 0x7fc0, v3, vcc_lo
	global_store_b32 v[0:1], v3, off
	s_branch .LBB14_338
.LBB14_281:
	s_and_b32 vcc_lo, exec_lo, s17
	s_cbranch_vccz .LBB14_407
; %bb.282:
	s_and_b32 s1, 0xffff, s1
	s_mov_b32 s17, -1
	s_cmp_lt_i32 s1, 5
	s_cbranch_scc1 .LBB14_303
; %bb.283:
	s_cmp_lt_i32 s1, 8
	s_cbranch_scc1 .LBB14_293
; %bb.284:
	s_cmp_lt_i32 s1, 9
	s_cbranch_scc1 .LBB14_290
; %bb.285:
	s_cmp_gt_i32 s1, 9
	s_cbranch_scc0 .LBB14_287
; %bb.286:
	s_wait_xcnt 0x0
	v_cvt_f64_f32_e32 v[6:7], v2
	v_mov_b32_e32 v8, 0
	s_mov_b32 s17, 0
	s_delay_alu instid0(VALU_DEP_1)
	v_mov_b32_e32 v9, v8
	global_store_b128 v[0:1], v[6:9], off
.LBB14_287:
	s_and_not1_b32 vcc_lo, exec_lo, s17
	s_cbranch_vccnz .LBB14_289
; %bb.288:
	s_wait_xcnt 0x0
	v_mov_b32_e32 v3, 0
	global_store_b64 v[0:1], v[2:3], off
.LBB14_289:
	s_mov_b32 s17, 0
.LBB14_290:
	s_delay_alu instid0(SALU_CYCLE_1)
	s_and_not1_b32 vcc_lo, exec_lo, s17
	s_cbranch_vccnz .LBB14_292
; %bb.291:
	s_wait_xcnt 0x0
	v_cvt_f16_f32_e32 v3, v2
	s_delay_alu instid0(VALU_DEP_1)
	v_and_b32_e32 v3, 0xffff, v3
	global_store_b32 v[0:1], v3, off
.LBB14_292:
	s_mov_b32 s17, 0
.LBB14_293:
	s_delay_alu instid0(SALU_CYCLE_1)
	s_and_not1_b32 vcc_lo, exec_lo, s17
	s_cbranch_vccnz .LBB14_302
; %bb.294:
	s_cmp_lt_i32 s1, 6
	s_mov_b32 s17, -1
	s_cbranch_scc1 .LBB14_300
; %bb.295:
	s_cmp_gt_i32 s1, 6
	s_cbranch_scc0 .LBB14_297
; %bb.296:
	s_wait_xcnt 0x0
	v_cvt_f64_f32_e32 v[6:7], v2
	s_mov_b32 s17, 0
	global_store_b64 v[0:1], v[6:7], off
.LBB14_297:
	s_and_not1_b32 vcc_lo, exec_lo, s17
	s_cbranch_vccnz .LBB14_299
; %bb.298:
	global_store_b32 v[0:1], v2, off
.LBB14_299:
	s_mov_b32 s17, 0
.LBB14_300:
	s_delay_alu instid0(SALU_CYCLE_1)
	s_and_not1_b32 vcc_lo, exec_lo, s17
	s_cbranch_vccnz .LBB14_302
; %bb.301:
	s_wait_xcnt 0x0
	v_cvt_f16_f32_e32 v3, v2
	global_store_b16 v[0:1], v3, off
.LBB14_302:
	s_mov_b32 s17, 0
.LBB14_303:
	s_delay_alu instid0(SALU_CYCLE_1)
	s_and_not1_b32 vcc_lo, exec_lo, s17
	s_cbranch_vccnz .LBB14_319
; %bb.304:
	s_cmp_lt_i32 s1, 2
	s_mov_b32 s17, -1
	s_cbranch_scc1 .LBB14_314
; %bb.305:
	s_cmp_lt_i32 s1, 3
	s_cbranch_scc1 .LBB14_311
; %bb.306:
	s_cmp_gt_i32 s1, 3
	s_cbranch_scc0 .LBB14_308
; %bb.307:
	s_wait_xcnt 0x0
	v_trunc_f32_e32 v3, v2
	s_mov_b32 s17, 0
	s_delay_alu instid0(VALU_DEP_1) | instskip(SKIP_1) | instid1(VALU_DEP_2)
	v_mul_f32_e64 v5, 0x2f800000, |v3|
	v_ashrrev_i32_e32 v6, 31, v3
	v_floor_f32_e32 v5, v5
	s_delay_alu instid0(VALU_DEP_1) | instskip(SKIP_1) | instid1(VALU_DEP_2)
	v_fma_f32 v7, 0xcf800000, v5, |v3|
	v_cvt_u32_f32_e32 v3, v5
	v_cvt_u32_f32_e32 v5, v7
	s_delay_alu instid0(VALU_DEP_2) | instskip(NEXT) | instid1(VALU_DEP_2)
	v_dual_mov_b32 v7, v6 :: v_dual_bitop2_b32 v9, v3, v6 bitop3:0x14
	v_xor_b32_e32 v8, v5, v6
	s_delay_alu instid0(VALU_DEP_1)
	v_sub_nc_u64_e32 v[6:7], v[8:9], v[6:7]
	global_store_b64 v[0:1], v[6:7], off
.LBB14_308:
	s_and_not1_b32 vcc_lo, exec_lo, s17
	s_cbranch_vccnz .LBB14_310
; %bb.309:
	s_wait_xcnt 0x0
	v_cvt_i32_f32_e32 v3, v2
	global_store_b32 v[0:1], v3, off
.LBB14_310:
	s_mov_b32 s17, 0
.LBB14_311:
	s_delay_alu instid0(SALU_CYCLE_1)
	s_and_not1_b32 vcc_lo, exec_lo, s17
	s_cbranch_vccnz .LBB14_313
; %bb.312:
	s_wait_xcnt 0x0
	v_cvt_i32_f32_e32 v3, v2
	global_store_b16 v[0:1], v3, off
.LBB14_313:
	s_mov_b32 s17, 0
.LBB14_314:
	s_delay_alu instid0(SALU_CYCLE_1)
	s_and_not1_b32 vcc_lo, exec_lo, s17
	s_cbranch_vccnz .LBB14_319
; %bb.315:
	s_cmp_gt_i32 s1, 0
	s_mov_b32 s1, -1
	s_cbranch_scc0 .LBB14_317
; %bb.316:
	s_wait_xcnt 0x0
	v_cvt_i32_f32_e32 v3, v2
	s_mov_b32 s1, 0
	global_store_b8 v[0:1], v3, off
.LBB14_317:
	s_and_not1_b32 vcc_lo, exec_lo, s1
	s_cbranch_vccnz .LBB14_319
; %bb.318:
	s_wait_xcnt 0x0
	v_trunc_f32_e32 v2, v2
	s_delay_alu instid0(VALU_DEP_1) | instskip(NEXT) | instid1(VALU_DEP_1)
	v_mul_f32_e64 v3, 0x2f800000, |v2|
	v_floor_f32_e32 v3, v3
	s_delay_alu instid0(VALU_DEP_1) | instskip(SKIP_1) | instid1(VALU_DEP_2)
	v_fma_f32 v3, 0xcf800000, v3, |v2|
	v_ashrrev_i32_e32 v2, 31, v2
	v_cvt_u32_f32_e32 v3, v3
	s_delay_alu instid0(VALU_DEP_1) | instskip(NEXT) | instid1(VALU_DEP_1)
	v_xor_b32_e32 v3, v3, v2
	v_sub_nc_u32_e32 v2, v3, v2
	global_store_b8 v[0:1], v2, off
.LBB14_319:
	s_branch .LBB14_408
.LBB14_320:
	s_mov_b32 s1, 0
	s_branch .LBB14_520
.LBB14_321:
	s_mov_b32 s17, -1
	s_mov_b32 s1, 0
	s_mov_b32 s16, s14
                                        ; implicit-def: $vgpr2
	s_branch .LBB14_435
.LBB14_322:
	s_mov_b32 s17, -1
	s_mov_b32 s1, 0
	s_mov_b32 s16, s14
                                        ; implicit-def: $vgpr2
	s_branch .LBB14_416
.LBB14_323:
	s_mov_b32 s20, -1
	s_mov_b32 s0, s12
	s_branch .LBB14_365
.LBB14_324:
	s_mov_b32 s17, -1
	s_mov_b32 s1, 0
	s_mov_b32 s16, s14
                                        ; implicit-def: $vgpr2
	s_branch .LBB14_411
.LBB14_325:
	s_mov_b32 s20, -1
	s_mov_b32 s0, s12
	s_branch .LBB14_348
.LBB14_326:
	s_and_not1_saveexec_b32 s19, s19
	s_cbranch_execz .LBB14_95
.LBB14_327:
	v_add_f32_e64 v3, 0x46000000, |v2|
	s_and_not1_b32 s18, s18, exec_lo
	s_delay_alu instid0(VALU_DEP_1) | instskip(NEXT) | instid1(VALU_DEP_1)
	v_and_b32_e32 v3, 0xff, v3
	v_cmp_ne_u32_e32 vcc_lo, 0, v3
	s_and_b32 s20, vcc_lo, exec_lo
	s_delay_alu instid0(SALU_CYCLE_1)
	s_or_b32 s18, s18, s20
	s_or_b32 exec_lo, exec_lo, s19
	v_mov_b32_e32 v5, 0
	s_and_saveexec_b32 s19, s18
	s_cbranch_execnz .LBB14_96
	s_branch .LBB14_97
.LBB14_328:
	s_mov_b32 s17, -1
	s_mov_b32 s1, 0
	s_mov_b32 s16, s14
	s_branch .LBB14_333
.LBB14_329:
	s_mov_b32 s20, -1
	s_mov_b32 s0, s12
	s_branch .LBB14_344
.LBB14_330:
	s_and_not1_saveexec_b32 s19, s19
	s_cbranch_execz .LBB14_108
.LBB14_331:
	v_add_f32_e64 v3, 0x42800000, |v2|
	s_and_not1_b32 s18, s18, exec_lo
	s_delay_alu instid0(VALU_DEP_1) | instskip(NEXT) | instid1(VALU_DEP_1)
	v_and_b32_e32 v3, 0xff, v3
	v_cmp_ne_u32_e32 vcc_lo, 0, v3
	s_and_b32 s20, vcc_lo, exec_lo
	s_delay_alu instid0(SALU_CYCLE_1)
	s_or_b32 s18, s18, s20
	s_or_b32 exec_lo, exec_lo, s19
	v_mov_b32_e32 v5, 0
	s_and_saveexec_b32 s19, s18
	s_cbranch_execnz .LBB14_109
	s_branch .LBB14_110
.LBB14_332:
	s_mov_b32 s16, -1
	s_mov_b32 s1, 0
.LBB14_333:
                                        ; implicit-def: $vgpr2
.LBB14_334:
	s_and_b32 vcc_lo, exec_lo, s17
	s_cbranch_vccz .LBB14_410
; %bb.335:
	s_cmp_eq_u32 s0, 44
	s_cbranch_scc0 .LBB14_409
; %bb.336:
	s_wait_loadcnt 0x0
	global_load_u8 v2, v[0:1], off
	s_mov_b32 s16, 0
	s_mov_b32 s1, -1
	s_wait_loadcnt 0x0
	v_lshlrev_b32_e32 v3, 23, v2
	v_cmp_ne_u32_e32 vcc_lo, 0xff, v2
	s_delay_alu instid0(VALU_DEP_2) | instskip(SKIP_1) | instid1(VALU_DEP_2)
	v_cndmask_b32_e32 v3, 0x7f800001, v3, vcc_lo
	v_cmp_ne_u32_e32 vcc_lo, 0, v2
	v_cndmask_b32_e32 v2, 0x400000, v3, vcc_lo
	s_branch .LBB14_410
.LBB14_337:
	s_mov_b32 s20, -1
	s_mov_b32 s0, s12
.LBB14_338:
	s_and_b32 vcc_lo, exec_lo, s20
	s_cbranch_vccz .LBB14_343
; %bb.339:
	s_cmp_eq_u32 s17, 44
	s_mov_b32 s0, -1
	s_cbranch_scc0 .LBB14_343
; %bb.340:
	v_bfe_u32 v5, v2, 23, 8
	s_wait_xcnt 0x0
	v_mov_b32_e32 v3, 0xff
	s_mov_b32 s19, exec_lo
	s_delay_alu instid0(VALU_DEP_2)
	v_cmpx_ne_u32_e32 0xff, v5
	s_cbranch_execz .LBB14_342
; %bb.341:
	v_and_b32_e32 v3, 0x400000, v2
	v_and_or_b32 v5, 0x3fffff, v2, v5
	s_delay_alu instid0(VALU_DEP_2) | instskip(NEXT) | instid1(VALU_DEP_2)
	v_cmp_ne_u32_e32 vcc_lo, 0, v3
	v_cmp_ne_u32_e64 s0, 0, v5
	v_lshrrev_b32_e32 v3, 23, v2
	s_and_b32 s0, vcc_lo, s0
	s_delay_alu instid0(SALU_CYCLE_1) | instskip(NEXT) | instid1(VALU_DEP_1)
	v_cndmask_b32_e64 v5, 0, 1, s0
	v_add_nc_u32_e32 v3, v3, v5
.LBB14_342:
	s_or_b32 exec_lo, exec_lo, s19
	s_mov_b32 s19, -1
	s_mov_b32 s0, 0
	global_store_b8 v[0:1], v3, off
.LBB14_343:
	s_mov_b32 s20, 0
.LBB14_344:
	s_delay_alu instid0(SALU_CYCLE_1)
	s_and_b32 vcc_lo, exec_lo, s20
	s_cbranch_vccz .LBB14_347
; %bb.345:
	s_cmp_eq_u32 s17, 29
	s_mov_b32 s0, -1
	s_cbranch_scc0 .LBB14_347
; %bb.346:
	s_wait_xcnt 0x0
	v_trunc_f32_e32 v3, v2
	s_mov_b32 s19, -1
	s_mov_b32 s0, 0
	s_mov_b32 s20, 0
	s_delay_alu instid0(VALU_DEP_1) | instskip(NEXT) | instid1(VALU_DEP_1)
	v_mul_f32_e32 v5, 0x2f800000, v3
	v_floor_f32_e32 v5, v5
	s_delay_alu instid0(VALU_DEP_1) | instskip(SKIP_1) | instid1(VALU_DEP_2)
	v_fmamk_f32 v3, v5, 0xcf800000, v3
	v_cvt_u32_f32_e32 v7, v5
	v_cvt_u32_f32_e32 v6, v3
	global_store_b64 v[0:1], v[6:7], off
	s_branch .LBB14_348
.LBB14_347:
	s_mov_b32 s20, 0
.LBB14_348:
	s_delay_alu instid0(SALU_CYCLE_1)
	s_and_b32 vcc_lo, exec_lo, s20
	s_cbranch_vccz .LBB14_364
; %bb.349:
	s_cmp_lt_i32 s17, 27
	s_mov_b32 s19, -1
	s_cbranch_scc1 .LBB14_355
; %bb.350:
	s_wait_xcnt 0x0
	v_cvt_u32_f32_e32 v3, v2
	s_cmp_gt_i32 s17, 27
	s_cbranch_scc0 .LBB14_352
; %bb.351:
	s_mov_b32 s19, 0
	global_store_b32 v[0:1], v3, off
.LBB14_352:
	s_and_not1_b32 vcc_lo, exec_lo, s19
	s_cbranch_vccnz .LBB14_354
; %bb.353:
	global_store_b16 v[0:1], v3, off
.LBB14_354:
	s_mov_b32 s19, 0
.LBB14_355:
	s_delay_alu instid0(SALU_CYCLE_1)
	s_and_not1_b32 vcc_lo, exec_lo, s19
	s_cbranch_vccnz .LBB14_363
; %bb.356:
	s_wait_xcnt 0x0
	v_and_b32_e32 v3, 0x7fffffff, v2
	v_mov_b32_e32 v5, 0x80
	s_mov_b32 s19, exec_lo
	s_delay_alu instid0(VALU_DEP_2)
	v_cmpx_gt_u32_e32 0x43800000, v3
	s_cbranch_execz .LBB14_362
; %bb.357:
	v_cmp_lt_u32_e32 vcc_lo, 0x3bffffff, v3
	s_mov_b32 s20, 0
                                        ; implicit-def: $vgpr3
	s_and_saveexec_b32 s21, vcc_lo
	s_delay_alu instid0(SALU_CYCLE_1)
	s_xor_b32 s21, exec_lo, s21
	s_cbranch_execz .LBB14_535
; %bb.358:
	v_bfe_u32 v3, v2, 20, 1
	s_mov_b32 s20, exec_lo
	s_delay_alu instid0(VALU_DEP_1) | instskip(NEXT) | instid1(VALU_DEP_1)
	v_add3_u32 v3, v2, v3, 0x487ffff
	v_lshrrev_b32_e32 v3, 20, v3
	s_and_not1_saveexec_b32 s21, s21
	s_cbranch_execnz .LBB14_536
.LBB14_359:
	s_or_b32 exec_lo, exec_lo, s21
	v_mov_b32_e32 v5, 0
	s_and_saveexec_b32 s21, s20
.LBB14_360:
	v_lshrrev_b32_e32 v5, 24, v2
	s_delay_alu instid0(VALU_DEP_1)
	v_and_or_b32 v5, 0x80, v5, v3
.LBB14_361:
	s_or_b32 exec_lo, exec_lo, s21
.LBB14_362:
	s_delay_alu instid0(SALU_CYCLE_1)
	s_or_b32 exec_lo, exec_lo, s19
	global_store_b8 v[0:1], v5, off
.LBB14_363:
	s_mov_b32 s19, -1
.LBB14_364:
	s_mov_b32 s20, 0
.LBB14_365:
	s_delay_alu instid0(SALU_CYCLE_1)
	s_and_b32 vcc_lo, exec_lo, s20
	s_cbranch_vccz .LBB14_406
; %bb.366:
	s_cmp_gt_i32 s17, 22
	s_mov_b32 s20, -1
	s_cbranch_scc0 .LBB14_398
; %bb.367:
	s_cmp_lt_i32 s17, 24
	s_mov_b32 s19, -1
	s_cbranch_scc1 .LBB14_387
; %bb.368:
	s_cmp_gt_i32 s17, 24
	s_cbranch_scc0 .LBB14_376
; %bb.369:
	s_wait_xcnt 0x0
	v_and_b32_e32 v3, 0x7fffffff, v2
	v_mov_b32_e32 v5, 0x80
	s_mov_b32 s19, exec_lo
	s_delay_alu instid0(VALU_DEP_2)
	v_cmpx_gt_u32_e32 0x47800000, v3
	s_cbranch_execz .LBB14_375
; %bb.370:
	v_cmp_lt_u32_e32 vcc_lo, 0x37ffffff, v3
	s_mov_b32 s20, 0
                                        ; implicit-def: $vgpr3
	s_and_saveexec_b32 s21, vcc_lo
	s_delay_alu instid0(SALU_CYCLE_1)
	s_xor_b32 s21, exec_lo, s21
	s_cbranch_execz .LBB14_538
; %bb.371:
	v_bfe_u32 v3, v2, 21, 1
	s_mov_b32 s20, exec_lo
	s_delay_alu instid0(VALU_DEP_1) | instskip(NEXT) | instid1(VALU_DEP_1)
	v_add3_u32 v3, v2, v3, 0x88fffff
	v_lshrrev_b32_e32 v3, 21, v3
	s_and_not1_saveexec_b32 s21, s21
	s_cbranch_execnz .LBB14_539
.LBB14_372:
	s_or_b32 exec_lo, exec_lo, s21
	v_mov_b32_e32 v5, 0
	s_and_saveexec_b32 s21, s20
.LBB14_373:
	v_lshrrev_b32_e32 v5, 24, v2
	s_delay_alu instid0(VALU_DEP_1)
	v_and_or_b32 v5, 0x80, v5, v3
.LBB14_374:
	s_or_b32 exec_lo, exec_lo, s21
.LBB14_375:
	s_delay_alu instid0(SALU_CYCLE_1)
	s_or_b32 exec_lo, exec_lo, s19
	s_mov_b32 s19, 0
	global_store_b8 v[0:1], v5, off
.LBB14_376:
	s_and_b32 vcc_lo, exec_lo, s19
	s_cbranch_vccz .LBB14_386
; %bb.377:
	s_wait_xcnt 0x0
	v_and_b32_e32 v5, 0x7fffffff, v2
	s_mov_b32 s19, exec_lo
                                        ; implicit-def: $vgpr3
	s_delay_alu instid0(VALU_DEP_1)
	v_cmpx_gt_u32_e32 0x43f00000, v5
	s_xor_b32 s19, exec_lo, s19
	s_cbranch_execz .LBB14_383
; %bb.378:
	s_mov_b32 s20, exec_lo
                                        ; implicit-def: $vgpr3
	v_cmpx_lt_u32_e32 0x3c7fffff, v5
	s_xor_b32 s20, exec_lo, s20
; %bb.379:
	v_bfe_u32 v3, v2, 20, 1
	s_delay_alu instid0(VALU_DEP_1) | instskip(NEXT) | instid1(VALU_DEP_1)
	v_add3_u32 v3, v2, v3, 0x407ffff
	v_and_b32_e32 v5, 0xff00000, v3
	v_lshrrev_b32_e32 v3, 20, v3
	s_delay_alu instid0(VALU_DEP_2) | instskip(NEXT) | instid1(VALU_DEP_2)
	v_cmp_ne_u32_e32 vcc_lo, 0x7f00000, v5
	v_cndmask_b32_e32 v3, 0x7e, v3, vcc_lo
; %bb.380:
	s_and_not1_saveexec_b32 s20, s20
; %bb.381:
	v_add_f32_e64 v3, 0x46800000, |v2|
; %bb.382:
	s_or_b32 exec_lo, exec_lo, s20
                                        ; implicit-def: $vgpr5
.LBB14_383:
	s_and_not1_saveexec_b32 s19, s19
; %bb.384:
	v_mov_b32_e32 v3, 0x7f
	v_cmp_lt_u32_e32 vcc_lo, 0x7f800000, v5
	s_delay_alu instid0(VALU_DEP_2)
	v_cndmask_b32_e32 v3, 0x7e, v3, vcc_lo
; %bb.385:
	s_or_b32 exec_lo, exec_lo, s19
	v_lshrrev_b32_e32 v5, 24, v2
	s_delay_alu instid0(VALU_DEP_1)
	v_and_or_b32 v3, 0x80, v5, v3
	global_store_b8 v[0:1], v3, off
.LBB14_386:
	s_mov_b32 s19, 0
.LBB14_387:
	s_delay_alu instid0(SALU_CYCLE_1)
	s_and_not1_b32 vcc_lo, exec_lo, s19
	s_cbranch_vccnz .LBB14_397
; %bb.388:
	s_wait_xcnt 0x0
	v_and_b32_e32 v5, 0x7fffffff, v2
	s_mov_b32 s19, exec_lo
                                        ; implicit-def: $vgpr3
	s_delay_alu instid0(VALU_DEP_1)
	v_cmpx_gt_u32_e32 0x47800000, v5
	s_xor_b32 s19, exec_lo, s19
	s_cbranch_execz .LBB14_394
; %bb.389:
	s_mov_b32 s20, exec_lo
                                        ; implicit-def: $vgpr3
	v_cmpx_lt_u32_e32 0x387fffff, v5
	s_xor_b32 s20, exec_lo, s20
; %bb.390:
	v_bfe_u32 v3, v2, 21, 1
	s_delay_alu instid0(VALU_DEP_1) | instskip(NEXT) | instid1(VALU_DEP_1)
	v_add3_u32 v3, v2, v3, 0x80fffff
	v_lshrrev_b32_e32 v3, 21, v3
; %bb.391:
	s_and_not1_saveexec_b32 s20, s20
; %bb.392:
	v_add_f32_e64 v3, 0x43000000, |v2|
; %bb.393:
	s_or_b32 exec_lo, exec_lo, s20
                                        ; implicit-def: $vgpr5
.LBB14_394:
	s_and_not1_saveexec_b32 s19, s19
; %bb.395:
	v_mov_b32_e32 v3, 0x7f
	v_cmp_lt_u32_e32 vcc_lo, 0x7f800000, v5
	s_delay_alu instid0(VALU_DEP_2)
	v_cndmask_b32_e32 v3, 0x7c, v3, vcc_lo
; %bb.396:
	s_or_b32 exec_lo, exec_lo, s19
	v_lshrrev_b32_e32 v5, 24, v2
	s_delay_alu instid0(VALU_DEP_1)
	v_and_or_b32 v3, 0x80, v5, v3
	global_store_b8 v[0:1], v3, off
.LBB14_397:
	s_mov_b32 s20, 0
	s_mov_b32 s19, -1
.LBB14_398:
	s_and_not1_b32 vcc_lo, exec_lo, s20
	s_cbranch_vccnz .LBB14_406
; %bb.399:
	s_cmp_gt_i32 s17, 14
	s_mov_b32 s20, -1
	s_cbranch_scc0 .LBB14_403
; %bb.400:
	s_cmp_eq_u32 s17, 15
	s_mov_b32 s0, -1
	s_cbranch_scc0 .LBB14_402
; %bb.401:
	s_wait_xcnt 0x0
	v_bfe_u32 v3, v2, 16, 1
	v_cmp_o_f32_e32 vcc_lo, v2, v2
	s_mov_b32 s19, -1
	s_mov_b32 s0, 0
	s_delay_alu instid0(VALU_DEP_2) | instskip(NEXT) | instid1(VALU_DEP_1)
	v_add3_u32 v3, v2, v3, 0x7fff
	v_lshrrev_b32_e32 v3, 16, v3
	s_delay_alu instid0(VALU_DEP_1)
	v_cndmask_b32_e32 v3, 0x7fc0, v3, vcc_lo
	global_store_b16 v[0:1], v3, off
.LBB14_402:
	s_mov_b32 s20, 0
.LBB14_403:
	s_delay_alu instid0(SALU_CYCLE_1)
	s_and_b32 vcc_lo, exec_lo, s20
	s_cbranch_vccz .LBB14_406
; %bb.404:
	s_cmp_eq_u32 s17, 11
	s_mov_b32 s0, -1
	s_cbranch_scc0 .LBB14_406
; %bb.405:
	v_cmp_neq_f32_e32 vcc_lo, 0, v2
	s_mov_b32 s0, 0
	s_mov_b32 s19, -1
	s_wait_xcnt 0x0
	v_cndmask_b32_e64 v3, 0, 1, vcc_lo
	global_store_b8 v[0:1], v3, off
.LBB14_406:
.LBB14_407:
	s_and_not1_b32 vcc_lo, exec_lo, s19
	s_cbranch_vccnz .LBB14_320
.LBB14_408:
	v_add_nc_u32_e32 v4, 0x80, v4
	s_mov_b32 s1, -1
	s_branch .LBB14_521
.LBB14_409:
	s_mov_b32 s16, -1
                                        ; implicit-def: $vgpr2
.LBB14_410:
	s_mov_b32 s17, 0
.LBB14_411:
	s_delay_alu instid0(SALU_CYCLE_1)
	s_and_b32 vcc_lo, exec_lo, s17
	s_cbranch_vccz .LBB14_415
; %bb.412:
	s_cmp_eq_u32 s0, 29
	s_cbranch_scc0 .LBB14_414
; %bb.413:
	s_wait_loadcnt 0x0
	global_load_b64 v[2:3], v[0:1], off
	s_mov_b32 s1, -1
	s_mov_b32 s16, 0
	s_mov_b32 s17, 0
	s_wait_loadcnt 0x0
	v_clz_i32_u32_e32 v5, v3
	s_delay_alu instid0(VALU_DEP_1) | instskip(NEXT) | instid1(VALU_DEP_1)
	v_min_u32_e32 v5, 32, v5
	v_lshlrev_b64_e32 v[2:3], v5, v[2:3]
	s_delay_alu instid0(VALU_DEP_1) | instskip(NEXT) | instid1(VALU_DEP_1)
	v_min_u32_e32 v2, 1, v2
	v_dual_sub_nc_u32 v3, 32, v5 :: v_dual_bitop2_b32 v2, v3, v2 bitop3:0x54
	s_delay_alu instid0(VALU_DEP_1) | instskip(NEXT) | instid1(VALU_DEP_1)
	v_cvt_f32_u32_e32 v2, v2
	v_ldexp_f32 v2, v2, v3
	s_branch .LBB14_416
.LBB14_414:
	s_mov_b32 s16, -1
                                        ; implicit-def: $vgpr2
.LBB14_415:
	s_mov_b32 s17, 0
.LBB14_416:
	s_delay_alu instid0(SALU_CYCLE_1)
	s_and_b32 vcc_lo, exec_lo, s17
	s_cbranch_vccz .LBB14_434
; %bb.417:
	s_cmp_lt_i32 s0, 27
	s_cbranch_scc1 .LBB14_420
; %bb.418:
	s_cmp_gt_i32 s0, 27
	s_cbranch_scc0 .LBB14_421
; %bb.419:
	s_wait_loadcnt 0x0
	global_load_b32 v2, v[0:1], off
	s_mov_b32 s1, 0
	s_wait_loadcnt 0x0
	v_cvt_f32_u32_e32 v2, v2
	s_branch .LBB14_422
.LBB14_420:
	s_mov_b32 s1, -1
                                        ; implicit-def: $vgpr2
	s_branch .LBB14_425
.LBB14_421:
	s_mov_b32 s1, -1
                                        ; implicit-def: $vgpr2
.LBB14_422:
	s_delay_alu instid0(SALU_CYCLE_1)
	s_and_not1_b32 vcc_lo, exec_lo, s1
	s_cbranch_vccnz .LBB14_424
; %bb.423:
	s_wait_loadcnt 0x0
	global_load_u16 v2, v[0:1], off
	s_wait_loadcnt 0x0
	v_cvt_f32_u32_e32 v2, v2
.LBB14_424:
	s_mov_b32 s1, 0
.LBB14_425:
	s_delay_alu instid0(SALU_CYCLE_1)
	s_and_not1_b32 vcc_lo, exec_lo, s1
	s_cbranch_vccnz .LBB14_433
; %bb.426:
	global_load_u8 v3, v[0:1], off
	s_mov_b32 s1, 0
	s_mov_b32 s17, exec_lo
	s_wait_loadcnt 0x0
	v_cmpx_lt_i16_e32 0x7f, v3
	s_xor_b32 s17, exec_lo, s17
	s_cbranch_execz .LBB14_447
; %bb.427:
	s_mov_b32 s1, -1
	s_mov_b32 s19, exec_lo
	v_cmpx_eq_u16_e32 0x80, v3
; %bb.428:
	s_xor_b32 s1, exec_lo, -1
; %bb.429:
	s_or_b32 exec_lo, exec_lo, s19
	s_delay_alu instid0(SALU_CYCLE_1)
	s_and_b32 s1, s1, exec_lo
	s_or_saveexec_b32 s17, s17
	v_mov_b32_e32 v2, 0x7f800001
	s_xor_b32 exec_lo, exec_lo, s17
	s_cbranch_execnz .LBB14_448
.LBB14_430:
	s_or_b32 exec_lo, exec_lo, s17
	s_and_saveexec_b32 s17, s1
	s_cbranch_execz .LBB14_432
.LBB14_431:
	v_and_b32_e32 v2, 0xffff, v3
	s_delay_alu instid0(VALU_DEP_1) | instskip(SKIP_1) | instid1(VALU_DEP_2)
	v_dual_lshlrev_b32 v3, 24, v3 :: v_dual_bitop2_b32 v5, 7, v2 bitop3:0x40
	v_bfe_u32 v8, v2, 3, 4
	v_and_b32_e32 v3, 0x80000000, v3
	s_delay_alu instid0(VALU_DEP_3) | instskip(NEXT) | instid1(VALU_DEP_3)
	v_clz_i32_u32_e32 v6, v5
	v_cmp_eq_u32_e32 vcc_lo, 0, v8
	s_delay_alu instid0(VALU_DEP_2) | instskip(NEXT) | instid1(VALU_DEP_1)
	v_min_u32_e32 v6, 32, v6
	v_subrev_nc_u32_e32 v7, 28, v6
	v_sub_nc_u32_e32 v6, 29, v6
	s_delay_alu instid0(VALU_DEP_2) | instskip(NEXT) | instid1(VALU_DEP_2)
	v_lshlrev_b32_e32 v2, v7, v2
	v_cndmask_b32_e32 v6, v8, v6, vcc_lo
	s_delay_alu instid0(VALU_DEP_2) | instskip(NEXT) | instid1(VALU_DEP_1)
	v_and_b32_e32 v2, 7, v2
	v_cndmask_b32_e32 v2, v5, v2, vcc_lo
	s_delay_alu instid0(VALU_DEP_3) | instskip(NEXT) | instid1(VALU_DEP_2)
	v_lshl_add_u32 v5, v6, 23, 0x3b800000
	v_lshlrev_b32_e32 v2, 20, v2
	s_delay_alu instid0(VALU_DEP_1)
	v_or3_b32 v2, v3, v5, v2
.LBB14_432:
	s_or_b32 exec_lo, exec_lo, s17
.LBB14_433:
	s_mov_b32 s1, -1
.LBB14_434:
	s_mov_b32 s17, 0
.LBB14_435:
	s_delay_alu instid0(SALU_CYCLE_1)
	s_and_b32 vcc_lo, exec_lo, s17
	s_cbranch_vccz .LBB14_470
; %bb.436:
	s_cmp_gt_i32 s0, 22
	s_cbranch_scc0 .LBB14_446
; %bb.437:
	s_cmp_lt_i32 s0, 24
	s_cbranch_scc1 .LBB14_449
; %bb.438:
	s_cmp_gt_i32 s0, 24
	s_cbranch_scc0 .LBB14_450
; %bb.439:
	global_load_u8 v3, v[0:1], off
	s_mov_b32 s1, 0
	s_mov_b32 s17, exec_lo
	s_wait_loadcnt 0x0
	v_cmpx_lt_i16_e32 0x7f, v3
	s_xor_b32 s17, exec_lo, s17
	s_cbranch_execz .LBB14_462
; %bb.440:
	s_mov_b32 s1, -1
	s_mov_b32 s19, exec_lo
	v_cmpx_eq_u16_e32 0x80, v3
; %bb.441:
	s_xor_b32 s1, exec_lo, -1
; %bb.442:
	s_or_b32 exec_lo, exec_lo, s19
	s_delay_alu instid0(SALU_CYCLE_1)
	s_and_b32 s1, s1, exec_lo
	s_or_saveexec_b32 s17, s17
	v_mov_b32_e32 v2, 0x7f800001
	s_xor_b32 exec_lo, exec_lo, s17
	s_cbranch_execnz .LBB14_463
.LBB14_443:
	s_or_b32 exec_lo, exec_lo, s17
	s_and_saveexec_b32 s17, s1
	s_cbranch_execz .LBB14_445
.LBB14_444:
	v_and_b32_e32 v2, 0xffff, v3
	s_delay_alu instid0(VALU_DEP_1) | instskip(SKIP_1) | instid1(VALU_DEP_2)
	v_dual_lshlrev_b32 v3, 24, v3 :: v_dual_bitop2_b32 v5, 3, v2 bitop3:0x40
	v_bfe_u32 v8, v2, 2, 5
	v_and_b32_e32 v3, 0x80000000, v3
	s_delay_alu instid0(VALU_DEP_3) | instskip(NEXT) | instid1(VALU_DEP_3)
	v_clz_i32_u32_e32 v6, v5
	v_cmp_eq_u32_e32 vcc_lo, 0, v8
	s_delay_alu instid0(VALU_DEP_2) | instskip(NEXT) | instid1(VALU_DEP_1)
	v_min_u32_e32 v6, 32, v6
	v_subrev_nc_u32_e32 v7, 29, v6
	v_sub_nc_u32_e32 v6, 30, v6
	s_delay_alu instid0(VALU_DEP_2) | instskip(NEXT) | instid1(VALU_DEP_2)
	v_lshlrev_b32_e32 v2, v7, v2
	v_cndmask_b32_e32 v6, v8, v6, vcc_lo
	s_delay_alu instid0(VALU_DEP_2) | instskip(NEXT) | instid1(VALU_DEP_1)
	v_and_b32_e32 v2, 3, v2
	v_cndmask_b32_e32 v2, v5, v2, vcc_lo
	s_delay_alu instid0(VALU_DEP_3) | instskip(NEXT) | instid1(VALU_DEP_2)
	v_lshl_add_u32 v5, v6, 23, 0x37800000
	v_lshlrev_b32_e32 v2, 21, v2
	s_delay_alu instid0(VALU_DEP_1)
	v_or3_b32 v2, v3, v5, v2
.LBB14_445:
	s_or_b32 exec_lo, exec_lo, s17
	s_mov_b32 s1, 0
	s_branch .LBB14_451
.LBB14_446:
	s_mov_b32 s17, -1
                                        ; implicit-def: $vgpr2
	s_branch .LBB14_457
.LBB14_447:
	s_or_saveexec_b32 s17, s17
	v_mov_b32_e32 v2, 0x7f800001
	s_xor_b32 exec_lo, exec_lo, s17
	s_cbranch_execz .LBB14_430
.LBB14_448:
	v_cmp_ne_u16_e32 vcc_lo, 0, v3
	v_mov_b32_e32 v2, 0
	s_and_not1_b32 s1, s1, exec_lo
	s_and_b32 s19, vcc_lo, exec_lo
	s_delay_alu instid0(SALU_CYCLE_1)
	s_or_b32 s1, s1, s19
	s_or_b32 exec_lo, exec_lo, s17
	s_and_saveexec_b32 s17, s1
	s_cbranch_execnz .LBB14_431
	s_branch .LBB14_432
.LBB14_449:
	s_mov_b32 s1, -1
                                        ; implicit-def: $vgpr2
	s_branch .LBB14_454
.LBB14_450:
	s_mov_b32 s1, -1
                                        ; implicit-def: $vgpr2
.LBB14_451:
	s_delay_alu instid0(SALU_CYCLE_1)
	s_and_b32 vcc_lo, exec_lo, s1
	s_cbranch_vccz .LBB14_453
; %bb.452:
	s_wait_loadcnt 0x0
	global_load_u8 v2, v[0:1], off
	s_wait_loadcnt 0x0
	v_lshlrev_b32_e32 v2, 24, v2
	s_delay_alu instid0(VALU_DEP_1) | instskip(NEXT) | instid1(VALU_DEP_1)
	v_and_b32_e32 v3, 0x7f000000, v2
	v_clz_i32_u32_e32 v5, v3
	v_add_nc_u32_e32 v7, 0x1000000, v3
	v_cmp_ne_u32_e32 vcc_lo, 0, v3
	s_delay_alu instid0(VALU_DEP_3) | instskip(NEXT) | instid1(VALU_DEP_1)
	v_min_u32_e32 v5, 32, v5
	v_sub_nc_u32_e64 v5, v5, 4 clamp
	s_delay_alu instid0(VALU_DEP_1) | instskip(NEXT) | instid1(VALU_DEP_1)
	v_dual_lshlrev_b32 v6, v5, v3 :: v_dual_lshlrev_b32 v5, 23, v5
	v_lshrrev_b32_e32 v6, 4, v6
	s_delay_alu instid0(VALU_DEP_1) | instskip(NEXT) | instid1(VALU_DEP_1)
	v_dual_sub_nc_u32 v5, v6, v5 :: v_dual_ashrrev_i32 v6, 8, v7
	v_add_nc_u32_e32 v5, 0x3c000000, v5
	s_delay_alu instid0(VALU_DEP_1) | instskip(NEXT) | instid1(VALU_DEP_1)
	v_and_or_b32 v5, 0x7f800000, v6, v5
	v_cndmask_b32_e32 v3, 0, v5, vcc_lo
	s_delay_alu instid0(VALU_DEP_1)
	v_and_or_b32 v2, 0x80000000, v2, v3
.LBB14_453:
	s_mov_b32 s1, 0
.LBB14_454:
	s_delay_alu instid0(SALU_CYCLE_1)
	s_and_not1_b32 vcc_lo, exec_lo, s1
	s_cbranch_vccnz .LBB14_456
; %bb.455:
	s_wait_loadcnt 0x0
	global_load_u8 v2, v[0:1], off
	s_wait_loadcnt 0x0
	v_lshlrev_b32_e32 v3, 25, v2
	v_lshlrev_b16 v2, 8, v2
	s_delay_alu instid0(VALU_DEP_2) | instskip(NEXT) | instid1(VALU_DEP_2)
	v_cmp_gt_u32_e32 vcc_lo, 0x8000000, v3
	v_and_or_b32 v6, 0x7f00, v2, 0.5
	v_lshrrev_b32_e32 v5, 4, v3
	v_bfe_i32 v2, v2, 0, 16
	s_delay_alu instid0(VALU_DEP_3) | instskip(NEXT) | instid1(VALU_DEP_3)
	v_add_f32_e32 v6, -0.5, v6
	v_or_b32_e32 v5, 0x70000000, v5
	s_delay_alu instid0(VALU_DEP_1) | instskip(NEXT) | instid1(VALU_DEP_1)
	v_mul_f32_e32 v5, 0x7800000, v5
	v_cndmask_b32_e32 v3, v5, v6, vcc_lo
	s_delay_alu instid0(VALU_DEP_1)
	v_and_or_b32 v2, 0x80000000, v2, v3
.LBB14_456:
	s_mov_b32 s17, 0
	s_mov_b32 s1, -1
.LBB14_457:
	s_and_not1_b32 vcc_lo, exec_lo, s17
	s_cbranch_vccnz .LBB14_470
; %bb.458:
	s_cmp_gt_i32 s0, 14
	s_cbranch_scc0 .LBB14_461
; %bb.459:
	s_cmp_eq_u32 s0, 15
	s_cbranch_scc0 .LBB14_464
; %bb.460:
	s_wait_loadcnt 0x0
	global_load_u16 v2, v[0:1], off
	s_mov_b32 s1, -1
	s_mov_b32 s16, 0
	s_wait_loadcnt 0x0
	v_lshlrev_b32_e32 v2, 16, v2
	s_branch .LBB14_465
.LBB14_461:
	s_mov_b32 s17, -1
                                        ; implicit-def: $vgpr2
	s_branch .LBB14_466
.LBB14_462:
	s_or_saveexec_b32 s17, s17
	v_mov_b32_e32 v2, 0x7f800001
	s_xor_b32 exec_lo, exec_lo, s17
	s_cbranch_execz .LBB14_443
.LBB14_463:
	v_cmp_ne_u16_e32 vcc_lo, 0, v3
	v_mov_b32_e32 v2, 0
	s_and_not1_b32 s1, s1, exec_lo
	s_and_b32 s19, vcc_lo, exec_lo
	s_delay_alu instid0(SALU_CYCLE_1)
	s_or_b32 s1, s1, s19
	s_or_b32 exec_lo, exec_lo, s17
	s_and_saveexec_b32 s17, s1
	s_cbranch_execnz .LBB14_444
	s_branch .LBB14_445
.LBB14_464:
	s_mov_b32 s16, -1
                                        ; implicit-def: $vgpr2
.LBB14_465:
	s_mov_b32 s17, 0
.LBB14_466:
	s_delay_alu instid0(SALU_CYCLE_1)
	s_and_b32 vcc_lo, exec_lo, s17
	s_cbranch_vccz .LBB14_470
; %bb.467:
	s_cmp_eq_u32 s0, 11
	s_cbranch_scc0 .LBB14_469
; %bb.468:
	s_wait_loadcnt 0x0
	global_load_u8 v2, v[0:1], off
	s_mov_b32 s16, 0
	s_mov_b32 s1, -1
	s_wait_loadcnt 0x0
	v_cmp_ne_u16_e32 vcc_lo, 0, v2
	v_cndmask_b32_e64 v2, 0, 1.0, vcc_lo
	s_branch .LBB14_470
.LBB14_469:
	s_mov_b32 s16, -1
                                        ; implicit-def: $vgpr2
.LBB14_470:
	s_branch .LBB14_269
.LBB14_471:
	s_cmp_lt_i32 s0, 5
	s_cbranch_scc1 .LBB14_476
; %bb.472:
	s_cmp_lt_i32 s0, 8
	s_cbranch_scc1 .LBB14_477
; %bb.473:
	;; [unrolled: 3-line block ×3, first 2 shown]
	s_cmp_gt_i32 s0, 9
	s_cbranch_scc0 .LBB14_479
; %bb.475:
	s_wait_loadcnt 0x0
	global_load_b64 v[2:3], v[0:1], off
	s_mov_b32 s1, 0
	s_wait_loadcnt 0x0
	v_cvt_f32_f64_e32 v2, v[2:3]
	s_branch .LBB14_480
.LBB14_476:
	s_mov_b32 s1, -1
                                        ; implicit-def: $vgpr2
	s_branch .LBB14_498
.LBB14_477:
	s_mov_b32 s1, -1
                                        ; implicit-def: $vgpr2
	s_branch .LBB14_486
.LBB14_478:
	s_mov_b32 s1, -1
                                        ; implicit-def: $vgpr2
	s_branch .LBB14_483
.LBB14_479:
	s_mov_b32 s1, -1
                                        ; implicit-def: $vgpr2
.LBB14_480:
	s_delay_alu instid0(SALU_CYCLE_1)
	s_and_not1_b32 vcc_lo, exec_lo, s1
	s_cbranch_vccnz .LBB14_482
; %bb.481:
	s_wait_loadcnt 0x0
	global_load_b32 v2, v[0:1], off
.LBB14_482:
	s_mov_b32 s1, 0
.LBB14_483:
	s_delay_alu instid0(SALU_CYCLE_1)
	s_and_not1_b32 vcc_lo, exec_lo, s1
	s_cbranch_vccnz .LBB14_485
; %bb.484:
	s_wait_loadcnt 0x0
	global_load_b32 v2, v[0:1], off
	s_wait_loadcnt 0x0
	v_cvt_f32_f16_e32 v2, v2
.LBB14_485:
	s_mov_b32 s1, 0
.LBB14_486:
	s_delay_alu instid0(SALU_CYCLE_1)
	s_and_not1_b32 vcc_lo, exec_lo, s1
	s_cbranch_vccnz .LBB14_497
; %bb.487:
	s_cmp_lt_i32 s0, 6
	s_cbranch_scc1 .LBB14_490
; %bb.488:
	s_cmp_gt_i32 s0, 6
	s_cbranch_scc0 .LBB14_491
; %bb.489:
	s_wait_loadcnt 0x0
	global_load_b64 v[2:3], v[0:1], off
	s_mov_b32 s1, 0
	s_wait_loadcnt 0x0
	v_cvt_f32_f64_e32 v2, v[2:3]
	s_branch .LBB14_492
.LBB14_490:
	s_mov_b32 s1, -1
                                        ; implicit-def: $vgpr2
	s_branch .LBB14_495
.LBB14_491:
	s_mov_b32 s1, -1
                                        ; implicit-def: $vgpr2
.LBB14_492:
	s_delay_alu instid0(SALU_CYCLE_1)
	s_and_not1_b32 vcc_lo, exec_lo, s1
	s_cbranch_vccnz .LBB14_494
; %bb.493:
	s_wait_loadcnt 0x0
	global_load_b32 v2, v[0:1], off
.LBB14_494:
	s_mov_b32 s1, 0
.LBB14_495:
	s_delay_alu instid0(SALU_CYCLE_1)
	s_and_not1_b32 vcc_lo, exec_lo, s1
	s_cbranch_vccnz .LBB14_497
; %bb.496:
	s_wait_loadcnt 0x0
	global_load_u16 v2, v[0:1], off
	s_wait_loadcnt 0x0
	v_cvt_f32_f16_e32 v2, v2
.LBB14_497:
	s_mov_b32 s1, 0
.LBB14_498:
	s_delay_alu instid0(SALU_CYCLE_1)
	s_and_not1_b32 vcc_lo, exec_lo, s1
	s_cbranch_vccnz .LBB14_518
; %bb.499:
	s_cmp_lt_i32 s0, 2
	s_cbranch_scc1 .LBB14_503
; %bb.500:
	s_cmp_lt_i32 s0, 3
	s_cbranch_scc1 .LBB14_504
; %bb.501:
	s_cmp_gt_i32 s0, 3
	s_cbranch_scc0 .LBB14_505
; %bb.502:
	s_wait_loadcnt 0x0
	global_load_b64 v[2:3], v[0:1], off
	s_mov_b32 s1, 0
	s_wait_loadcnt 0x0
	v_xor_b32_e32 v5, v2, v3
	v_cls_i32_e32 v6, v3
	s_delay_alu instid0(VALU_DEP_2) | instskip(NEXT) | instid1(VALU_DEP_1)
	v_ashrrev_i32_e32 v5, 31, v5
	v_add_nc_u32_e32 v5, 32, v5
	s_delay_alu instid0(VALU_DEP_1) | instskip(NEXT) | instid1(VALU_DEP_1)
	v_add_min_u32_e64 v5, v6, -1, v5
	v_lshlrev_b64_e32 v[2:3], v5, v[2:3]
	s_delay_alu instid0(VALU_DEP_1) | instskip(NEXT) | instid1(VALU_DEP_1)
	v_min_u32_e32 v2, 1, v2
	v_dual_sub_nc_u32 v3, 32, v5 :: v_dual_bitop2_b32 v2, v3, v2 bitop3:0x54
	s_delay_alu instid0(VALU_DEP_1) | instskip(NEXT) | instid1(VALU_DEP_1)
	v_cvt_f32_i32_e32 v2, v2
	v_ldexp_f32 v2, v2, v3
	s_branch .LBB14_506
.LBB14_503:
	s_mov_b32 s1, -1
                                        ; implicit-def: $vgpr2
	s_branch .LBB14_512
.LBB14_504:
	s_mov_b32 s1, -1
                                        ; implicit-def: $vgpr2
	s_branch .LBB14_509
.LBB14_505:
	s_mov_b32 s1, -1
                                        ; implicit-def: $vgpr2
.LBB14_506:
	s_delay_alu instid0(SALU_CYCLE_1)
	s_and_not1_b32 vcc_lo, exec_lo, s1
	s_cbranch_vccnz .LBB14_508
; %bb.507:
	s_wait_loadcnt 0x0
	global_load_b32 v2, v[0:1], off
	s_wait_loadcnt 0x0
	v_cvt_f32_i32_e32 v2, v2
.LBB14_508:
	s_mov_b32 s1, 0
.LBB14_509:
	s_delay_alu instid0(SALU_CYCLE_1)
	s_and_not1_b32 vcc_lo, exec_lo, s1
	s_cbranch_vccnz .LBB14_511
; %bb.510:
	s_wait_loadcnt 0x0
	global_load_i16 v2, v[0:1], off
	s_wait_loadcnt 0x0
	v_cvt_f32_i32_e32 v2, v2
.LBB14_511:
	s_mov_b32 s1, 0
.LBB14_512:
	s_delay_alu instid0(SALU_CYCLE_1)
	s_and_not1_b32 vcc_lo, exec_lo, s1
	s_cbranch_vccnz .LBB14_518
; %bb.513:
	s_cmp_gt_i32 s0, 0
	s_mov_b32 s0, 0
	s_cbranch_scc0 .LBB14_515
; %bb.514:
	s_wait_loadcnt 0x0
	global_load_i8 v2, v[0:1], off
	s_wait_loadcnt 0x0
	v_cvt_f32_i32_e32 v2, v2
	s_branch .LBB14_516
.LBB14_515:
	s_mov_b32 s0, -1
                                        ; implicit-def: $vgpr2
.LBB14_516:
	s_delay_alu instid0(SALU_CYCLE_1)
	s_and_not1_b32 vcc_lo, exec_lo, s0
	s_cbranch_vccnz .LBB14_518
; %bb.517:
	global_load_u8 v0, v[0:1], off
	s_wait_loadcnt 0x0
	v_cvt_f32_ubyte0_e32 v2, v0
.LBB14_518:
	s_branch .LBB14_270
.LBB14_519:
	s_mov_b32 s1, 0
	s_mov_b32 s0, s12
.LBB14_520:
                                        ; implicit-def: $vgpr4
.LBB14_521:
	s_and_not1_b32 s17, s12, exec_lo
	s_and_b32 s0, s0, exec_lo
	s_and_not1_b32 s19, s14, exec_lo
	s_and_b32 s16, s16, exec_lo
	s_or_b32 s17, s17, s0
	s_or_b32 s16, s19, s16
	s_or_not1_b32 s0, s1, exec_lo
.LBB14_522:
	s_wait_xcnt 0x0
	s_or_b32 exec_lo, exec_lo, s18
	s_mov_b32 s1, 0
	s_mov_b32 s19, 0
	;; [unrolled: 1-line block ×3, first 2 shown]
                                        ; implicit-def: $vgpr0_vgpr1
                                        ; implicit-def: $vgpr3
	s_and_saveexec_b32 s18, s0
	s_cbranch_execz .LBB14_872
; %bb.523:
	s_mov_b32 s20, -1
	s_mov_b32 s0, s16
	s_mov_b32 s1, s17
	s_mov_b32 s19, exec_lo
	v_cmpx_gt_i32_e64 s13, v4
	s_cbranch_execz .LBB14_786
; %bb.524:
	v_mul_lo_u32 v0, v4, s3
	s_and_b32 s0, 0xffff, s10
	s_delay_alu instid0(SALU_CYCLE_1) | instskip(NEXT) | instid1(VALU_DEP_1)
	s_cmp_lt_i32 s0, 11
	v_ashrrev_i32_e32 v1, 31, v0
	s_delay_alu instid0(VALU_DEP_1)
	v_add_nc_u64_e32 v[0:1], s[6:7], v[0:1]
	s_cbranch_scc1 .LBB14_531
; %bb.525:
	s_cmp_gt_i32 s0, 25
	s_cbranch_scc0 .LBB14_532
; %bb.526:
	s_cmp_gt_i32 s0, 28
	s_cbranch_scc0 .LBB14_533
	;; [unrolled: 3-line block ×4, first 2 shown]
; %bb.529:
	s_cmp_eq_u32 s0, 46
	s_mov_b32 s21, 0
	s_cbranch_scc0 .LBB14_540
; %bb.530:
	s_wait_loadcnt 0x0
	global_load_b32 v2, v[0:1], off
	s_mov_b32 s1, -1
	s_mov_b32 s20, 0
	s_wait_loadcnt 0x0
	v_lshlrev_b32_e32 v2, 16, v2
	s_branch .LBB14_542
.LBB14_531:
	s_mov_b32 s21, -1
	s_mov_b32 s1, 0
	s_mov_b32 s20, s16
                                        ; implicit-def: $vgpr2
	s_branch .LBB14_607
.LBB14_532:
	s_mov_b32 s21, -1
	s_mov_b32 s1, 0
	s_mov_b32 s20, s16
                                        ; implicit-def: $vgpr2
	s_branch .LBB14_571
.LBB14_533:
	s_mov_b32 s21, -1
	s_mov_b32 s1, 0
	s_mov_b32 s20, s16
                                        ; implicit-def: $vgpr2
	s_branch .LBB14_552
.LBB14_534:
	s_mov_b32 s21, -1
	s_mov_b32 s1, 0
	s_mov_b32 s20, s16
                                        ; implicit-def: $vgpr2
	s_branch .LBB14_547
.LBB14_535:
	s_and_not1_saveexec_b32 s21, s21
	s_cbranch_execz .LBB14_359
.LBB14_536:
	v_add_f32_e64 v3, 0x46000000, |v2|
	s_and_not1_b32 s20, s20, exec_lo
	s_delay_alu instid0(VALU_DEP_1) | instskip(NEXT) | instid1(VALU_DEP_1)
	v_and_b32_e32 v3, 0xff, v3
	v_cmp_ne_u32_e32 vcc_lo, 0, v3
	s_and_b32 s22, vcc_lo, exec_lo
	s_delay_alu instid0(SALU_CYCLE_1)
	s_or_b32 s20, s20, s22
	s_or_b32 exec_lo, exec_lo, s21
	v_mov_b32_e32 v5, 0
	s_and_saveexec_b32 s21, s20
	s_cbranch_execnz .LBB14_360
	s_branch .LBB14_361
.LBB14_537:
	s_mov_b32 s21, -1
	s_mov_b32 s1, 0
	s_mov_b32 s20, s16
	s_branch .LBB14_541
.LBB14_538:
	s_and_not1_saveexec_b32 s21, s21
	s_cbranch_execz .LBB14_372
.LBB14_539:
	v_add_f32_e64 v3, 0x42800000, |v2|
	s_and_not1_b32 s20, s20, exec_lo
	s_delay_alu instid0(VALU_DEP_1) | instskip(NEXT) | instid1(VALU_DEP_1)
	v_and_b32_e32 v3, 0xff, v3
	v_cmp_ne_u32_e32 vcc_lo, 0, v3
	s_and_b32 s22, vcc_lo, exec_lo
	s_delay_alu instid0(SALU_CYCLE_1)
	s_or_b32 s20, s20, s22
	s_or_b32 exec_lo, exec_lo, s21
	v_mov_b32_e32 v5, 0
	s_and_saveexec_b32 s21, s20
	s_cbranch_execnz .LBB14_373
	s_branch .LBB14_374
.LBB14_540:
	s_mov_b32 s1, 0
.LBB14_541:
                                        ; implicit-def: $vgpr2
.LBB14_542:
	s_and_b32 vcc_lo, exec_lo, s21
	s_cbranch_vccz .LBB14_546
; %bb.543:
	s_cmp_eq_u32 s0, 44
	s_cbranch_scc0 .LBB14_545
; %bb.544:
	s_wait_loadcnt 0x0
	global_load_u8 v2, v[0:1], off
	s_mov_b32 s20, 0
	s_mov_b32 s1, -1
	s_wait_loadcnt 0x0
	v_lshlrev_b32_e32 v3, 23, v2
	v_cmp_ne_u32_e32 vcc_lo, 0xff, v2
	s_delay_alu instid0(VALU_DEP_2) | instskip(SKIP_1) | instid1(VALU_DEP_2)
	v_cndmask_b32_e32 v3, 0x7f800001, v3, vcc_lo
	v_cmp_ne_u32_e32 vcc_lo, 0, v2
	v_cndmask_b32_e32 v2, 0x400000, v3, vcc_lo
	s_branch .LBB14_546
.LBB14_545:
	s_mov_b32 s20, -1
                                        ; implicit-def: $vgpr2
.LBB14_546:
	s_mov_b32 s21, 0
.LBB14_547:
	s_delay_alu instid0(SALU_CYCLE_1)
	s_and_b32 vcc_lo, exec_lo, s21
	s_cbranch_vccz .LBB14_551
; %bb.548:
	s_cmp_eq_u32 s0, 29
	s_cbranch_scc0 .LBB14_550
; %bb.549:
	s_wait_loadcnt 0x0
	global_load_b64 v[2:3], v[0:1], off
	s_mov_b32 s1, -1
	s_mov_b32 s20, 0
	s_mov_b32 s21, 0
	s_wait_loadcnt 0x0
	v_clz_i32_u32_e32 v5, v3
	s_delay_alu instid0(VALU_DEP_1) | instskip(NEXT) | instid1(VALU_DEP_1)
	v_min_u32_e32 v5, 32, v5
	v_lshlrev_b64_e32 v[2:3], v5, v[2:3]
	s_delay_alu instid0(VALU_DEP_1) | instskip(NEXT) | instid1(VALU_DEP_1)
	v_min_u32_e32 v2, 1, v2
	v_dual_sub_nc_u32 v3, 32, v5 :: v_dual_bitop2_b32 v2, v3, v2 bitop3:0x54
	s_delay_alu instid0(VALU_DEP_1) | instskip(NEXT) | instid1(VALU_DEP_1)
	v_cvt_f32_u32_e32 v2, v2
	v_ldexp_f32 v2, v2, v3
	s_branch .LBB14_552
.LBB14_550:
	s_mov_b32 s20, -1
                                        ; implicit-def: $vgpr2
.LBB14_551:
	s_mov_b32 s21, 0
.LBB14_552:
	s_delay_alu instid0(SALU_CYCLE_1)
	s_and_b32 vcc_lo, exec_lo, s21
	s_cbranch_vccz .LBB14_570
; %bb.553:
	s_cmp_lt_i32 s0, 27
	s_cbranch_scc1 .LBB14_556
; %bb.554:
	s_cmp_gt_i32 s0, 27
	s_cbranch_scc0 .LBB14_557
; %bb.555:
	s_wait_loadcnt 0x0
	global_load_b32 v2, v[0:1], off
	s_mov_b32 s1, 0
	s_wait_loadcnt 0x0
	v_cvt_f32_u32_e32 v2, v2
	s_branch .LBB14_558
.LBB14_556:
	s_mov_b32 s1, -1
                                        ; implicit-def: $vgpr2
	s_branch .LBB14_561
.LBB14_557:
	s_mov_b32 s1, -1
                                        ; implicit-def: $vgpr2
.LBB14_558:
	s_delay_alu instid0(SALU_CYCLE_1)
	s_and_not1_b32 vcc_lo, exec_lo, s1
	s_cbranch_vccnz .LBB14_560
; %bb.559:
	s_wait_loadcnt 0x0
	global_load_u16 v2, v[0:1], off
	s_wait_loadcnt 0x0
	v_cvt_f32_u32_e32 v2, v2
.LBB14_560:
	s_mov_b32 s1, 0
.LBB14_561:
	s_delay_alu instid0(SALU_CYCLE_1)
	s_and_not1_b32 vcc_lo, exec_lo, s1
	s_cbranch_vccnz .LBB14_569
; %bb.562:
	global_load_u8 v3, v[0:1], off
	s_mov_b32 s1, 0
	s_mov_b32 s21, exec_lo
	s_wait_loadcnt 0x0
	v_cmpx_lt_i16_e32 0x7f, v3
	s_xor_b32 s21, exec_lo, s21
	s_cbranch_execz .LBB14_583
; %bb.563:
	s_mov_b32 s1, -1
	s_mov_b32 s22, exec_lo
	v_cmpx_eq_u16_e32 0x80, v3
; %bb.564:
	s_xor_b32 s1, exec_lo, -1
; %bb.565:
	s_or_b32 exec_lo, exec_lo, s22
	s_delay_alu instid0(SALU_CYCLE_1)
	s_and_b32 s1, s1, exec_lo
	s_or_saveexec_b32 s21, s21
	v_mov_b32_e32 v2, 0x7f800001
	s_xor_b32 exec_lo, exec_lo, s21
	s_cbranch_execnz .LBB14_584
.LBB14_566:
	s_or_b32 exec_lo, exec_lo, s21
	s_and_saveexec_b32 s21, s1
	s_cbranch_execz .LBB14_568
.LBB14_567:
	v_and_b32_e32 v2, 0xffff, v3
	s_delay_alu instid0(VALU_DEP_1) | instskip(SKIP_1) | instid1(VALU_DEP_2)
	v_dual_lshlrev_b32 v3, 24, v3 :: v_dual_bitop2_b32 v5, 7, v2 bitop3:0x40
	v_bfe_u32 v8, v2, 3, 4
	v_and_b32_e32 v3, 0x80000000, v3
	s_delay_alu instid0(VALU_DEP_3) | instskip(NEXT) | instid1(VALU_DEP_3)
	v_clz_i32_u32_e32 v6, v5
	v_cmp_eq_u32_e32 vcc_lo, 0, v8
	s_delay_alu instid0(VALU_DEP_2) | instskip(NEXT) | instid1(VALU_DEP_1)
	v_min_u32_e32 v6, 32, v6
	v_subrev_nc_u32_e32 v7, 28, v6
	v_sub_nc_u32_e32 v6, 29, v6
	s_delay_alu instid0(VALU_DEP_2) | instskip(NEXT) | instid1(VALU_DEP_2)
	v_lshlrev_b32_e32 v2, v7, v2
	v_cndmask_b32_e32 v6, v8, v6, vcc_lo
	s_delay_alu instid0(VALU_DEP_2) | instskip(NEXT) | instid1(VALU_DEP_1)
	v_and_b32_e32 v2, 7, v2
	v_cndmask_b32_e32 v2, v5, v2, vcc_lo
	s_delay_alu instid0(VALU_DEP_3) | instskip(NEXT) | instid1(VALU_DEP_2)
	v_lshl_add_u32 v5, v6, 23, 0x3b800000
	v_lshlrev_b32_e32 v2, 20, v2
	s_delay_alu instid0(VALU_DEP_1)
	v_or3_b32 v2, v3, v5, v2
.LBB14_568:
	s_or_b32 exec_lo, exec_lo, s21
.LBB14_569:
	s_mov_b32 s1, -1
.LBB14_570:
	s_mov_b32 s21, 0
.LBB14_571:
	s_delay_alu instid0(SALU_CYCLE_1)
	s_and_b32 vcc_lo, exec_lo, s21
	s_cbranch_vccz .LBB14_606
; %bb.572:
	s_cmp_gt_i32 s0, 22
	s_cbranch_scc0 .LBB14_582
; %bb.573:
	s_cmp_lt_i32 s0, 24
	s_cbranch_scc1 .LBB14_585
; %bb.574:
	s_cmp_gt_i32 s0, 24
	s_cbranch_scc0 .LBB14_586
; %bb.575:
	global_load_u8 v3, v[0:1], off
	s_mov_b32 s1, 0
	s_mov_b32 s21, exec_lo
	s_wait_loadcnt 0x0
	v_cmpx_lt_i16_e32 0x7f, v3
	s_xor_b32 s21, exec_lo, s21
	s_cbranch_execz .LBB14_598
; %bb.576:
	s_mov_b32 s1, -1
	s_mov_b32 s22, exec_lo
	v_cmpx_eq_u16_e32 0x80, v3
; %bb.577:
	s_xor_b32 s1, exec_lo, -1
; %bb.578:
	s_or_b32 exec_lo, exec_lo, s22
	s_delay_alu instid0(SALU_CYCLE_1)
	s_and_b32 s1, s1, exec_lo
	s_or_saveexec_b32 s21, s21
	v_mov_b32_e32 v2, 0x7f800001
	s_xor_b32 exec_lo, exec_lo, s21
	s_cbranch_execnz .LBB14_599
.LBB14_579:
	s_or_b32 exec_lo, exec_lo, s21
	s_and_saveexec_b32 s21, s1
	s_cbranch_execz .LBB14_581
.LBB14_580:
	v_and_b32_e32 v2, 0xffff, v3
	s_delay_alu instid0(VALU_DEP_1) | instskip(SKIP_1) | instid1(VALU_DEP_2)
	v_dual_lshlrev_b32 v3, 24, v3 :: v_dual_bitop2_b32 v5, 3, v2 bitop3:0x40
	v_bfe_u32 v8, v2, 2, 5
	v_and_b32_e32 v3, 0x80000000, v3
	s_delay_alu instid0(VALU_DEP_3) | instskip(NEXT) | instid1(VALU_DEP_3)
	v_clz_i32_u32_e32 v6, v5
	v_cmp_eq_u32_e32 vcc_lo, 0, v8
	s_delay_alu instid0(VALU_DEP_2) | instskip(NEXT) | instid1(VALU_DEP_1)
	v_min_u32_e32 v6, 32, v6
	v_subrev_nc_u32_e32 v7, 29, v6
	v_sub_nc_u32_e32 v6, 30, v6
	s_delay_alu instid0(VALU_DEP_2) | instskip(NEXT) | instid1(VALU_DEP_2)
	v_lshlrev_b32_e32 v2, v7, v2
	v_cndmask_b32_e32 v6, v8, v6, vcc_lo
	s_delay_alu instid0(VALU_DEP_2) | instskip(NEXT) | instid1(VALU_DEP_1)
	v_and_b32_e32 v2, 3, v2
	v_cndmask_b32_e32 v2, v5, v2, vcc_lo
	s_delay_alu instid0(VALU_DEP_3) | instskip(NEXT) | instid1(VALU_DEP_2)
	v_lshl_add_u32 v5, v6, 23, 0x37800000
	v_lshlrev_b32_e32 v2, 21, v2
	s_delay_alu instid0(VALU_DEP_1)
	v_or3_b32 v2, v3, v5, v2
.LBB14_581:
	s_or_b32 exec_lo, exec_lo, s21
	s_mov_b32 s1, 0
	s_branch .LBB14_587
.LBB14_582:
	s_mov_b32 s21, -1
                                        ; implicit-def: $vgpr2
	s_branch .LBB14_593
.LBB14_583:
	s_or_saveexec_b32 s21, s21
	v_mov_b32_e32 v2, 0x7f800001
	s_xor_b32 exec_lo, exec_lo, s21
	s_cbranch_execz .LBB14_566
.LBB14_584:
	v_cmp_ne_u16_e32 vcc_lo, 0, v3
	v_mov_b32_e32 v2, 0
	s_and_not1_b32 s1, s1, exec_lo
	s_and_b32 s22, vcc_lo, exec_lo
	s_delay_alu instid0(SALU_CYCLE_1)
	s_or_b32 s1, s1, s22
	s_or_b32 exec_lo, exec_lo, s21
	s_and_saveexec_b32 s21, s1
	s_cbranch_execnz .LBB14_567
	s_branch .LBB14_568
.LBB14_585:
	s_mov_b32 s1, -1
                                        ; implicit-def: $vgpr2
	s_branch .LBB14_590
.LBB14_586:
	s_mov_b32 s1, -1
                                        ; implicit-def: $vgpr2
.LBB14_587:
	s_delay_alu instid0(SALU_CYCLE_1)
	s_and_b32 vcc_lo, exec_lo, s1
	s_cbranch_vccz .LBB14_589
; %bb.588:
	s_wait_loadcnt 0x0
	global_load_u8 v2, v[0:1], off
	s_wait_loadcnt 0x0
	v_lshlrev_b32_e32 v2, 24, v2
	s_delay_alu instid0(VALU_DEP_1) | instskip(NEXT) | instid1(VALU_DEP_1)
	v_and_b32_e32 v3, 0x7f000000, v2
	v_clz_i32_u32_e32 v5, v3
	v_add_nc_u32_e32 v7, 0x1000000, v3
	v_cmp_ne_u32_e32 vcc_lo, 0, v3
	s_delay_alu instid0(VALU_DEP_3) | instskip(NEXT) | instid1(VALU_DEP_1)
	v_min_u32_e32 v5, 32, v5
	v_sub_nc_u32_e64 v5, v5, 4 clamp
	s_delay_alu instid0(VALU_DEP_1) | instskip(NEXT) | instid1(VALU_DEP_1)
	v_dual_lshlrev_b32 v6, v5, v3 :: v_dual_lshlrev_b32 v5, 23, v5
	v_lshrrev_b32_e32 v6, 4, v6
	s_delay_alu instid0(VALU_DEP_1) | instskip(NEXT) | instid1(VALU_DEP_1)
	v_dual_sub_nc_u32 v5, v6, v5 :: v_dual_ashrrev_i32 v6, 8, v7
	v_add_nc_u32_e32 v5, 0x3c000000, v5
	s_delay_alu instid0(VALU_DEP_1) | instskip(NEXT) | instid1(VALU_DEP_1)
	v_and_or_b32 v5, 0x7f800000, v6, v5
	v_cndmask_b32_e32 v3, 0, v5, vcc_lo
	s_delay_alu instid0(VALU_DEP_1)
	v_and_or_b32 v2, 0x80000000, v2, v3
.LBB14_589:
	s_mov_b32 s1, 0
.LBB14_590:
	s_delay_alu instid0(SALU_CYCLE_1)
	s_and_not1_b32 vcc_lo, exec_lo, s1
	s_cbranch_vccnz .LBB14_592
; %bb.591:
	s_wait_loadcnt 0x0
	global_load_u8 v2, v[0:1], off
	s_wait_loadcnt 0x0
	v_lshlrev_b32_e32 v3, 25, v2
	v_lshlrev_b16 v2, 8, v2
	s_delay_alu instid0(VALU_DEP_2) | instskip(NEXT) | instid1(VALU_DEP_2)
	v_cmp_gt_u32_e32 vcc_lo, 0x8000000, v3
	v_and_or_b32 v6, 0x7f00, v2, 0.5
	v_lshrrev_b32_e32 v5, 4, v3
	v_bfe_i32 v2, v2, 0, 16
	s_delay_alu instid0(VALU_DEP_3) | instskip(NEXT) | instid1(VALU_DEP_3)
	v_add_f32_e32 v6, -0.5, v6
	v_or_b32_e32 v5, 0x70000000, v5
	s_delay_alu instid0(VALU_DEP_1) | instskip(NEXT) | instid1(VALU_DEP_1)
	v_mul_f32_e32 v5, 0x7800000, v5
	v_cndmask_b32_e32 v3, v5, v6, vcc_lo
	s_delay_alu instid0(VALU_DEP_1)
	v_and_or_b32 v2, 0x80000000, v2, v3
.LBB14_592:
	s_mov_b32 s21, 0
	s_mov_b32 s1, -1
.LBB14_593:
	s_and_not1_b32 vcc_lo, exec_lo, s21
	s_cbranch_vccnz .LBB14_606
; %bb.594:
	s_cmp_gt_i32 s0, 14
	s_cbranch_scc0 .LBB14_597
; %bb.595:
	s_cmp_eq_u32 s0, 15
	s_cbranch_scc0 .LBB14_600
; %bb.596:
	s_wait_loadcnt 0x0
	global_load_u16 v2, v[0:1], off
	s_mov_b32 s1, -1
	s_mov_b32 s20, 0
	s_wait_loadcnt 0x0
	v_lshlrev_b32_e32 v2, 16, v2
	s_branch .LBB14_601
.LBB14_597:
	s_mov_b32 s21, -1
                                        ; implicit-def: $vgpr2
	s_branch .LBB14_602
.LBB14_598:
	s_or_saveexec_b32 s21, s21
	v_mov_b32_e32 v2, 0x7f800001
	s_xor_b32 exec_lo, exec_lo, s21
	s_cbranch_execz .LBB14_579
.LBB14_599:
	v_cmp_ne_u16_e32 vcc_lo, 0, v3
	v_mov_b32_e32 v2, 0
	s_and_not1_b32 s1, s1, exec_lo
	s_and_b32 s22, vcc_lo, exec_lo
	s_delay_alu instid0(SALU_CYCLE_1)
	s_or_b32 s1, s1, s22
	s_or_b32 exec_lo, exec_lo, s21
	s_and_saveexec_b32 s21, s1
	s_cbranch_execnz .LBB14_580
	s_branch .LBB14_581
.LBB14_600:
	s_mov_b32 s20, -1
                                        ; implicit-def: $vgpr2
.LBB14_601:
	s_mov_b32 s21, 0
.LBB14_602:
	s_delay_alu instid0(SALU_CYCLE_1)
	s_and_b32 vcc_lo, exec_lo, s21
	s_cbranch_vccz .LBB14_606
; %bb.603:
	s_cmp_eq_u32 s0, 11
	s_cbranch_scc0 .LBB14_605
; %bb.604:
	s_wait_loadcnt 0x0
	global_load_u8 v2, v[0:1], off
	s_mov_b32 s20, 0
	s_mov_b32 s1, -1
	s_wait_loadcnt 0x0
	v_cmp_ne_u16_e32 vcc_lo, 0, v2
	v_cndmask_b32_e64 v2, 0, 1.0, vcc_lo
	s_branch .LBB14_606
.LBB14_605:
	s_mov_b32 s20, -1
                                        ; implicit-def: $vgpr2
.LBB14_606:
	s_mov_b32 s21, 0
.LBB14_607:
	s_delay_alu instid0(SALU_CYCLE_1)
	s_and_b32 vcc_lo, exec_lo, s21
	s_cbranch_vccz .LBB14_656
; %bb.608:
	s_cmp_lt_i32 s0, 5
	s_cbranch_scc1 .LBB14_613
; %bb.609:
	s_cmp_lt_i32 s0, 8
	s_cbranch_scc1 .LBB14_614
	;; [unrolled: 3-line block ×3, first 2 shown]
; %bb.611:
	s_cmp_gt_i32 s0, 9
	s_cbranch_scc0 .LBB14_616
; %bb.612:
	s_wait_loadcnt 0x0
	global_load_b64 v[2:3], v[0:1], off
	s_mov_b32 s1, 0
	s_wait_loadcnt 0x0
	v_cvt_f32_f64_e32 v2, v[2:3]
	s_branch .LBB14_617
.LBB14_613:
	s_mov_b32 s1, -1
                                        ; implicit-def: $vgpr2
	s_branch .LBB14_635
.LBB14_614:
	s_mov_b32 s1, -1
                                        ; implicit-def: $vgpr2
	s_branch .LBB14_623
.LBB14_615:
	s_mov_b32 s1, -1
                                        ; implicit-def: $vgpr2
	s_branch .LBB14_620
.LBB14_616:
	s_mov_b32 s1, -1
                                        ; implicit-def: $vgpr2
.LBB14_617:
	s_delay_alu instid0(SALU_CYCLE_1)
	s_and_not1_b32 vcc_lo, exec_lo, s1
	s_cbranch_vccnz .LBB14_619
; %bb.618:
	s_wait_loadcnt 0x0
	global_load_b32 v2, v[0:1], off
.LBB14_619:
	s_mov_b32 s1, 0
.LBB14_620:
	s_delay_alu instid0(SALU_CYCLE_1)
	s_and_not1_b32 vcc_lo, exec_lo, s1
	s_cbranch_vccnz .LBB14_622
; %bb.621:
	s_wait_loadcnt 0x0
	global_load_b32 v2, v[0:1], off
	s_wait_loadcnt 0x0
	v_cvt_f32_f16_e32 v2, v2
.LBB14_622:
	s_mov_b32 s1, 0
.LBB14_623:
	s_delay_alu instid0(SALU_CYCLE_1)
	s_and_not1_b32 vcc_lo, exec_lo, s1
	s_cbranch_vccnz .LBB14_634
; %bb.624:
	s_cmp_lt_i32 s0, 6
	s_cbranch_scc1 .LBB14_627
; %bb.625:
	s_cmp_gt_i32 s0, 6
	s_cbranch_scc0 .LBB14_628
; %bb.626:
	s_wait_loadcnt 0x0
	global_load_b64 v[2:3], v[0:1], off
	s_mov_b32 s1, 0
	s_wait_loadcnt 0x0
	v_cvt_f32_f64_e32 v2, v[2:3]
	s_branch .LBB14_629
.LBB14_627:
	s_mov_b32 s1, -1
                                        ; implicit-def: $vgpr2
	s_branch .LBB14_632
.LBB14_628:
	s_mov_b32 s1, -1
                                        ; implicit-def: $vgpr2
.LBB14_629:
	s_delay_alu instid0(SALU_CYCLE_1)
	s_and_not1_b32 vcc_lo, exec_lo, s1
	s_cbranch_vccnz .LBB14_631
; %bb.630:
	s_wait_loadcnt 0x0
	global_load_b32 v2, v[0:1], off
.LBB14_631:
	s_mov_b32 s1, 0
.LBB14_632:
	s_delay_alu instid0(SALU_CYCLE_1)
	s_and_not1_b32 vcc_lo, exec_lo, s1
	s_cbranch_vccnz .LBB14_634
; %bb.633:
	s_wait_loadcnt 0x0
	global_load_u16 v2, v[0:1], off
	s_wait_loadcnt 0x0
	v_cvt_f32_f16_e32 v2, v2
.LBB14_634:
	s_mov_b32 s1, 0
.LBB14_635:
	s_delay_alu instid0(SALU_CYCLE_1)
	s_and_not1_b32 vcc_lo, exec_lo, s1
	s_cbranch_vccnz .LBB14_655
; %bb.636:
	s_cmp_lt_i32 s0, 2
	s_cbranch_scc1 .LBB14_640
; %bb.637:
	s_cmp_lt_i32 s0, 3
	s_cbranch_scc1 .LBB14_641
; %bb.638:
	s_cmp_gt_i32 s0, 3
	s_cbranch_scc0 .LBB14_642
; %bb.639:
	s_wait_loadcnt 0x0
	global_load_b64 v[2:3], v[0:1], off
	s_mov_b32 s1, 0
	s_wait_loadcnt 0x0
	v_xor_b32_e32 v5, v2, v3
	v_cls_i32_e32 v6, v3
	s_delay_alu instid0(VALU_DEP_2) | instskip(NEXT) | instid1(VALU_DEP_1)
	v_ashrrev_i32_e32 v5, 31, v5
	v_add_nc_u32_e32 v5, 32, v5
	s_delay_alu instid0(VALU_DEP_1) | instskip(NEXT) | instid1(VALU_DEP_1)
	v_add_min_u32_e64 v5, v6, -1, v5
	v_lshlrev_b64_e32 v[2:3], v5, v[2:3]
	s_delay_alu instid0(VALU_DEP_1) | instskip(NEXT) | instid1(VALU_DEP_1)
	v_min_u32_e32 v2, 1, v2
	v_dual_sub_nc_u32 v3, 32, v5 :: v_dual_bitop2_b32 v2, v3, v2 bitop3:0x54
	s_delay_alu instid0(VALU_DEP_1) | instskip(NEXT) | instid1(VALU_DEP_1)
	v_cvt_f32_i32_e32 v2, v2
	v_ldexp_f32 v2, v2, v3
	s_branch .LBB14_643
.LBB14_640:
	s_mov_b32 s1, -1
                                        ; implicit-def: $vgpr2
	s_branch .LBB14_649
.LBB14_641:
	s_mov_b32 s1, -1
                                        ; implicit-def: $vgpr2
	s_branch .LBB14_646
.LBB14_642:
	s_mov_b32 s1, -1
                                        ; implicit-def: $vgpr2
.LBB14_643:
	s_delay_alu instid0(SALU_CYCLE_1)
	s_and_not1_b32 vcc_lo, exec_lo, s1
	s_cbranch_vccnz .LBB14_645
; %bb.644:
	s_wait_loadcnt 0x0
	global_load_b32 v2, v[0:1], off
	s_wait_loadcnt 0x0
	v_cvt_f32_i32_e32 v2, v2
.LBB14_645:
	s_mov_b32 s1, 0
.LBB14_646:
	s_delay_alu instid0(SALU_CYCLE_1)
	s_and_not1_b32 vcc_lo, exec_lo, s1
	s_cbranch_vccnz .LBB14_648
; %bb.647:
	s_wait_loadcnt 0x0
	global_load_i16 v2, v[0:1], off
	s_wait_loadcnt 0x0
	v_cvt_f32_i32_e32 v2, v2
.LBB14_648:
	s_mov_b32 s1, 0
.LBB14_649:
	s_delay_alu instid0(SALU_CYCLE_1)
	s_and_not1_b32 vcc_lo, exec_lo, s1
	s_cbranch_vccnz .LBB14_655
; %bb.650:
	s_cmp_gt_i32 s0, 0
	s_mov_b32 s0, 0
	s_cbranch_scc0 .LBB14_652
; %bb.651:
	s_wait_loadcnt 0x0
	global_load_i8 v2, v[0:1], off
	s_wait_loadcnt 0x0
	v_cvt_f32_i32_e32 v2, v2
	s_branch .LBB14_653
.LBB14_652:
	s_mov_b32 s0, -1
                                        ; implicit-def: $vgpr2
.LBB14_653:
	s_delay_alu instid0(SALU_CYCLE_1)
	s_and_not1_b32 vcc_lo, exec_lo, s0
	s_cbranch_vccnz .LBB14_655
; %bb.654:
	global_load_u8 v0, v[0:1], off
	s_wait_loadcnt 0x0
	v_cvt_f32_ubyte0_e32 v2, v0
.LBB14_655:
	s_mov_b32 s1, -1
.LBB14_656:
	s_delay_alu instid0(SALU_CYCLE_1)
	s_and_not1_b32 vcc_lo, exec_lo, s1
	s_cbranch_vccnz .LBB14_668
; %bb.657:
	s_wait_loadcnt 0x0
	s_delay_alu instid0(VALU_DEP_1)
	v_and_b32_e32 v0, 0x7fffffff, v2
                                        ; implicit-def: $vgpr3
                                        ; implicit-def: $vgpr1
	s_mov_b32 s1, exec_lo
	v_cmpx_ngt_f32_e64 0x48000000, |v2|
	s_xor_b32 s21, exec_lo, s1
	s_cbranch_execz .LBB14_659
; %bb.658:
	s_mov_b32 s0, 0x7fffff
	v_mov_b32_e32 v7, 0
	v_and_or_b32 v6, v0, s0, 0x800000
	s_mov_b64 s[0:1], 0xfe5163ab
	v_lshrrev_b32_e32 v1, 23, v0
	s_delay_alu instid0(VALU_DEP_2) | instskip(NEXT) | instid1(VALU_DEP_1)
	v_mul_u64_e32 v[8:9], s[0:1], v[6:7]
	v_dual_mov_b32 v10, v9 :: v_dual_mov_b32 v11, v7
	v_dual_mov_b32 v13, v7 :: v_dual_mov_b32 v15, v7
	v_mov_b32_e32 v17, v7
	s_delay_alu instid0(VALU_DEP_3) | instskip(NEXT) | instid1(VALU_DEP_1)
	v_mad_nc_u64_u32 v[10:11], 0x3c439041, v6, v[10:11]
	v_mov_b32_e32 v12, v11
	s_delay_alu instid0(VALU_DEP_1) | instskip(NEXT) | instid1(VALU_DEP_1)
	v_mad_nc_u64_u32 v[12:13], 0xdb629599, v6, v[12:13]
	v_mov_b32_e32 v14, v13
	s_delay_alu instid0(VALU_DEP_1) | instskip(NEXT) | instid1(VALU_DEP_1)
	;; [unrolled: 3-line block ×3, first 2 shown]
	v_mad_nc_u64_u32 v[16:17], 0xfc2757d1, v6, v[16:17]
	v_dual_mov_b32 v19, v7 :: v_dual_mov_b32 v18, v17
	s_delay_alu instid0(VALU_DEP_1) | instskip(NEXT) | instid1(VALU_DEP_1)
	v_mad_nc_u64_u32 v[18:19], 0x4e441529, v6, v[18:19]
	v_dual_mov_b32 v20, v19 :: v_dual_add_nc_u32 v1, 0xffffff88, v1
	s_delay_alu instid0(VALU_DEP_1) | instskip(SKIP_2) | instid1(VALU_DEP_2)
	v_cmp_lt_u32_e32 vcc_lo, 63, v1
	v_mov_b32_e32 v21, v7
	v_cndmask_b32_e64 v3, 0, 0xffffffc0, vcc_lo
	v_mad_nc_u64_u32 v[6:7], 0xa2f9836e, v6, v[20:21]
	v_dual_cndmask_b32 v5, v18, v14, vcc_lo :: v_dual_cndmask_b32 v9, v16, v12, vcc_lo
	s_delay_alu instid0(VALU_DEP_3) | instskip(NEXT) | instid1(VALU_DEP_1)
	v_dual_cndmask_b32 v8, v12, v8 :: v_dual_add_nc_u32 v1, v3, v1
	v_cmp_lt_u32_e64 s0, 31, v1
	s_delay_alu instid0(VALU_DEP_4) | instskip(NEXT) | instid1(VALU_DEP_2)
	v_dual_cndmask_b32 v6, v6, v16 :: v_dual_cndmask_b32 v7, v7, v18
	v_cndmask_b32_e64 v3, 0, 0xffffffe0, s0
	s_delay_alu instid0(VALU_DEP_1) | instskip(NEXT) | instid1(VALU_DEP_1)
	v_add_nc_u32_e32 v1, v3, v1
	v_cmp_lt_u32_e64 s1, 31, v1
	s_delay_alu instid0(VALU_DEP_1) | instskip(NEXT) | instid1(VALU_DEP_1)
	v_cndmask_b32_e64 v3, 0, 0xffffffe0, s1
	v_dual_add_nc_u32 v1, v3, v1 :: v_dual_cndmask_b32 v3, v14, v10, vcc_lo
	v_dual_cndmask_b32 v10, v6, v5, s0 :: v_dual_cndmask_b32 v6, v7, v6, s0
	v_cndmask_b32_e64 v5, v5, v9, s0
	s_delay_alu instid0(VALU_DEP_3) | instskip(SKIP_1) | instid1(VALU_DEP_4)
	v_dual_sub_nc_u32 v7, 32, v1 :: v_dual_cndmask_b32 v9, v9, v3, s0
	v_cmp_eq_u32_e32 vcc_lo, 0, v1
	v_cndmask_b32_e64 v6, v6, v10, s1
	s_delay_alu instid0(VALU_DEP_4) | instskip(NEXT) | instid1(VALU_DEP_4)
	v_cndmask_b32_e64 v10, v10, v5, s1
	v_cndmask_b32_e64 v5, v5, v9, s1
	s_delay_alu instid0(VALU_DEP_2) | instskip(NEXT) | instid1(VALU_DEP_2)
	v_alignbit_b32 v11, v6, v10, v7
	v_alignbit_b32 v12, v10, v5, v7
	v_cndmask_b32_e64 v3, v3, v8, s0
	s_delay_alu instid0(VALU_DEP_3) | instskip(NEXT) | instid1(VALU_DEP_2)
	v_cndmask_b32_e32 v1, v11, v6, vcc_lo
	v_dual_cndmask_b32 v6, v12, v10, vcc_lo :: v_dual_cndmask_b32 v3, v9, v3, s1
	s_delay_alu instid0(VALU_DEP_2) | instskip(NEXT) | instid1(VALU_DEP_2)
	v_bfe_u32 v8, v1, 29, 1
	v_alignbit_b32 v9, v1, v6, 30
	s_delay_alu instid0(VALU_DEP_3) | instskip(NEXT) | instid1(VALU_DEP_1)
	v_alignbit_b32 v7, v5, v3, v7
	v_dual_cndmask_b32 v5, v7, v5 :: v_dual_sub_nc_u32 v10, 0, v8
	s_delay_alu instid0(VALU_DEP_1) | instskip(NEXT) | instid1(VALU_DEP_2)
	v_xor_b32_e32 v9, v9, v10
	v_alignbit_b32 v6, v6, v5, 30
	v_alignbit_b32 v3, v5, v3, 30
	s_delay_alu instid0(VALU_DEP_3) | instskip(NEXT) | instid1(VALU_DEP_3)
	v_clz_i32_u32_e32 v7, v9
	v_xor_b32_e32 v5, v6, v10
	s_delay_alu instid0(VALU_DEP_3) | instskip(NEXT) | instid1(VALU_DEP_3)
	v_xor_b32_e32 v3, v3, v10
	v_min_u32_e32 v7, 32, v7
	s_delay_alu instid0(VALU_DEP_1) | instskip(SKIP_1) | instid1(VALU_DEP_2)
	v_dual_lshrrev_b32 v10, 29, v1 :: v_dual_sub_nc_u32 v6, 31, v7
	v_lshlrev_b32_e32 v11, 23, v7
	v_alignbit_b32 v9, v9, v5, v6
	v_alignbit_b32 v3, v5, v3, v6
	s_delay_alu instid0(VALU_DEP_4) | instskip(NEXT) | instid1(VALU_DEP_2)
	v_lshlrev_b32_e32 v5, 31, v10
	v_alignbit_b32 v6, v9, v3, 9
	s_delay_alu instid0(VALU_DEP_2) | instskip(SKIP_2) | instid1(VALU_DEP_4)
	v_or_b32_e32 v10, 0.5, v5
	v_lshrrev_b32_e32 v9, 9, v9
	v_or_b32_e32 v5, 0x33000000, v5
	v_clz_i32_u32_e32 v12, v6
	s_delay_alu instid0(VALU_DEP_4) | instskip(NEXT) | instid1(VALU_DEP_2)
	v_sub_nc_u32_e32 v10, v10, v11
	v_min_u32_e32 v11, 32, v12
	s_delay_alu instid0(VALU_DEP_2) | instskip(NEXT) | instid1(VALU_DEP_2)
	v_or_b32_e32 v9, v9, v10
	v_not_b32_e32 v10, v11
	v_add_lshl_u32 v7, v11, v7, 23
	s_delay_alu instid0(VALU_DEP_2) | instskip(NEXT) | instid1(VALU_DEP_2)
	v_alignbit_b32 v3, v6, v3, v10
	v_sub_nc_u32_e32 v5, v5, v7
	s_delay_alu instid0(VALU_DEP_2) | instskip(NEXT) | instid1(VALU_DEP_1)
	v_dual_mul_f32 v12, 0x3fc90fda, v9 :: v_dual_lshrrev_b32 v3, 9, v3
	v_or_b32_e32 v3, v5, v3
	s_delay_alu instid0(VALU_DEP_2) | instskip(NEXT) | instid1(VALU_DEP_1)
	v_fma_f32 v6, 0x3fc90fda, v9, -v12
	v_fmamk_f32 v6, v9, 0x33a22168, v6
	s_delay_alu instid0(VALU_DEP_1) | instskip(NEXT) | instid1(VALU_DEP_1)
	v_dual_fmac_f32 v6, 0x3fc90fda, v3 :: v_dual_lshrrev_b32 v3, 30, v1
	v_add_nc_u32_e32 v3, v8, v3
	s_delay_alu instid0(VALU_DEP_2)
	v_add_f32_e32 v1, v12, v6
.LBB14_659:
	s_and_not1_saveexec_b32 s0, s21
; %bb.660:
	v_mul_f32_e64 v1, 0x3f22f983, |v2|
	s_delay_alu instid0(VALU_DEP_1) | instskip(NEXT) | instid1(VALU_DEP_1)
	v_rndne_f32_e32 v3, v1
	v_fma_f32 v1, 0xbfc90fda, v3, |v2|
	s_delay_alu instid0(VALU_DEP_1) | instskip(NEXT) | instid1(VALU_DEP_1)
	v_fmamk_f32 v1, v3, 0xb3a22168, v1
	v_fmamk_f32 v1, v3, 0xa7c234c4, v1
	v_cvt_i32_f32_e32 v3, v3
; %bb.661:
	s_or_b32 exec_lo, exec_lo, s0
	s_delay_alu instid0(VALU_DEP_1) | instskip(SKIP_3) | instid1(VALU_DEP_1)
	v_dual_mul_f32 v5, v1, v1 :: v_dual_bitop2_b32 v9, 1, v3 bitop3:0x40
	s_mov_b32 s0, 0xb94c1982
	s_mov_b32 s1, 0x37d75334
	;; [unrolled: 1-line block ×3, first 2 shown]
	v_dual_fmaak_f32 v6, s0, v5, 0x3c0881c4 :: v_dual_lshlrev_b32 v3, 30, v3
	v_cmp_eq_u32_e32 vcc_lo, 0, v9
	s_mov_b32 s21, -1
	s_mov_b32 s0, s17
	s_delay_alu instid0(VALU_DEP_2) | instskip(SKIP_4) | instid1(VALU_DEP_3)
	v_fmaak_f32 v6, v5, v6, 0xbe2aaa9d
	v_fmaak_f32 v7, s1, v5, 0xbab64f3b
	v_and_b32_e32 v3, 0x80000000, v3
	s_and_b32 s1, s8, 0xff
	v_xor_b32_e32 v0, v0, v2
	v_dual_mul_f32 v8, v5, v6 :: v_dual_fmaak_f32 v7, v5, v7, 0x3d2aabf7
	v_mul_lo_u32 v6, v4, s2
	s_cmp_lt_i32 s1, 11
	s_delay_alu instid0(VALU_DEP_2) | instskip(NEXT) | instid1(VALU_DEP_3)
	v_fmac_f32_e32 v1, v1, v8
	v_fmaak_f32 v7, v5, v7, 0xbf000004
	s_delay_alu instid0(VALU_DEP_1) | instskip(NEXT) | instid1(VALU_DEP_1)
	v_fma_f32 v5, v5, v7, 1.0
	v_cndmask_b32_e32 v1, v5, v1, vcc_lo
	v_cmp_class_f32_e64 vcc_lo, v2, 0x1f8
	s_delay_alu instid0(VALU_DEP_2) | instskip(NEXT) | instid1(VALU_DEP_1)
	v_xor3_b32 v3, v0, v3, v1
	v_dual_cndmask_b32 v2, 0x7fc00000, v3 :: v_dual_ashrrev_i32 v7, 31, v6
	s_delay_alu instid0(VALU_DEP_1)
	v_add_nc_u64_e32 v[0:1], s[4:5], v[6:7]
	s_cbranch_scc1 .LBB14_669
; %bb.662:
	s_and_b32 s21, 0xffff, s1
	s_delay_alu instid0(SALU_CYCLE_1)
	s_cmp_gt_i32 s21, 25
	s_cbranch_scc0 .LBB14_710
; %bb.663:
	s_cmp_gt_i32 s21, 28
	s_cbranch_scc0 .LBB14_711
; %bb.664:
	;; [unrolled: 3-line block ×4, first 2 shown]
	s_mov_b32 s23, 0
	s_mov_b32 s0, -1
	s_cmp_eq_u32 s21, 46
	s_cbranch_scc0 .LBB14_714
; %bb.667:
	v_bfe_u32 v3, v2, 16, 1
	v_cmp_o_f32_e32 vcc_lo, v2, v2
	s_mov_b32 s22, -1
	s_mov_b32 s0, 0
	s_delay_alu instid0(VALU_DEP_2) | instskip(NEXT) | instid1(VALU_DEP_1)
	v_add3_u32 v3, v2, v3, 0x7fff
	v_lshrrev_b32_e32 v3, 16, v3
	s_delay_alu instid0(VALU_DEP_1)
	v_cndmask_b32_e32 v3, 0x7fc0, v3, vcc_lo
	global_store_b32 v[0:1], v3, off
	s_branch .LBB14_714
.LBB14_668:
	s_mov_b32 s21, 0
	s_mov_b32 s0, s17
	s_branch .LBB14_709
.LBB14_669:
	s_and_b32 vcc_lo, exec_lo, s21
	s_cbranch_vccz .LBB14_783
; %bb.670:
	s_and_b32 s1, 0xffff, s1
	s_mov_b32 s21, -1
	s_cmp_lt_i32 s1, 5
	s_cbranch_scc1 .LBB14_691
; %bb.671:
	s_cmp_lt_i32 s1, 8
	s_cbranch_scc1 .LBB14_681
; %bb.672:
	;; [unrolled: 3-line block ×3, first 2 shown]
	s_cmp_gt_i32 s1, 9
	s_cbranch_scc0 .LBB14_675
; %bb.674:
	s_wait_xcnt 0x0
	v_cvt_f64_f32_e32 v[6:7], v2
	v_mov_b32_e32 v8, 0
	s_mov_b32 s21, 0
	s_delay_alu instid0(VALU_DEP_1)
	v_mov_b32_e32 v9, v8
	global_store_b128 v[0:1], v[6:9], off
.LBB14_675:
	s_and_not1_b32 vcc_lo, exec_lo, s21
	s_cbranch_vccnz .LBB14_677
; %bb.676:
	s_wait_xcnt 0x0
	v_mov_b32_e32 v3, 0
	global_store_b64 v[0:1], v[2:3], off
.LBB14_677:
	s_mov_b32 s21, 0
.LBB14_678:
	s_delay_alu instid0(SALU_CYCLE_1)
	s_and_not1_b32 vcc_lo, exec_lo, s21
	s_cbranch_vccnz .LBB14_680
; %bb.679:
	s_wait_xcnt 0x0
	v_cvt_f16_f32_e32 v3, v2
	s_delay_alu instid0(VALU_DEP_1)
	v_and_b32_e32 v3, 0xffff, v3
	global_store_b32 v[0:1], v3, off
.LBB14_680:
	s_mov_b32 s21, 0
.LBB14_681:
	s_delay_alu instid0(SALU_CYCLE_1)
	s_and_not1_b32 vcc_lo, exec_lo, s21
	s_cbranch_vccnz .LBB14_690
; %bb.682:
	s_cmp_lt_i32 s1, 6
	s_mov_b32 s21, -1
	s_cbranch_scc1 .LBB14_688
; %bb.683:
	s_cmp_gt_i32 s1, 6
	s_cbranch_scc0 .LBB14_685
; %bb.684:
	s_wait_xcnt 0x0
	v_cvt_f64_f32_e32 v[6:7], v2
	s_mov_b32 s21, 0
	global_store_b64 v[0:1], v[6:7], off
.LBB14_685:
	s_and_not1_b32 vcc_lo, exec_lo, s21
	s_cbranch_vccnz .LBB14_687
; %bb.686:
	global_store_b32 v[0:1], v2, off
.LBB14_687:
	s_mov_b32 s21, 0
.LBB14_688:
	s_delay_alu instid0(SALU_CYCLE_1)
	s_and_not1_b32 vcc_lo, exec_lo, s21
	s_cbranch_vccnz .LBB14_690
; %bb.689:
	s_wait_xcnt 0x0
	v_cvt_f16_f32_e32 v3, v2
	global_store_b16 v[0:1], v3, off
.LBB14_690:
	s_mov_b32 s21, 0
.LBB14_691:
	s_delay_alu instid0(SALU_CYCLE_1)
	s_and_not1_b32 vcc_lo, exec_lo, s21
	s_cbranch_vccnz .LBB14_707
; %bb.692:
	s_cmp_lt_i32 s1, 2
	s_mov_b32 s21, -1
	s_cbranch_scc1 .LBB14_702
; %bb.693:
	s_cmp_lt_i32 s1, 3
	s_cbranch_scc1 .LBB14_699
; %bb.694:
	s_cmp_gt_i32 s1, 3
	s_cbranch_scc0 .LBB14_696
; %bb.695:
	s_wait_xcnt 0x0
	v_trunc_f32_e32 v3, v2
	s_mov_b32 s21, 0
	s_delay_alu instid0(VALU_DEP_1) | instskip(SKIP_1) | instid1(VALU_DEP_2)
	v_mul_f32_e64 v5, 0x2f800000, |v3|
	v_ashrrev_i32_e32 v6, 31, v3
	v_floor_f32_e32 v5, v5
	s_delay_alu instid0(VALU_DEP_1) | instskip(SKIP_1) | instid1(VALU_DEP_2)
	v_fma_f32 v7, 0xcf800000, v5, |v3|
	v_cvt_u32_f32_e32 v3, v5
	v_cvt_u32_f32_e32 v5, v7
	s_delay_alu instid0(VALU_DEP_2) | instskip(NEXT) | instid1(VALU_DEP_2)
	v_dual_mov_b32 v7, v6 :: v_dual_bitop2_b32 v9, v3, v6 bitop3:0x14
	v_xor_b32_e32 v8, v5, v6
	s_delay_alu instid0(VALU_DEP_1)
	v_sub_nc_u64_e32 v[6:7], v[8:9], v[6:7]
	global_store_b64 v[0:1], v[6:7], off
.LBB14_696:
	s_and_not1_b32 vcc_lo, exec_lo, s21
	s_cbranch_vccnz .LBB14_698
; %bb.697:
	s_wait_xcnt 0x0
	v_cvt_i32_f32_e32 v3, v2
	global_store_b32 v[0:1], v3, off
.LBB14_698:
	s_mov_b32 s21, 0
.LBB14_699:
	s_delay_alu instid0(SALU_CYCLE_1)
	s_and_not1_b32 vcc_lo, exec_lo, s21
	s_cbranch_vccnz .LBB14_701
; %bb.700:
	s_wait_xcnt 0x0
	v_cvt_i32_f32_e32 v3, v2
	global_store_b16 v[0:1], v3, off
.LBB14_701:
	s_mov_b32 s21, 0
.LBB14_702:
	s_delay_alu instid0(SALU_CYCLE_1)
	s_and_not1_b32 vcc_lo, exec_lo, s21
	s_cbranch_vccnz .LBB14_707
; %bb.703:
	s_cmp_gt_i32 s1, 0
	s_mov_b32 s1, -1
	s_cbranch_scc0 .LBB14_705
; %bb.704:
	s_wait_xcnt 0x0
	v_cvt_i32_f32_e32 v3, v2
	s_mov_b32 s1, 0
	global_store_b8 v[0:1], v3, off
.LBB14_705:
	s_and_not1_b32 vcc_lo, exec_lo, s1
	s_cbranch_vccnz .LBB14_707
; %bb.706:
	s_wait_xcnt 0x0
	v_trunc_f32_e32 v2, v2
	s_delay_alu instid0(VALU_DEP_1) | instskip(NEXT) | instid1(VALU_DEP_1)
	v_mul_f32_e64 v3, 0x2f800000, |v2|
	v_floor_f32_e32 v3, v3
	s_delay_alu instid0(VALU_DEP_1) | instskip(SKIP_1) | instid1(VALU_DEP_2)
	v_fma_f32 v3, 0xcf800000, v3, |v2|
	v_ashrrev_i32_e32 v2, 31, v2
	v_cvt_u32_f32_e32 v3, v3
	s_delay_alu instid0(VALU_DEP_1) | instskip(NEXT) | instid1(VALU_DEP_1)
	v_xor_b32_e32 v3, v3, v2
	v_sub_nc_u32_e32 v2, v3, v2
	global_store_b8 v[0:1], v2, off
.LBB14_707:
	s_branch .LBB14_784
.LBB14_708:
	s_mov_b32 s21, 0
.LBB14_709:
                                        ; implicit-def: $vgpr4
	s_branch .LBB14_785
.LBB14_710:
	s_mov_b32 s23, -1
	s_mov_b32 s0, s17
	s_branch .LBB14_741
.LBB14_711:
	s_mov_b32 s23, -1
	s_mov_b32 s0, s17
	s_branch .LBB14_724
.LBB14_712:
	s_mov_b32 s23, -1
	s_mov_b32 s0, s17
	s_branch .LBB14_720
.LBB14_713:
	s_mov_b32 s23, -1
	s_mov_b32 s0, s17
.LBB14_714:
	s_and_b32 vcc_lo, exec_lo, s23
	s_cbranch_vccz .LBB14_719
; %bb.715:
	s_cmp_eq_u32 s21, 44
	s_mov_b32 s0, -1
	s_cbranch_scc0 .LBB14_719
; %bb.716:
	v_bfe_u32 v5, v2, 23, 8
	s_wait_xcnt 0x0
	v_mov_b32_e32 v3, 0xff
	s_mov_b32 s22, exec_lo
	s_delay_alu instid0(VALU_DEP_2)
	v_cmpx_ne_u32_e32 0xff, v5
	s_cbranch_execz .LBB14_718
; %bb.717:
	v_and_b32_e32 v3, 0x400000, v2
	v_and_or_b32 v5, 0x3fffff, v2, v5
	s_delay_alu instid0(VALU_DEP_2) | instskip(NEXT) | instid1(VALU_DEP_2)
	v_cmp_ne_u32_e32 vcc_lo, 0, v3
	v_cmp_ne_u32_e64 s0, 0, v5
	v_lshrrev_b32_e32 v3, 23, v2
	s_and_b32 s0, vcc_lo, s0
	s_delay_alu instid0(SALU_CYCLE_1) | instskip(NEXT) | instid1(VALU_DEP_1)
	v_cndmask_b32_e64 v5, 0, 1, s0
	v_add_nc_u32_e32 v3, v3, v5
.LBB14_718:
	s_or_b32 exec_lo, exec_lo, s22
	s_mov_b32 s22, -1
	s_mov_b32 s0, 0
	global_store_b8 v[0:1], v3, off
.LBB14_719:
	s_mov_b32 s23, 0
.LBB14_720:
	s_delay_alu instid0(SALU_CYCLE_1)
	s_and_b32 vcc_lo, exec_lo, s23
	s_cbranch_vccz .LBB14_723
; %bb.721:
	s_cmp_eq_u32 s21, 29
	s_mov_b32 s0, -1
	s_cbranch_scc0 .LBB14_723
; %bb.722:
	s_wait_xcnt 0x0
	v_trunc_f32_e32 v3, v2
	s_mov_b32 s22, -1
	s_mov_b32 s0, 0
	s_mov_b32 s23, 0
	s_delay_alu instid0(VALU_DEP_1) | instskip(NEXT) | instid1(VALU_DEP_1)
	v_mul_f32_e32 v5, 0x2f800000, v3
	v_floor_f32_e32 v5, v5
	s_delay_alu instid0(VALU_DEP_1) | instskip(SKIP_1) | instid1(VALU_DEP_2)
	v_fmamk_f32 v3, v5, 0xcf800000, v3
	v_cvt_u32_f32_e32 v7, v5
	v_cvt_u32_f32_e32 v6, v3
	global_store_b64 v[0:1], v[6:7], off
	s_branch .LBB14_724
.LBB14_723:
	s_mov_b32 s23, 0
.LBB14_724:
	s_delay_alu instid0(SALU_CYCLE_1)
	s_and_b32 vcc_lo, exec_lo, s23
	s_cbranch_vccz .LBB14_740
; %bb.725:
	s_cmp_lt_i32 s21, 27
	s_mov_b32 s22, -1
	s_cbranch_scc1 .LBB14_731
; %bb.726:
	s_wait_xcnt 0x0
	v_cvt_u32_f32_e32 v3, v2
	s_cmp_gt_i32 s21, 27
	s_cbranch_scc0 .LBB14_728
; %bb.727:
	s_mov_b32 s22, 0
	global_store_b32 v[0:1], v3, off
.LBB14_728:
	s_and_not1_b32 vcc_lo, exec_lo, s22
	s_cbranch_vccnz .LBB14_730
; %bb.729:
	global_store_b16 v[0:1], v3, off
.LBB14_730:
	s_mov_b32 s22, 0
.LBB14_731:
	s_delay_alu instid0(SALU_CYCLE_1)
	s_and_not1_b32 vcc_lo, exec_lo, s22
	s_cbranch_vccnz .LBB14_739
; %bb.732:
	s_wait_xcnt 0x0
	v_and_b32_e32 v3, 0x7fffffff, v2
	v_mov_b32_e32 v5, 0x80
	s_mov_b32 s22, exec_lo
	s_delay_alu instid0(VALU_DEP_2)
	v_cmpx_gt_u32_e32 0x43800000, v3
	s_cbranch_execz .LBB14_738
; %bb.733:
	v_cmp_lt_u32_e32 vcc_lo, 0x3bffffff, v3
	s_mov_b32 s23, 0
                                        ; implicit-def: $vgpr3
	s_and_saveexec_b32 s24, vcc_lo
	s_delay_alu instid0(SALU_CYCLE_1)
	s_xor_b32 s24, exec_lo, s24
	s_cbranch_execz .LBB14_799
; %bb.734:
	v_bfe_u32 v3, v2, 20, 1
	s_mov_b32 s23, exec_lo
	s_delay_alu instid0(VALU_DEP_1) | instskip(NEXT) | instid1(VALU_DEP_1)
	v_add3_u32 v3, v2, v3, 0x487ffff
	v_lshrrev_b32_e32 v3, 20, v3
	s_and_not1_saveexec_b32 s24, s24
	s_cbranch_execnz .LBB14_800
.LBB14_735:
	s_or_b32 exec_lo, exec_lo, s24
	v_mov_b32_e32 v5, 0
	s_and_saveexec_b32 s24, s23
.LBB14_736:
	v_lshrrev_b32_e32 v5, 24, v2
	s_delay_alu instid0(VALU_DEP_1)
	v_and_or_b32 v5, 0x80, v5, v3
.LBB14_737:
	s_or_b32 exec_lo, exec_lo, s24
.LBB14_738:
	s_delay_alu instid0(SALU_CYCLE_1)
	s_or_b32 exec_lo, exec_lo, s22
	global_store_b8 v[0:1], v5, off
.LBB14_739:
	s_mov_b32 s22, -1
.LBB14_740:
	s_mov_b32 s23, 0
.LBB14_741:
	s_delay_alu instid0(SALU_CYCLE_1)
	s_and_b32 vcc_lo, exec_lo, s23
	s_cbranch_vccz .LBB14_782
; %bb.742:
	s_cmp_gt_i32 s21, 22
	s_mov_b32 s23, -1
	s_cbranch_scc0 .LBB14_774
; %bb.743:
	s_cmp_lt_i32 s21, 24
	s_mov_b32 s22, -1
	s_cbranch_scc1 .LBB14_763
; %bb.744:
	s_cmp_gt_i32 s21, 24
	s_cbranch_scc0 .LBB14_752
; %bb.745:
	s_wait_xcnt 0x0
	v_and_b32_e32 v3, 0x7fffffff, v2
	v_mov_b32_e32 v5, 0x80
	s_mov_b32 s22, exec_lo
	s_delay_alu instid0(VALU_DEP_2)
	v_cmpx_gt_u32_e32 0x47800000, v3
	s_cbranch_execz .LBB14_751
; %bb.746:
	v_cmp_lt_u32_e32 vcc_lo, 0x37ffffff, v3
	s_mov_b32 s23, 0
                                        ; implicit-def: $vgpr3
	s_and_saveexec_b32 s24, vcc_lo
	s_delay_alu instid0(SALU_CYCLE_1)
	s_xor_b32 s24, exec_lo, s24
	s_cbranch_execz .LBB14_802
; %bb.747:
	v_bfe_u32 v3, v2, 21, 1
	s_mov_b32 s23, exec_lo
	s_delay_alu instid0(VALU_DEP_1) | instskip(NEXT) | instid1(VALU_DEP_1)
	v_add3_u32 v3, v2, v3, 0x88fffff
	v_lshrrev_b32_e32 v3, 21, v3
	s_and_not1_saveexec_b32 s24, s24
	s_cbranch_execnz .LBB14_803
.LBB14_748:
	s_or_b32 exec_lo, exec_lo, s24
	v_mov_b32_e32 v5, 0
	s_and_saveexec_b32 s24, s23
.LBB14_749:
	v_lshrrev_b32_e32 v5, 24, v2
	s_delay_alu instid0(VALU_DEP_1)
	v_and_or_b32 v5, 0x80, v5, v3
.LBB14_750:
	s_or_b32 exec_lo, exec_lo, s24
.LBB14_751:
	s_delay_alu instid0(SALU_CYCLE_1)
	s_or_b32 exec_lo, exec_lo, s22
	s_mov_b32 s22, 0
	global_store_b8 v[0:1], v5, off
.LBB14_752:
	s_and_b32 vcc_lo, exec_lo, s22
	s_cbranch_vccz .LBB14_762
; %bb.753:
	s_wait_xcnt 0x0
	v_and_b32_e32 v5, 0x7fffffff, v2
	s_mov_b32 s22, exec_lo
                                        ; implicit-def: $vgpr3
	s_delay_alu instid0(VALU_DEP_1)
	v_cmpx_gt_u32_e32 0x43f00000, v5
	s_xor_b32 s22, exec_lo, s22
	s_cbranch_execz .LBB14_759
; %bb.754:
	s_mov_b32 s23, exec_lo
                                        ; implicit-def: $vgpr3
	v_cmpx_lt_u32_e32 0x3c7fffff, v5
	s_xor_b32 s23, exec_lo, s23
; %bb.755:
	v_bfe_u32 v3, v2, 20, 1
	s_delay_alu instid0(VALU_DEP_1) | instskip(NEXT) | instid1(VALU_DEP_1)
	v_add3_u32 v3, v2, v3, 0x407ffff
	v_and_b32_e32 v5, 0xff00000, v3
	v_lshrrev_b32_e32 v3, 20, v3
	s_delay_alu instid0(VALU_DEP_2) | instskip(NEXT) | instid1(VALU_DEP_2)
	v_cmp_ne_u32_e32 vcc_lo, 0x7f00000, v5
	v_cndmask_b32_e32 v3, 0x7e, v3, vcc_lo
; %bb.756:
	s_and_not1_saveexec_b32 s23, s23
; %bb.757:
	v_add_f32_e64 v3, 0x46800000, |v2|
; %bb.758:
	s_or_b32 exec_lo, exec_lo, s23
                                        ; implicit-def: $vgpr5
.LBB14_759:
	s_and_not1_saveexec_b32 s22, s22
; %bb.760:
	v_mov_b32_e32 v3, 0x7f
	v_cmp_lt_u32_e32 vcc_lo, 0x7f800000, v5
	s_delay_alu instid0(VALU_DEP_2)
	v_cndmask_b32_e32 v3, 0x7e, v3, vcc_lo
; %bb.761:
	s_or_b32 exec_lo, exec_lo, s22
	v_lshrrev_b32_e32 v5, 24, v2
	s_delay_alu instid0(VALU_DEP_1)
	v_and_or_b32 v3, 0x80, v5, v3
	global_store_b8 v[0:1], v3, off
.LBB14_762:
	s_mov_b32 s22, 0
.LBB14_763:
	s_delay_alu instid0(SALU_CYCLE_1)
	s_and_not1_b32 vcc_lo, exec_lo, s22
	s_cbranch_vccnz .LBB14_773
; %bb.764:
	s_wait_xcnt 0x0
	v_and_b32_e32 v5, 0x7fffffff, v2
	s_mov_b32 s22, exec_lo
                                        ; implicit-def: $vgpr3
	s_delay_alu instid0(VALU_DEP_1)
	v_cmpx_gt_u32_e32 0x47800000, v5
	s_xor_b32 s22, exec_lo, s22
	s_cbranch_execz .LBB14_770
; %bb.765:
	s_mov_b32 s23, exec_lo
                                        ; implicit-def: $vgpr3
	v_cmpx_lt_u32_e32 0x387fffff, v5
	s_xor_b32 s23, exec_lo, s23
; %bb.766:
	v_bfe_u32 v3, v2, 21, 1
	s_delay_alu instid0(VALU_DEP_1) | instskip(NEXT) | instid1(VALU_DEP_1)
	v_add3_u32 v3, v2, v3, 0x80fffff
	v_lshrrev_b32_e32 v3, 21, v3
; %bb.767:
	s_and_not1_saveexec_b32 s23, s23
; %bb.768:
	v_add_f32_e64 v3, 0x43000000, |v2|
; %bb.769:
	s_or_b32 exec_lo, exec_lo, s23
                                        ; implicit-def: $vgpr5
.LBB14_770:
	s_and_not1_saveexec_b32 s22, s22
; %bb.771:
	v_mov_b32_e32 v3, 0x7f
	v_cmp_lt_u32_e32 vcc_lo, 0x7f800000, v5
	s_delay_alu instid0(VALU_DEP_2)
	v_cndmask_b32_e32 v3, 0x7c, v3, vcc_lo
; %bb.772:
	s_or_b32 exec_lo, exec_lo, s22
	v_lshrrev_b32_e32 v5, 24, v2
	s_delay_alu instid0(VALU_DEP_1)
	v_and_or_b32 v3, 0x80, v5, v3
	global_store_b8 v[0:1], v3, off
.LBB14_773:
	s_mov_b32 s23, 0
	s_mov_b32 s22, -1
.LBB14_774:
	s_and_not1_b32 vcc_lo, exec_lo, s23
	s_cbranch_vccnz .LBB14_782
; %bb.775:
	s_cmp_gt_i32 s21, 14
	s_mov_b32 s23, -1
	s_cbranch_scc0 .LBB14_779
; %bb.776:
	s_cmp_eq_u32 s21, 15
	s_mov_b32 s0, -1
	s_cbranch_scc0 .LBB14_778
; %bb.777:
	s_wait_xcnt 0x0
	v_bfe_u32 v3, v2, 16, 1
	v_cmp_o_f32_e32 vcc_lo, v2, v2
	s_mov_b32 s22, -1
	s_mov_b32 s0, 0
	s_delay_alu instid0(VALU_DEP_2) | instskip(NEXT) | instid1(VALU_DEP_1)
	v_add3_u32 v3, v2, v3, 0x7fff
	v_lshrrev_b32_e32 v3, 16, v3
	s_delay_alu instid0(VALU_DEP_1)
	v_cndmask_b32_e32 v3, 0x7fc0, v3, vcc_lo
	global_store_b16 v[0:1], v3, off
.LBB14_778:
	s_mov_b32 s23, 0
.LBB14_779:
	s_delay_alu instid0(SALU_CYCLE_1)
	s_and_b32 vcc_lo, exec_lo, s23
	s_cbranch_vccz .LBB14_782
; %bb.780:
	s_cmp_eq_u32 s21, 11
	s_mov_b32 s0, -1
	s_cbranch_scc0 .LBB14_782
; %bb.781:
	v_cmp_neq_f32_e32 vcc_lo, 0, v2
	s_mov_b32 s0, 0
	s_mov_b32 s22, -1
	s_wait_xcnt 0x0
	v_cndmask_b32_e64 v3, 0, 1, vcc_lo
	global_store_b8 v[0:1], v3, off
.LBB14_782:
.LBB14_783:
	s_and_not1_b32 vcc_lo, exec_lo, s22
	s_cbranch_vccnz .LBB14_708
.LBB14_784:
	v_add_nc_u32_e32 v4, 0x80, v4
	s_mov_b32 s21, -1
.LBB14_785:
	s_and_not1_b32 s1, s17, exec_lo
	s_and_b32 s0, s0, exec_lo
	s_and_not1_b32 s22, s16, exec_lo
	s_and_b32 s20, s20, exec_lo
	s_or_b32 s1, s1, s0
	s_or_b32 s0, s22, s20
	s_or_not1_b32 s20, s21, exec_lo
.LBB14_786:
	s_wait_xcnt 0x0
	s_or_b32 exec_lo, exec_lo, s19
	s_mov_b32 s21, 0
	s_mov_b32 s22, 0
	;; [unrolled: 1-line block ×3, first 2 shown]
                                        ; implicit-def: $vgpr0_vgpr1
                                        ; implicit-def: $vgpr3
	s_and_saveexec_b32 s19, s20
	s_cbranch_execz .LBB14_871
; %bb.787:
	v_cmp_gt_i32_e32 vcc_lo, s13, v4
	s_mov_b32 s20, 0
	s_mov_b32 s21, s0
	;; [unrolled: 1-line block ×3, first 2 shown]
                                        ; implicit-def: $vgpr0_vgpr1
                                        ; implicit-def: $vgpr3
	s_and_saveexec_b32 s13, vcc_lo
	s_cbranch_execz .LBB14_870
; %bb.788:
	v_mul_lo_u32 v0, v4, s3
	s_and_b32 s20, 0xffff, s10
	s_delay_alu instid0(SALU_CYCLE_1) | instskip(NEXT) | instid1(VALU_DEP_1)
	s_cmp_lt_i32 s20, 11
	v_ashrrev_i32_e32 v1, 31, v0
	s_delay_alu instid0(VALU_DEP_1)
	v_add_nc_u64_e32 v[0:1], s[6:7], v[0:1]
	s_cbranch_scc1 .LBB14_795
; %bb.789:
	s_cmp_gt_i32 s20, 25
	s_cbranch_scc0 .LBB14_796
; %bb.790:
	s_cmp_gt_i32 s20, 28
	s_cbranch_scc0 .LBB14_797
	;; [unrolled: 3-line block ×4, first 2 shown]
; %bb.793:
	s_cmp_eq_u32 s20, 46
	s_cbranch_scc0 .LBB14_804
; %bb.794:
	s_wait_loadcnt 0x0
	global_load_b32 v2, v[0:1], off
	s_mov_b32 s21, 0
	s_mov_b32 s23, -1
	s_wait_loadcnt 0x0
	v_lshlrev_b32_e32 v3, 16, v2
	s_branch .LBB14_806
.LBB14_795:
	s_mov_b32 s20, -1
	s_mov_b32 s21, s0
                                        ; implicit-def: $vgpr3
	s_branch .LBB14_869
.LBB14_796:
	s_mov_b32 s24, -1
	s_mov_b32 s21, s0
                                        ; implicit-def: $vgpr3
	s_branch .LBB14_835
.LBB14_797:
	s_mov_b32 s24, -1
	s_mov_b32 s21, s0
                                        ; implicit-def: $vgpr3
	s_branch .LBB14_816
.LBB14_798:
	s_mov_b32 s24, -1
	s_mov_b32 s21, s0
                                        ; implicit-def: $vgpr3
	s_branch .LBB14_811
.LBB14_799:
	s_and_not1_saveexec_b32 s24, s24
	s_cbranch_execz .LBB14_735
.LBB14_800:
	v_add_f32_e64 v3, 0x46000000, |v2|
	s_and_not1_b32 s23, s23, exec_lo
	s_delay_alu instid0(VALU_DEP_1) | instskip(NEXT) | instid1(VALU_DEP_1)
	v_and_b32_e32 v3, 0xff, v3
	v_cmp_ne_u32_e32 vcc_lo, 0, v3
	s_and_b32 s25, vcc_lo, exec_lo
	s_delay_alu instid0(SALU_CYCLE_1)
	s_or_b32 s23, s23, s25
	s_or_b32 exec_lo, exec_lo, s24
	v_mov_b32_e32 v5, 0
	s_and_saveexec_b32 s24, s23
	s_cbranch_execnz .LBB14_736
	s_branch .LBB14_737
.LBB14_801:
	s_mov_b32 s24, -1
	s_mov_b32 s21, s0
	s_branch .LBB14_805
.LBB14_802:
	s_and_not1_saveexec_b32 s24, s24
	s_cbranch_execz .LBB14_748
.LBB14_803:
	v_add_f32_e64 v3, 0x42800000, |v2|
	s_and_not1_b32 s23, s23, exec_lo
	s_delay_alu instid0(VALU_DEP_1) | instskip(NEXT) | instid1(VALU_DEP_1)
	v_and_b32_e32 v3, 0xff, v3
	v_cmp_ne_u32_e32 vcc_lo, 0, v3
	s_and_b32 s25, vcc_lo, exec_lo
	s_delay_alu instid0(SALU_CYCLE_1)
	s_or_b32 s23, s23, s25
	s_or_b32 exec_lo, exec_lo, s24
	v_mov_b32_e32 v5, 0
	s_and_saveexec_b32 s24, s23
	s_cbranch_execnz .LBB14_749
	s_branch .LBB14_750
.LBB14_804:
	s_mov_b32 s21, -1
.LBB14_805:
                                        ; implicit-def: $vgpr3
.LBB14_806:
	s_and_b32 vcc_lo, exec_lo, s24
	s_cbranch_vccz .LBB14_810
; %bb.807:
	s_cmp_eq_u32 s20, 44
	s_cbranch_scc0 .LBB14_809
; %bb.808:
	s_wait_loadcnt 0x0
	global_load_u8 v2, v[0:1], off
	s_mov_b32 s21, 0
	s_mov_b32 s23, -1
	s_wait_loadcnt 0x0
	v_lshlrev_b32_e32 v3, 23, v2
	v_cmp_ne_u32_e32 vcc_lo, 0xff, v2
	s_delay_alu instid0(VALU_DEP_2) | instskip(SKIP_1) | instid1(VALU_DEP_2)
	v_cndmask_b32_e32 v3, 0x7f800001, v3, vcc_lo
	v_cmp_ne_u32_e32 vcc_lo, 0, v2
	v_cndmask_b32_e32 v3, 0x400000, v3, vcc_lo
	s_branch .LBB14_810
.LBB14_809:
	s_mov_b32 s21, -1
                                        ; implicit-def: $vgpr3
.LBB14_810:
	s_mov_b32 s24, 0
.LBB14_811:
	s_delay_alu instid0(SALU_CYCLE_1)
	s_and_b32 vcc_lo, exec_lo, s24
	s_cbranch_vccz .LBB14_815
; %bb.812:
	s_cmp_eq_u32 s20, 29
	s_cbranch_scc0 .LBB14_814
; %bb.813:
	s_wait_loadcnt 0x0
	global_load_b64 v[2:3], v[0:1], off
	s_mov_b32 s21, 0
	s_mov_b32 s23, -1
	s_mov_b32 s24, 0
	s_wait_loadcnt 0x0
	v_clz_i32_u32_e32 v5, v3
	s_delay_alu instid0(VALU_DEP_1) | instskip(NEXT) | instid1(VALU_DEP_1)
	v_min_u32_e32 v5, 32, v5
	v_lshlrev_b64_e32 v[2:3], v5, v[2:3]
	s_delay_alu instid0(VALU_DEP_1) | instskip(NEXT) | instid1(VALU_DEP_1)
	v_min_u32_e32 v2, 1, v2
	v_dual_sub_nc_u32 v3, 32, v5 :: v_dual_bitop2_b32 v2, v3, v2 bitop3:0x54
	s_delay_alu instid0(VALU_DEP_1) | instskip(NEXT) | instid1(VALU_DEP_1)
	v_cvt_f32_u32_e32 v2, v2
	v_ldexp_f32 v3, v2, v3
	s_branch .LBB14_816
.LBB14_814:
	s_mov_b32 s21, -1
                                        ; implicit-def: $vgpr3
.LBB14_815:
	s_mov_b32 s24, 0
.LBB14_816:
	s_delay_alu instid0(SALU_CYCLE_1)
	s_and_b32 vcc_lo, exec_lo, s24
	s_cbranch_vccz .LBB14_834
; %bb.817:
	s_cmp_lt_i32 s20, 27
	s_cbranch_scc1 .LBB14_820
; %bb.818:
	s_cmp_gt_i32 s20, 27
	s_cbranch_scc0 .LBB14_821
; %bb.819:
	s_wait_loadcnt 0x0
	global_load_b32 v2, v[0:1], off
	s_mov_b32 s23, 0
	s_wait_loadcnt 0x0
	v_cvt_f32_u32_e32 v3, v2
	s_branch .LBB14_822
.LBB14_820:
	s_mov_b32 s23, -1
                                        ; implicit-def: $vgpr3
	s_branch .LBB14_825
.LBB14_821:
	s_mov_b32 s23, -1
                                        ; implicit-def: $vgpr3
.LBB14_822:
	s_delay_alu instid0(SALU_CYCLE_1)
	s_and_not1_b32 vcc_lo, exec_lo, s23
	s_cbranch_vccnz .LBB14_824
; %bb.823:
	s_wait_loadcnt 0x0
	global_load_u16 v2, v[0:1], off
	s_wait_loadcnt 0x0
	v_cvt_f32_u32_e32 v3, v2
.LBB14_824:
	s_mov_b32 s23, 0
.LBB14_825:
	s_delay_alu instid0(SALU_CYCLE_1)
	s_and_not1_b32 vcc_lo, exec_lo, s23
	s_cbranch_vccnz .LBB14_833
; %bb.826:
	s_wait_loadcnt 0x0
	global_load_u8 v2, v[0:1], off
	s_mov_b32 s23, 0
	s_mov_b32 s24, exec_lo
	s_wait_loadcnt 0x0
	v_cmpx_lt_i16_e32 0x7f, v2
	s_xor_b32 s24, exec_lo, s24
	s_cbranch_execz .LBB14_847
; %bb.827:
	s_mov_b32 s23, -1
	s_mov_b32 s25, exec_lo
	v_cmpx_eq_u16_e32 0x80, v2
; %bb.828:
	s_xor_b32 s23, exec_lo, -1
; %bb.829:
	s_or_b32 exec_lo, exec_lo, s25
	s_delay_alu instid0(SALU_CYCLE_1)
	s_and_b32 s23, s23, exec_lo
	s_or_saveexec_b32 s24, s24
	v_mov_b32_e32 v3, 0x7f800001
	s_xor_b32 exec_lo, exec_lo, s24
	s_cbranch_execnz .LBB14_848
.LBB14_830:
	s_or_b32 exec_lo, exec_lo, s24
	s_and_saveexec_b32 s24, s23
	s_cbranch_execz .LBB14_832
.LBB14_831:
	v_and_b32_e32 v3, 0xffff, v2
	s_delay_alu instid0(VALU_DEP_1) | instskip(SKIP_1) | instid1(VALU_DEP_2)
	v_and_b32_e32 v5, 7, v3
	v_bfe_u32 v8, v3, 3, 4
	v_clz_i32_u32_e32 v6, v5
	s_delay_alu instid0(VALU_DEP_2) | instskip(NEXT) | instid1(VALU_DEP_2)
	v_cmp_eq_u32_e32 vcc_lo, 0, v8
	v_min_u32_e32 v6, 32, v6
	s_delay_alu instid0(VALU_DEP_1) | instskip(NEXT) | instid1(VALU_DEP_1)
	v_subrev_nc_u32_e32 v7, 28, v6
	v_dual_lshlrev_b32 v3, v7, v3 :: v_dual_sub_nc_u32 v6, 29, v6
	s_delay_alu instid0(VALU_DEP_1) | instskip(NEXT) | instid1(VALU_DEP_1)
	v_dual_lshlrev_b32 v2, 24, v2 :: v_dual_bitop2_b32 v3, 7, v3 bitop3:0x40
	v_dual_cndmask_b32 v3, v5, v3 :: v_dual_cndmask_b32 v6, v8, v6
	s_delay_alu instid0(VALU_DEP_2) | instskip(NEXT) | instid1(VALU_DEP_2)
	v_and_b32_e32 v2, 0x80000000, v2
	v_lshlrev_b32_e32 v3, 20, v3
	s_delay_alu instid0(VALU_DEP_3) | instskip(NEXT) | instid1(VALU_DEP_1)
	v_lshl_add_u32 v5, v6, 23, 0x3b800000
	v_or3_b32 v3, v2, v5, v3
.LBB14_832:
	s_or_b32 exec_lo, exec_lo, s24
.LBB14_833:
	s_mov_b32 s23, -1
.LBB14_834:
	s_mov_b32 s24, 0
.LBB14_835:
	s_delay_alu instid0(SALU_CYCLE_1)
	s_and_b32 vcc_lo, exec_lo, s24
	s_cbranch_vccz .LBB14_868
; %bb.836:
	s_cmp_gt_i32 s20, 22
	s_cbranch_scc0 .LBB14_846
; %bb.837:
	s_cmp_lt_i32 s20, 24
	s_cbranch_scc1 .LBB14_849
; %bb.838:
	s_cmp_gt_i32 s20, 24
	s_cbranch_scc0 .LBB14_850
; %bb.839:
	s_wait_loadcnt 0x0
	global_load_u8 v2, v[0:1], off
	s_mov_b32 s23, exec_lo
	s_wait_loadcnt 0x0
	v_cmpx_lt_i16_e32 0x7f, v2
	s_xor_b32 s23, exec_lo, s23
	s_cbranch_execz .LBB14_862
; %bb.840:
	s_mov_b32 s22, -1
	s_mov_b32 s24, exec_lo
	v_cmpx_eq_u16_e32 0x80, v2
; %bb.841:
	s_xor_b32 s22, exec_lo, -1
; %bb.842:
	s_or_b32 exec_lo, exec_lo, s24
	s_delay_alu instid0(SALU_CYCLE_1)
	s_and_b32 s22, s22, exec_lo
	s_or_saveexec_b32 s23, s23
	v_mov_b32_e32 v3, 0x7f800001
	s_xor_b32 exec_lo, exec_lo, s23
	s_cbranch_execnz .LBB14_863
.LBB14_843:
	s_or_b32 exec_lo, exec_lo, s23
	s_and_saveexec_b32 s23, s22
	s_cbranch_execz .LBB14_845
.LBB14_844:
	v_and_b32_e32 v3, 0xffff, v2
	s_delay_alu instid0(VALU_DEP_1) | instskip(SKIP_1) | instid1(VALU_DEP_2)
	v_and_b32_e32 v5, 3, v3
	v_bfe_u32 v8, v3, 2, 5
	v_clz_i32_u32_e32 v6, v5
	s_delay_alu instid0(VALU_DEP_2) | instskip(NEXT) | instid1(VALU_DEP_2)
	v_cmp_eq_u32_e32 vcc_lo, 0, v8
	v_min_u32_e32 v6, 32, v6
	s_delay_alu instid0(VALU_DEP_1) | instskip(NEXT) | instid1(VALU_DEP_1)
	v_subrev_nc_u32_e32 v7, 29, v6
	v_dual_lshlrev_b32 v3, v7, v3 :: v_dual_sub_nc_u32 v6, 30, v6
	s_delay_alu instid0(VALU_DEP_1) | instskip(NEXT) | instid1(VALU_DEP_1)
	v_dual_lshlrev_b32 v2, 24, v2 :: v_dual_bitop2_b32 v3, 3, v3 bitop3:0x40
	v_dual_cndmask_b32 v3, v5, v3 :: v_dual_cndmask_b32 v6, v8, v6
	s_delay_alu instid0(VALU_DEP_2) | instskip(NEXT) | instid1(VALU_DEP_2)
	v_and_b32_e32 v2, 0x80000000, v2
	v_lshlrev_b32_e32 v3, 21, v3
	s_delay_alu instid0(VALU_DEP_3) | instskip(NEXT) | instid1(VALU_DEP_1)
	v_lshl_add_u32 v5, v6, 23, 0x37800000
	v_or3_b32 v3, v2, v5, v3
.LBB14_845:
	s_or_b32 exec_lo, exec_lo, s23
	s_mov_b32 s22, 0
	s_branch .LBB14_851
.LBB14_846:
	s_mov_b32 s22, -1
                                        ; implicit-def: $vgpr3
	s_branch .LBB14_857
.LBB14_847:
	s_or_saveexec_b32 s24, s24
	v_mov_b32_e32 v3, 0x7f800001
	s_xor_b32 exec_lo, exec_lo, s24
	s_cbranch_execz .LBB14_830
.LBB14_848:
	v_cmp_ne_u16_e32 vcc_lo, 0, v2
	v_mov_b32_e32 v3, 0
	s_and_not1_b32 s23, s23, exec_lo
	s_and_b32 s25, vcc_lo, exec_lo
	s_delay_alu instid0(SALU_CYCLE_1)
	s_or_b32 s23, s23, s25
	s_or_b32 exec_lo, exec_lo, s24
	s_and_saveexec_b32 s24, s23
	s_cbranch_execnz .LBB14_831
	s_branch .LBB14_832
.LBB14_849:
	s_mov_b32 s22, -1
                                        ; implicit-def: $vgpr3
	s_branch .LBB14_854
.LBB14_850:
	s_mov_b32 s22, -1
                                        ; implicit-def: $vgpr3
.LBB14_851:
	s_delay_alu instid0(SALU_CYCLE_1)
	s_and_b32 vcc_lo, exec_lo, s22
	s_cbranch_vccz .LBB14_853
; %bb.852:
	s_wait_loadcnt 0x0
	global_load_u8 v2, v[0:1], off
	s_wait_loadcnt 0x0
	v_lshlrev_b32_e32 v2, 24, v2
	s_delay_alu instid0(VALU_DEP_1) | instskip(NEXT) | instid1(VALU_DEP_1)
	v_and_b32_e32 v3, 0x7f000000, v2
	v_clz_i32_u32_e32 v5, v3
	v_add_nc_u32_e32 v7, 0x1000000, v3
	v_cmp_ne_u32_e32 vcc_lo, 0, v3
	s_delay_alu instid0(VALU_DEP_3) | instskip(NEXT) | instid1(VALU_DEP_1)
	v_min_u32_e32 v5, 32, v5
	v_sub_nc_u32_e64 v5, v5, 4 clamp
	s_delay_alu instid0(VALU_DEP_1) | instskip(NEXT) | instid1(VALU_DEP_1)
	v_dual_lshlrev_b32 v6, v5, v3 :: v_dual_lshlrev_b32 v5, 23, v5
	v_lshrrev_b32_e32 v6, 4, v6
	s_delay_alu instid0(VALU_DEP_1) | instskip(NEXT) | instid1(VALU_DEP_1)
	v_dual_sub_nc_u32 v5, v6, v5 :: v_dual_ashrrev_i32 v6, 8, v7
	v_add_nc_u32_e32 v5, 0x3c000000, v5
	s_delay_alu instid0(VALU_DEP_1) | instskip(NEXT) | instid1(VALU_DEP_1)
	v_and_or_b32 v5, 0x7f800000, v6, v5
	v_cndmask_b32_e32 v3, 0, v5, vcc_lo
	s_delay_alu instid0(VALU_DEP_1)
	v_and_or_b32 v3, 0x80000000, v2, v3
.LBB14_853:
	s_mov_b32 s22, 0
.LBB14_854:
	s_delay_alu instid0(SALU_CYCLE_1)
	s_and_not1_b32 vcc_lo, exec_lo, s22
	s_cbranch_vccnz .LBB14_856
; %bb.855:
	s_wait_loadcnt 0x0
	global_load_u8 v2, v[0:1], off
	s_wait_loadcnt 0x0
	v_lshlrev_b32_e32 v3, 25, v2
	v_lshlrev_b16 v2, 8, v2
	s_delay_alu instid0(VALU_DEP_2) | instskip(NEXT) | instid1(VALU_DEP_2)
	v_cmp_gt_u32_e32 vcc_lo, 0x8000000, v3
	v_and_or_b32 v6, 0x7f00, v2, 0.5
	v_lshrrev_b32_e32 v5, 4, v3
	v_bfe_i32 v2, v2, 0, 16
	s_delay_alu instid0(VALU_DEP_3) | instskip(NEXT) | instid1(VALU_DEP_3)
	v_add_f32_e32 v6, -0.5, v6
	v_or_b32_e32 v5, 0x70000000, v5
	s_delay_alu instid0(VALU_DEP_1) | instskip(NEXT) | instid1(VALU_DEP_1)
	v_mul_f32_e32 v5, 0x7800000, v5
	v_cndmask_b32_e32 v3, v5, v6, vcc_lo
	s_delay_alu instid0(VALU_DEP_1)
	v_and_or_b32 v3, 0x80000000, v2, v3
.LBB14_856:
	s_mov_b32 s22, 0
	s_mov_b32 s23, -1
.LBB14_857:
	s_and_not1_b32 vcc_lo, exec_lo, s22
	s_mov_b32 s22, 0
	s_cbranch_vccnz .LBB14_868
; %bb.858:
	s_cmp_gt_i32 s20, 14
	s_cbranch_scc0 .LBB14_861
; %bb.859:
	s_cmp_eq_u32 s20, 15
	s_cbranch_scc0 .LBB14_864
; %bb.860:
	s_wait_loadcnt 0x0
	global_load_u16 v2, v[0:1], off
	s_mov_b32 s21, 0
	s_mov_b32 s23, -1
	s_wait_loadcnt 0x0
	v_lshlrev_b32_e32 v3, 16, v2
	s_branch .LBB14_866
.LBB14_861:
	s_mov_b32 s22, -1
	s_branch .LBB14_865
.LBB14_862:
	s_or_saveexec_b32 s23, s23
	v_mov_b32_e32 v3, 0x7f800001
	s_xor_b32 exec_lo, exec_lo, s23
	s_cbranch_execz .LBB14_843
.LBB14_863:
	v_cmp_ne_u16_e32 vcc_lo, 0, v2
	v_mov_b32_e32 v3, 0
	s_and_not1_b32 s22, s22, exec_lo
	s_and_b32 s24, vcc_lo, exec_lo
	s_delay_alu instid0(SALU_CYCLE_1)
	s_or_b32 s22, s22, s24
	s_or_b32 exec_lo, exec_lo, s23
	s_and_saveexec_b32 s23, s22
	s_cbranch_execnz .LBB14_844
	s_branch .LBB14_845
.LBB14_864:
	s_mov_b32 s21, -1
.LBB14_865:
                                        ; implicit-def: $vgpr3
.LBB14_866:
	s_and_b32 vcc_lo, exec_lo, s22
	s_mov_b32 s22, 0
	s_cbranch_vccz .LBB14_868
; %bb.867:
	s_cmp_lg_u32 s20, 11
	s_mov_b32 s22, -1
	s_cselect_b32 s20, -1, 0
	s_and_not1_b32 s21, s21, exec_lo
	s_and_b32 s20, s20, exec_lo
	s_delay_alu instid0(SALU_CYCLE_1)
	s_or_b32 s21, s21, s20
.LBB14_868:
	s_mov_b32 s20, 0
.LBB14_869:
	s_and_not1_b32 s25, s0, exec_lo
	s_and_b32 s21, s21, exec_lo
	s_and_b32 s23, s23, exec_lo
	;; [unrolled: 1-line block ×4, first 2 shown]
	s_or_b32 s21, s25, s21
.LBB14_870:
	s_wait_xcnt 0x0
	s_or_b32 exec_lo, exec_lo, s13
	s_delay_alu instid0(SALU_CYCLE_1)
	s_and_not1_b32 s0, s0, exec_lo
	s_and_b32 s13, s21, exec_lo
	s_and_b32 s23, s23, exec_lo
	;; [unrolled: 1-line block ×4, first 2 shown]
	s_or_b32 s0, s0, s13
.LBB14_871:
	s_or_b32 exec_lo, exec_lo, s19
	s_delay_alu instid0(SALU_CYCLE_1)
	s_and_not1_b32 s13, s17, exec_lo
	s_and_b32 s1, s1, exec_lo
	s_and_b32 s0, s0, exec_lo
	s_or_b32 s17, s13, s1
	s_and_not1_b32 s13, s16, exec_lo
	s_and_b32 s20, s23, exec_lo
	s_and_b32 s19, s22, exec_lo
	;; [unrolled: 1-line block ×3, first 2 shown]
	s_or_b32 s16, s13, s0
.LBB14_872:
	s_or_b32 exec_lo, exec_lo, s18
	s_delay_alu instid0(SALU_CYCLE_1)
	s_and_not1_b32 s0, s12, exec_lo
	s_and_b32 s12, s17, exec_lo
	s_and_not1_b32 s13, s14, exec_lo
	s_and_b32 s14, s16, exec_lo
	s_or_b32 s12, s0, s12
	s_and_b32 s0, s20, exec_lo
	s_and_b32 s17, s19, exec_lo
	;; [unrolled: 1-line block ×3, first 2 shown]
	s_or_b32 s14, s13, s14
	s_or_b32 exec_lo, exec_lo, s15
	s_mov_b32 s13, 0
	s_and_saveexec_b32 s1, s14
	s_cbranch_execz .LBB14_266
.LBB14_873:
	s_mov_b32 s13, exec_lo
	s_and_not1_b32 s16, s16, exec_lo
	s_trap 2
	s_or_b32 exec_lo, exec_lo, s1
	s_and_saveexec_b32 s1, s16
	s_delay_alu instid0(SALU_CYCLE_1)
	s_xor_b32 s1, exec_lo, s1
	s_cbranch_execnz .LBB14_267
.LBB14_874:
	s_or_b32 exec_lo, exec_lo, s1
	s_and_saveexec_b32 s1, s17
	s_cbranch_execz .LBB14_920
.LBB14_875:
	s_sext_i32_i16 s14, s10
	s_delay_alu instid0(SALU_CYCLE_1)
	s_cmp_lt_i32 s14, 5
	s_cbranch_scc1 .LBB14_880
; %bb.876:
	s_cmp_lt_i32 s14, 8
	s_cbranch_scc1 .LBB14_881
; %bb.877:
	;; [unrolled: 3-line block ×3, first 2 shown]
	s_cmp_gt_i32 s14, 9
	s_cbranch_scc0 .LBB14_883
; %bb.879:
	s_wait_loadcnt 0x0
	global_load_b64 v[2:3], v[0:1], off
	s_mov_b32 s14, 0
	s_wait_loadcnt 0x0
	v_cvt_f32_f64_e32 v3, v[2:3]
	s_branch .LBB14_884
.LBB14_880:
                                        ; implicit-def: $vgpr3
	s_branch .LBB14_901
.LBB14_881:
                                        ; implicit-def: $vgpr3
	s_branch .LBB14_890
.LBB14_882:
	s_mov_b32 s14, -1
                                        ; implicit-def: $vgpr3
	s_branch .LBB14_887
.LBB14_883:
	s_mov_b32 s14, -1
                                        ; implicit-def: $vgpr3
.LBB14_884:
	s_delay_alu instid0(SALU_CYCLE_1)
	s_and_not1_b32 vcc_lo, exec_lo, s14
	s_cbranch_vccnz .LBB14_886
; %bb.885:
	global_load_b32 v3, v[0:1], off
.LBB14_886:
	s_mov_b32 s14, 0
.LBB14_887:
	s_delay_alu instid0(SALU_CYCLE_1)
	s_and_not1_b32 vcc_lo, exec_lo, s14
	s_cbranch_vccnz .LBB14_889
; %bb.888:
	s_wait_loadcnt 0x0
	global_load_b32 v2, v[0:1], off
	s_wait_loadcnt 0x0
	v_cvt_f32_f16_e32 v3, v2
.LBB14_889:
	s_cbranch_execnz .LBB14_900
.LBB14_890:
	s_sext_i32_i16 s14, s10
	s_delay_alu instid0(SALU_CYCLE_1)
	s_cmp_lt_i32 s14, 6
	s_cbranch_scc1 .LBB14_893
; %bb.891:
	s_cmp_gt_i32 s14, 6
	s_cbranch_scc0 .LBB14_894
; %bb.892:
	s_wait_loadcnt 0x0
	global_load_b64 v[2:3], v[0:1], off
	s_mov_b32 s14, 0
	s_wait_loadcnt 0x0
	v_cvt_f32_f64_e32 v3, v[2:3]
	s_branch .LBB14_895
.LBB14_893:
	s_mov_b32 s14, -1
                                        ; implicit-def: $vgpr3
	s_branch .LBB14_898
.LBB14_894:
	s_mov_b32 s14, -1
                                        ; implicit-def: $vgpr3
.LBB14_895:
	s_delay_alu instid0(SALU_CYCLE_1)
	s_and_not1_b32 vcc_lo, exec_lo, s14
	s_cbranch_vccnz .LBB14_897
; %bb.896:
	s_wait_loadcnt 0x0
	global_load_b32 v3, v[0:1], off
.LBB14_897:
	s_mov_b32 s14, 0
.LBB14_898:
	s_delay_alu instid0(SALU_CYCLE_1)
	s_and_not1_b32 vcc_lo, exec_lo, s14
	s_cbranch_vccnz .LBB14_900
; %bb.899:
	s_wait_loadcnt 0x0
	global_load_u16 v2, v[0:1], off
	s_wait_loadcnt 0x0
	v_cvt_f32_f16_e32 v3, v2
.LBB14_900:
	s_cbranch_execnz .LBB14_919
.LBB14_901:
	s_sext_i32_i16 s14, s10
	s_delay_alu instid0(SALU_CYCLE_1)
	s_cmp_lt_i32 s14, 2
	s_cbranch_scc1 .LBB14_905
; %bb.902:
	s_cmp_lt_i32 s14, 3
	s_cbranch_scc1 .LBB14_906
; %bb.903:
	s_cmp_gt_i32 s14, 3
	s_cbranch_scc0 .LBB14_907
; %bb.904:
	s_wait_loadcnt 0x0
	global_load_b64 v[2:3], v[0:1], off
	s_mov_b32 s14, 0
	s_wait_loadcnt 0x0
	v_xor_b32_e32 v5, v2, v3
	v_cls_i32_e32 v6, v3
	s_delay_alu instid0(VALU_DEP_2) | instskip(NEXT) | instid1(VALU_DEP_1)
	v_ashrrev_i32_e32 v5, 31, v5
	v_add_nc_u32_e32 v5, 32, v5
	s_delay_alu instid0(VALU_DEP_1) | instskip(NEXT) | instid1(VALU_DEP_1)
	v_add_min_u32_e64 v5, v6, -1, v5
	v_lshlrev_b64_e32 v[2:3], v5, v[2:3]
	s_delay_alu instid0(VALU_DEP_1) | instskip(NEXT) | instid1(VALU_DEP_1)
	v_min_u32_e32 v2, 1, v2
	v_dual_sub_nc_u32 v3, 32, v5 :: v_dual_bitop2_b32 v2, v3, v2 bitop3:0x54
	s_delay_alu instid0(VALU_DEP_1) | instskip(NEXT) | instid1(VALU_DEP_1)
	v_cvt_f32_i32_e32 v2, v2
	v_ldexp_f32 v3, v2, v3
	s_branch .LBB14_908
.LBB14_905:
                                        ; implicit-def: $vgpr3
	s_branch .LBB14_914
.LBB14_906:
	s_mov_b32 s14, -1
                                        ; implicit-def: $vgpr3
	s_branch .LBB14_911
.LBB14_907:
	s_mov_b32 s14, -1
                                        ; implicit-def: $vgpr3
.LBB14_908:
	s_delay_alu instid0(SALU_CYCLE_1)
	s_and_not1_b32 vcc_lo, exec_lo, s14
	s_cbranch_vccnz .LBB14_910
; %bb.909:
	s_wait_loadcnt 0x0
	global_load_b32 v2, v[0:1], off
	s_wait_loadcnt 0x0
	v_cvt_f32_i32_e32 v3, v2
.LBB14_910:
	s_mov_b32 s14, 0
.LBB14_911:
	s_delay_alu instid0(SALU_CYCLE_1)
	s_and_not1_b32 vcc_lo, exec_lo, s14
	s_cbranch_vccnz .LBB14_913
; %bb.912:
	s_wait_loadcnt 0x0
	global_load_i16 v2, v[0:1], off
	s_wait_loadcnt 0x0
	v_cvt_f32_i32_e32 v3, v2
.LBB14_913:
	s_cbranch_execnz .LBB14_919
.LBB14_914:
	s_sext_i32_i16 s14, s10
	s_delay_alu instid0(SALU_CYCLE_1)
	s_cmp_gt_i32 s14, 0
	s_mov_b32 s14, 0
	s_cbranch_scc0 .LBB14_916
; %bb.915:
	s_wait_loadcnt 0x0
	global_load_i8 v2, v[0:1], off
	s_wait_loadcnt 0x0
	v_cvt_f32_i32_e32 v3, v2
	s_branch .LBB14_917
.LBB14_916:
	s_mov_b32 s14, -1
                                        ; implicit-def: $vgpr3
.LBB14_917:
	s_delay_alu instid0(SALU_CYCLE_1)
	s_and_not1_b32 vcc_lo, exec_lo, s14
	s_cbranch_vccnz .LBB14_919
; %bb.918:
	global_load_u8 v0, v[0:1], off
	s_wait_loadcnt 0x0
	v_cvt_f32_ubyte0_e32 v3, v0
.LBB14_919:
	s_or_b32 s0, s0, exec_lo
.LBB14_920:
	s_wait_xcnt 0x0
	s_or_b32 exec_lo, exec_lo, s1
	s_mov_b32 s16, 0
	s_mov_b32 s15, 0
                                        ; implicit-def: $sgpr1
                                        ; implicit-def: $vgpr0_vgpr1
                                        ; implicit-def: $vgpr2
	s_and_saveexec_b32 s14, s0
	s_cbranch_execz .LBB14_999
; %bb.921:
	s_wait_loadcnt 0x0
	s_delay_alu instid0(VALU_DEP_1)
	v_and_b32_e32 v0, 0x7fffffff, v3
                                        ; implicit-def: $vgpr2
                                        ; implicit-def: $vgpr1
	s_mov_b32 s1, exec_lo
	v_cmpx_ngt_f32_e64 0x48000000, |v3|
	s_xor_b32 s15, exec_lo, s1
	s_cbranch_execz .LBB14_923
; %bb.922:
	s_mov_b32 s0, 0x7fffff
	v_mov_b32_e32 v7, 0
	v_and_or_b32 v6, v0, s0, 0x800000
	s_mov_b64 s[0:1], 0xfe5163ab
	v_lshrrev_b32_e32 v1, 23, v0
	s_delay_alu instid0(VALU_DEP_2) | instskip(NEXT) | instid1(VALU_DEP_1)
	v_mul_u64_e32 v[8:9], s[0:1], v[6:7]
	v_dual_mov_b32 v10, v9 :: v_dual_mov_b32 v11, v7
	v_dual_mov_b32 v13, v7 :: v_dual_mov_b32 v15, v7
	;; [unrolled: 1-line block ×3, first 2 shown]
	s_delay_alu instid0(VALU_DEP_3) | instskip(NEXT) | instid1(VALU_DEP_1)
	v_mad_nc_u64_u32 v[10:11], 0x3c439041, v6, v[10:11]
	v_mov_b32_e32 v12, v11
	s_delay_alu instid0(VALU_DEP_1) | instskip(NEXT) | instid1(VALU_DEP_1)
	v_mad_nc_u64_u32 v[12:13], 0xdb629599, v6, v[12:13]
	v_mov_b32_e32 v14, v13
	s_delay_alu instid0(VALU_DEP_1) | instskip(NEXT) | instid1(VALU_DEP_1)
	;; [unrolled: 3-line block ×3, first 2 shown]
	v_mad_nc_u64_u32 v[16:17], 0xfc2757d1, v6, v[16:17]
	v_dual_mov_b32 v19, v7 :: v_dual_mov_b32 v18, v17
	s_delay_alu instid0(VALU_DEP_1) | instskip(NEXT) | instid1(VALU_DEP_1)
	v_mad_nc_u64_u32 v[18:19], 0x4e441529, v6, v[18:19]
	v_dual_mov_b32 v20, v19 :: v_dual_add_nc_u32 v1, 0xffffff88, v1
	s_delay_alu instid0(VALU_DEP_1) | instskip(NEXT) | instid1(VALU_DEP_2)
	v_cmp_lt_u32_e32 vcc_lo, 63, v1
	v_mad_nc_u64_u32 v[6:7], 0xa2f9836e, v6, v[20:21]
	v_cndmask_b32_e64 v2, 0, 0xffffffc0, vcc_lo
	v_dual_cndmask_b32 v5, v18, v14, vcc_lo :: v_dual_cndmask_b32 v9, v16, v12, vcc_lo
	s_delay_alu instid0(VALU_DEP_2) | instskip(NEXT) | instid1(VALU_DEP_1)
	v_dual_cndmask_b32 v8, v12, v8 :: v_dual_add_nc_u32 v1, v2, v1
	v_cmp_lt_u32_e64 s0, 31, v1
	v_dual_cndmask_b32 v7, v7, v18 :: v_dual_cndmask_b32 v6, v6, v16
	s_delay_alu instid0(VALU_DEP_2) | instskip(NEXT) | instid1(VALU_DEP_1)
	v_cndmask_b32_e64 v2, 0, 0xffffffe0, s0
	v_add_nc_u32_e32 v1, v2, v1
	s_delay_alu instid0(VALU_DEP_1) | instskip(NEXT) | instid1(VALU_DEP_1)
	v_cmp_lt_u32_e64 s1, 31, v1
	v_cndmask_b32_e64 v2, 0, 0xffffffe0, s1
	s_delay_alu instid0(VALU_DEP_1) | instskip(SKIP_3) | instid1(VALU_DEP_3)
	v_add_nc_u32_e32 v1, v2, v1
	v_cndmask_b32_e32 v2, v14, v10, vcc_lo
	v_cndmask_b32_e64 v10, v6, v5, s0
	v_dual_cndmask_b32 v5, v5, v9, s0 :: v_dual_cndmask_b32 v6, v7, v6, s0
	v_dual_sub_nc_u32 v7, 32, v1 :: v_dual_cndmask_b32 v9, v9, v2, s0
	v_cmp_eq_u32_e32 vcc_lo, 0, v1
	v_cndmask_b32_e64 v2, v2, v8, s0
	s_delay_alu instid0(VALU_DEP_4) | instskip(SKIP_2) | instid1(VALU_DEP_4)
	v_cndmask_b32_e64 v6, v6, v10, s1
	v_cndmask_b32_e64 v10, v10, v5, s1
	;; [unrolled: 1-line block ×4, first 2 shown]
	s_delay_alu instid0(VALU_DEP_3) | instskip(NEXT) | instid1(VALU_DEP_3)
	v_alignbit_b32 v11, v6, v10, v7
	v_alignbit_b32 v12, v10, v5, v7
	s_delay_alu instid0(VALU_DEP_3) | instskip(NEXT) | instid1(VALU_DEP_3)
	v_alignbit_b32 v7, v5, v2, v7
	v_cndmask_b32_e32 v1, v11, v6, vcc_lo
	s_delay_alu instid0(VALU_DEP_2) | instskip(NEXT) | instid1(VALU_DEP_2)
	v_cndmask_b32_e32 v5, v7, v5, vcc_lo
	v_bfe_u32 v8, v1, 29, 1
	v_cndmask_b32_e32 v6, v12, v10, vcc_lo
	s_delay_alu instid0(VALU_DEP_3) | instskip(NEXT) | instid1(VALU_DEP_3)
	v_alignbit_b32 v2, v5, v2, 30
	v_sub_nc_u32_e32 v10, 0, v8
	s_delay_alu instid0(VALU_DEP_3) | instskip(SKIP_1) | instid1(VALU_DEP_3)
	v_alignbit_b32 v9, v1, v6, 30
	v_alignbit_b32 v6, v6, v5, 30
	v_xor_b32_e32 v2, v2, v10
	s_delay_alu instid0(VALU_DEP_3) | instskip(NEXT) | instid1(VALU_DEP_3)
	v_xor_b32_e32 v9, v9, v10
	v_dual_lshrrev_b32 v10, 29, v1 :: v_dual_bitop2_b32 v5, v6, v10 bitop3:0x14
	s_delay_alu instid0(VALU_DEP_2) | instskip(NEXT) | instid1(VALU_DEP_1)
	v_clz_i32_u32_e32 v7, v9
	v_min_u32_e32 v7, 32, v7
	s_delay_alu instid0(VALU_DEP_1) | instskip(NEXT) | instid1(VALU_DEP_1)
	v_dual_sub_nc_u32 v6, 31, v7 :: v_dual_lshlrev_b32 v11, 23, v7
	v_alignbit_b32 v9, v9, v5, v6
	v_alignbit_b32 v2, v5, v2, v6
	v_lshlrev_b32_e32 v5, 31, v10
	s_delay_alu instid0(VALU_DEP_2) | instskip(NEXT) | instid1(VALU_DEP_2)
	v_alignbit_b32 v6, v9, v2, 9
	v_or_b32_e32 v10, 0.5, v5
	v_lshrrev_b32_e32 v9, 9, v9
	v_or_b32_e32 v5, 0x33000000, v5
	s_delay_alu instid0(VALU_DEP_4) | instskip(NEXT) | instid1(VALU_DEP_4)
	v_clz_i32_u32_e32 v12, v6
	v_sub_nc_u32_e32 v10, v10, v11
	s_delay_alu instid0(VALU_DEP_2) | instskip(NEXT) | instid1(VALU_DEP_2)
	v_min_u32_e32 v11, 32, v12
	v_or_b32_e32 v9, v9, v10
	s_delay_alu instid0(VALU_DEP_2) | instskip(SKIP_1) | instid1(VALU_DEP_3)
	v_not_b32_e32 v10, v11
	v_add_lshl_u32 v7, v11, v7, 23
	v_mul_f32_e32 v12, 0x3fc90fda, v9
	s_delay_alu instid0(VALU_DEP_3) | instskip(NEXT) | instid1(VALU_DEP_3)
	v_alignbit_b32 v2, v6, v2, v10
	v_sub_nc_u32_e32 v5, v5, v7
	s_delay_alu instid0(VALU_DEP_3) | instskip(NEXT) | instid1(VALU_DEP_3)
	v_fma_f32 v6, 0x3fc90fda, v9, -v12
	v_lshrrev_b32_e32 v2, 9, v2
	s_delay_alu instid0(VALU_DEP_2) | instskip(NEXT) | instid1(VALU_DEP_2)
	v_fmamk_f32 v6, v9, 0x33a22168, v6
	v_or_b32_e32 v2, v5, v2
	s_delay_alu instid0(VALU_DEP_1) | instskip(NEXT) | instid1(VALU_DEP_1)
	v_fmac_f32_e32 v6, 0x3fc90fda, v2
	v_dual_add_f32 v1, v12, v6 :: v_dual_lshrrev_b32 v2, 30, v1
	s_delay_alu instid0(VALU_DEP_1)
	v_add_nc_u32_e32 v2, v8, v2
.LBB14_923:
	s_and_not1_saveexec_b32 s0, s15
; %bb.924:
	v_mul_f32_e64 v1, 0x3f22f983, |v3|
	s_delay_alu instid0(VALU_DEP_1) | instskip(NEXT) | instid1(VALU_DEP_1)
	v_rndne_f32_e32 v2, v1
	v_fma_f32 v1, 0xbfc90fda, v2, |v3|
	s_delay_alu instid0(VALU_DEP_1) | instskip(NEXT) | instid1(VALU_DEP_1)
	v_fmamk_f32 v1, v2, 0xb3a22168, v1
	v_fmamk_f32 v1, v2, 0xa7c234c4, v1
	v_cvt_i32_f32_e32 v2, v2
; %bb.925:
	s_or_b32 exec_lo, exec_lo, s0
	s_delay_alu instid0(VALU_DEP_1) | instskip(SKIP_3) | instid1(VALU_DEP_2)
	v_dual_mul_f32 v5, v1, v1 :: v_dual_bitop2_b32 v8, 1, v2 bitop3:0x40
	s_mov_b32 s0, 0xb94c1982
	v_mul_lo_u32 v4, v4, s2
	s_mov_b32 s1, 0x37d75334
	v_fmaak_f32 v6, s0, v5, 0x3c0881c4
	v_cmp_eq_u32_e32 vcc_lo, 0, v8
	s_mov_b32 s17, 0
	s_mov_b32 s16, -1
	s_mov_b32 s0, s12
	v_fmaak_f32 v6, v5, v6, 0xbe2aaa9d
	v_fmaak_f32 v7, s1, v5, 0xbab64f3b
	s_and_b32 s1, s8, 0xff
	v_lshlrev_b32_e32 v2, 30, v2
	s_cmp_lt_i32 s1, 11
	s_delay_alu instid0(VALU_DEP_2) | instskip(SKIP_1) | instid1(VALU_DEP_3)
	v_dual_mul_f32 v6, v5, v6 :: v_dual_fmaak_f32 v7, v5, v7, 0x3d2aabf7
	v_xor_b32_e32 v0, v0, v3
	v_and_b32_e32 v2, 0x80000000, v2
	s_delay_alu instid0(VALU_DEP_3) | instskip(NEXT) | instid1(VALU_DEP_4)
	v_fmac_f32_e32 v1, v1, v6
	v_fmaak_f32 v7, v5, v7, 0xbf000004
	s_delay_alu instid0(VALU_DEP_1) | instskip(NEXT) | instid1(VALU_DEP_1)
	v_fma_f32 v5, v5, v7, 1.0
	v_dual_cndmask_b32 v1, v5, v1, vcc_lo :: v_dual_ashrrev_i32 v5, 31, v4
	v_cmp_class_f32_e64 vcc_lo, v3, 0x1f8
	s_delay_alu instid0(VALU_DEP_2) | instskip(NEXT) | instid1(VALU_DEP_3)
	v_xor3_b32 v2, v0, v2, v1
	v_add_nc_u64_e32 v[0:1], s[4:5], v[4:5]
	s_delay_alu instid0(VALU_DEP_2)
	v_cndmask_b32_e32 v2, 0x7fc00000, v2, vcc_lo
	s_cbranch_scc1 .LBB14_1003
; %bb.926:
	s_and_b32 s15, 0xffff, s1
	s_mov_b32 s0, s12
	s_cmp_gt_i32 s15, 25
	s_cbranch_scc0 .LBB14_959
; %bb.927:
	s_cmp_gt_i32 s15, 28
	s_mov_b32 s0, s12
	s_cbranch_scc0 .LBB14_943
; %bb.928:
	s_cmp_gt_i32 s15, 43
	s_mov_b32 s0, s12
	;; [unrolled: 4-line block ×3, first 2 shown]
	s_cbranch_scc0 .LBB14_933
; %bb.930:
	s_cmp_eq_u32 s15, 46
	s_mov_b32 s0, -1
	s_cbranch_scc0 .LBB14_932
; %bb.931:
	v_bfe_u32 v3, v2, 16, 1
	v_cmp_o_f32_e32 vcc_lo, v2, v2
	s_mov_b32 s0, 0
	s_delay_alu instid0(VALU_DEP_2) | instskip(NEXT) | instid1(VALU_DEP_1)
	v_add3_u32 v3, v2, v3, 0x7fff
	v_lshrrev_b32_e32 v3, 16, v3
	s_delay_alu instid0(VALU_DEP_1)
	v_cndmask_b32_e32 v3, 0x7fc0, v3, vcc_lo
	global_store_b32 v[0:1], v3, off
.LBB14_932:
	s_mov_b32 s16, 0
.LBB14_933:
	s_delay_alu instid0(SALU_CYCLE_1)
	s_and_b32 vcc_lo, exec_lo, s16
	s_cbranch_vccz .LBB14_938
; %bb.934:
	s_cmp_eq_u32 s15, 44
	s_mov_b32 s0, -1
	s_cbranch_scc0 .LBB14_938
; %bb.935:
	v_bfe_u32 v4, v2, 23, 8
	s_wait_xcnt 0x0
	v_mov_b32_e32 v3, 0xff
	s_mov_b32 s16, exec_lo
	s_delay_alu instid0(VALU_DEP_2)
	v_cmpx_ne_u32_e32 0xff, v4
	s_cbranch_execz .LBB14_937
; %bb.936:
	v_and_b32_e32 v3, 0x400000, v2
	v_and_or_b32 v4, 0x3fffff, v2, v4
	s_delay_alu instid0(VALU_DEP_2) | instskip(NEXT) | instid1(VALU_DEP_2)
	v_cmp_ne_u32_e32 vcc_lo, 0, v3
	v_cmp_ne_u32_e64 s0, 0, v4
	v_lshrrev_b32_e32 v3, 23, v2
	s_and_b32 s0, vcc_lo, s0
	s_delay_alu instid0(SALU_CYCLE_1) | instskip(NEXT) | instid1(VALU_DEP_1)
	v_cndmask_b32_e64 v4, 0, 1, s0
	v_add_nc_u32_e32 v3, v3, v4
.LBB14_937:
	s_or_b32 exec_lo, exec_lo, s16
	s_mov_b32 s0, 0
	global_store_b8 v[0:1], v3, off
.LBB14_938:
	s_mov_b32 s16, 0
.LBB14_939:
	s_delay_alu instid0(SALU_CYCLE_1)
	s_and_b32 vcc_lo, exec_lo, s16
	s_cbranch_vccz .LBB14_942
; %bb.940:
	s_cmp_eq_u32 s15, 29
	s_mov_b32 s0, -1
	s_cbranch_scc0 .LBB14_942
; %bb.941:
	s_wait_xcnt 0x0
	v_trunc_f32_e32 v3, v2
	s_mov_b32 s0, 0
	s_delay_alu instid0(VALU_DEP_1) | instskip(NEXT) | instid1(VALU_DEP_1)
	v_mul_f32_e32 v4, 0x2f800000, v3
	v_floor_f32_e32 v4, v4
	s_delay_alu instid0(VALU_DEP_1) | instskip(SKIP_1) | instid1(VALU_DEP_2)
	v_fmamk_f32 v3, v4, 0xcf800000, v3
	v_cvt_u32_f32_e32 v5, v4
	v_cvt_u32_f32_e32 v4, v3
	global_store_b64 v[0:1], v[4:5], off
.LBB14_942:
	s_mov_b32 s16, 0
.LBB14_943:
	s_delay_alu instid0(SALU_CYCLE_1)
	s_and_b32 vcc_lo, exec_lo, s16
	s_cbranch_vccz .LBB14_958
; %bb.944:
	s_cmp_lt_i32 s15, 27
	s_mov_b32 s16, -1
	s_cbranch_scc1 .LBB14_950
; %bb.945:
	s_wait_xcnt 0x0
	v_cvt_u32_f32_e32 v3, v2
	s_cmp_gt_i32 s15, 27
	s_cbranch_scc0 .LBB14_947
; %bb.946:
	s_mov_b32 s16, 0
	global_store_b32 v[0:1], v3, off
.LBB14_947:
	s_and_not1_b32 vcc_lo, exec_lo, s16
	s_cbranch_vccnz .LBB14_949
; %bb.948:
	global_store_b16 v[0:1], v3, off
.LBB14_949:
	s_mov_b32 s16, 0
.LBB14_950:
	s_delay_alu instid0(SALU_CYCLE_1)
	s_and_not1_b32 vcc_lo, exec_lo, s16
	s_cbranch_vccnz .LBB14_958
; %bb.951:
	s_wait_xcnt 0x0
	v_and_b32_e32 v3, 0x7fffffff, v2
	v_mov_b32_e32 v4, 0x80
	s_mov_b32 s16, exec_lo
	s_delay_alu instid0(VALU_DEP_2)
	v_cmpx_gt_u32_e32 0x43800000, v3
	s_cbranch_execz .LBB14_957
; %bb.952:
	v_cmp_lt_u32_e32 vcc_lo, 0x3bffffff, v3
                                        ; implicit-def: $vgpr3
	s_and_saveexec_b32 s18, vcc_lo
	s_delay_alu instid0(SALU_CYCLE_1)
	s_xor_b32 s18, exec_lo, s18
	s_cbranch_execz .LBB14_1058
; %bb.953:
	v_bfe_u32 v3, v2, 20, 1
	s_mov_b32 s17, exec_lo
	s_delay_alu instid0(VALU_DEP_1) | instskip(NEXT) | instid1(VALU_DEP_1)
	v_add3_u32 v3, v2, v3, 0x487ffff
	v_lshrrev_b32_e32 v3, 20, v3
	s_and_not1_saveexec_b32 s18, s18
	s_cbranch_execnz .LBB14_1059
.LBB14_954:
	s_or_b32 exec_lo, exec_lo, s18
	v_mov_b32_e32 v4, 0
	s_and_saveexec_b32 s18, s17
.LBB14_955:
	v_lshrrev_b32_e32 v4, 24, v2
	s_delay_alu instid0(VALU_DEP_1)
	v_and_or_b32 v4, 0x80, v4, v3
.LBB14_956:
	s_or_b32 exec_lo, exec_lo, s18
.LBB14_957:
	s_delay_alu instid0(SALU_CYCLE_1)
	s_or_b32 exec_lo, exec_lo, s16
	global_store_b8 v[0:1], v4, off
.LBB14_958:
	s_mov_b32 s16, 0
.LBB14_959:
	s_delay_alu instid0(SALU_CYCLE_1)
	s_and_b32 vcc_lo, exec_lo, s16
	s_mov_b32 s16, 0
	s_cbranch_vccz .LBB14_1002
; %bb.960:
	s_cmp_gt_i32 s15, 22
	s_mov_b32 s17, -1
	s_cbranch_scc0 .LBB14_992
; %bb.961:
	s_cmp_lt_i32 s15, 24
	s_cbranch_scc1 .LBB14_981
; %bb.962:
	s_cmp_gt_i32 s15, 24
	s_cbranch_scc0 .LBB14_970
; %bb.963:
	s_wait_xcnt 0x0
	v_and_b32_e32 v3, 0x7fffffff, v2
	v_mov_b32_e32 v4, 0x80
	s_mov_b32 s17, exec_lo
	s_delay_alu instid0(VALU_DEP_2)
	v_cmpx_gt_u32_e32 0x47800000, v3
	s_cbranch_execz .LBB14_969
; %bb.964:
	v_cmp_lt_u32_e32 vcc_lo, 0x37ffffff, v3
	s_mov_b32 s18, 0
                                        ; implicit-def: $vgpr3
	s_and_saveexec_b32 s19, vcc_lo
	s_delay_alu instid0(SALU_CYCLE_1)
	s_xor_b32 s19, exec_lo, s19
	s_cbranch_execz .LBB14_1188
; %bb.965:
	v_bfe_u32 v3, v2, 21, 1
	s_mov_b32 s18, exec_lo
	s_delay_alu instid0(VALU_DEP_1) | instskip(NEXT) | instid1(VALU_DEP_1)
	v_add3_u32 v3, v2, v3, 0x88fffff
	v_lshrrev_b32_e32 v3, 21, v3
	s_and_not1_saveexec_b32 s19, s19
	s_cbranch_execnz .LBB14_1189
.LBB14_966:
	s_or_b32 exec_lo, exec_lo, s19
	v_mov_b32_e32 v4, 0
	s_and_saveexec_b32 s19, s18
.LBB14_967:
	v_lshrrev_b32_e32 v4, 24, v2
	s_delay_alu instid0(VALU_DEP_1)
	v_and_or_b32 v4, 0x80, v4, v3
.LBB14_968:
	s_or_b32 exec_lo, exec_lo, s19
.LBB14_969:
	s_delay_alu instid0(SALU_CYCLE_1)
	s_or_b32 exec_lo, exec_lo, s17
	s_mov_b32 s17, 0
	global_store_b8 v[0:1], v4, off
.LBB14_970:
	s_and_b32 vcc_lo, exec_lo, s17
	s_cbranch_vccz .LBB14_980
; %bb.971:
	s_wait_xcnt 0x0
	v_and_b32_e32 v4, 0x7fffffff, v2
	s_mov_b32 s17, exec_lo
                                        ; implicit-def: $vgpr3
	s_delay_alu instid0(VALU_DEP_1)
	v_cmpx_gt_u32_e32 0x43f00000, v4
	s_xor_b32 s17, exec_lo, s17
	s_cbranch_execz .LBB14_977
; %bb.972:
	s_mov_b32 s18, exec_lo
                                        ; implicit-def: $vgpr3
	v_cmpx_lt_u32_e32 0x3c7fffff, v4
	s_xor_b32 s18, exec_lo, s18
; %bb.973:
	v_bfe_u32 v3, v2, 20, 1
	s_delay_alu instid0(VALU_DEP_1) | instskip(NEXT) | instid1(VALU_DEP_1)
	v_add3_u32 v3, v2, v3, 0x407ffff
	v_and_b32_e32 v4, 0xff00000, v3
	v_lshrrev_b32_e32 v3, 20, v3
	s_delay_alu instid0(VALU_DEP_2) | instskip(NEXT) | instid1(VALU_DEP_2)
	v_cmp_ne_u32_e32 vcc_lo, 0x7f00000, v4
	v_cndmask_b32_e32 v3, 0x7e, v3, vcc_lo
; %bb.974:
	s_and_not1_saveexec_b32 s18, s18
; %bb.975:
	v_add_f32_e64 v3, 0x46800000, |v2|
; %bb.976:
	s_or_b32 exec_lo, exec_lo, s18
                                        ; implicit-def: $vgpr4
.LBB14_977:
	s_and_not1_saveexec_b32 s17, s17
; %bb.978:
	v_mov_b32_e32 v3, 0x7f
	v_cmp_lt_u32_e32 vcc_lo, 0x7f800000, v4
	s_delay_alu instid0(VALU_DEP_2)
	v_cndmask_b32_e32 v3, 0x7e, v3, vcc_lo
; %bb.979:
	s_or_b32 exec_lo, exec_lo, s17
	v_lshrrev_b32_e32 v4, 24, v2
	s_delay_alu instid0(VALU_DEP_1)
	v_and_or_b32 v3, 0x80, v4, v3
	global_store_b8 v[0:1], v3, off
.LBB14_980:
	s_mov_b32 s17, 0
.LBB14_981:
	s_delay_alu instid0(SALU_CYCLE_1)
	s_and_not1_b32 vcc_lo, exec_lo, s17
	s_cbranch_vccnz .LBB14_991
; %bb.982:
	s_wait_xcnt 0x0
	v_and_b32_e32 v4, 0x7fffffff, v2
	s_mov_b32 s17, exec_lo
                                        ; implicit-def: $vgpr3
	s_delay_alu instid0(VALU_DEP_1)
	v_cmpx_gt_u32_e32 0x47800000, v4
	s_xor_b32 s17, exec_lo, s17
	s_cbranch_execz .LBB14_988
; %bb.983:
	s_mov_b32 s18, exec_lo
                                        ; implicit-def: $vgpr3
	v_cmpx_lt_u32_e32 0x387fffff, v4
	s_xor_b32 s18, exec_lo, s18
; %bb.984:
	v_bfe_u32 v3, v2, 21, 1
	s_delay_alu instid0(VALU_DEP_1) | instskip(NEXT) | instid1(VALU_DEP_1)
	v_add3_u32 v3, v2, v3, 0x80fffff
	v_lshrrev_b32_e32 v3, 21, v3
; %bb.985:
	s_and_not1_saveexec_b32 s18, s18
; %bb.986:
	v_add_f32_e64 v3, 0x43000000, |v2|
; %bb.987:
	s_or_b32 exec_lo, exec_lo, s18
                                        ; implicit-def: $vgpr4
.LBB14_988:
	s_and_not1_saveexec_b32 s17, s17
; %bb.989:
	v_mov_b32_e32 v3, 0x7f
	v_cmp_lt_u32_e32 vcc_lo, 0x7f800000, v4
	s_delay_alu instid0(VALU_DEP_2)
	v_cndmask_b32_e32 v3, 0x7c, v3, vcc_lo
; %bb.990:
	s_or_b32 exec_lo, exec_lo, s17
	v_lshrrev_b32_e32 v4, 24, v2
	s_delay_alu instid0(VALU_DEP_1)
	v_and_or_b32 v3, 0x80, v4, v3
	global_store_b8 v[0:1], v3, off
.LBB14_991:
	s_mov_b32 s17, 0
.LBB14_992:
	s_delay_alu instid0(SALU_CYCLE_1)
	s_and_not1_b32 vcc_lo, exec_lo, s17
	s_mov_b32 s17, 0
	s_cbranch_vccnz .LBB14_1003
; %bb.993:
	s_cmp_gt_i32 s15, 14
	s_mov_b32 s17, -1
	s_cbranch_scc0 .LBB14_997
; %bb.994:
	s_cmp_eq_u32 s15, 15
	s_mov_b32 s0, -1
	s_cbranch_scc0 .LBB14_996
; %bb.995:
	s_wait_xcnt 0x0
	v_bfe_u32 v3, v2, 16, 1
	v_cmp_o_f32_e32 vcc_lo, v2, v2
	s_mov_b32 s0, 0
	s_delay_alu instid0(VALU_DEP_2) | instskip(NEXT) | instid1(VALU_DEP_1)
	v_add3_u32 v3, v2, v3, 0x7fff
	v_lshrrev_b32_e32 v3, 16, v3
	s_delay_alu instid0(VALU_DEP_1)
	v_cndmask_b32_e32 v3, 0x7fc0, v3, vcc_lo
	global_store_b16 v[0:1], v3, off
.LBB14_996:
	s_mov_b32 s17, 0
.LBB14_997:
	s_delay_alu instid0(SALU_CYCLE_1)
	s_and_b32 vcc_lo, exec_lo, s17
	s_mov_b32 s17, 0
	s_cbranch_vccz .LBB14_1003
; %bb.998:
	s_cmp_lg_u32 s15, 11
	s_mov_b32 s17, -1
	s_cselect_b32 s15, -1, 0
	s_and_not1_b32 s0, s0, exec_lo
	s_and_b32 s15, s15, exec_lo
	s_delay_alu instid0(SALU_CYCLE_1)
	s_or_b32 s0, s0, s15
	s_branch .LBB14_1003
.LBB14_999:
	s_or_b32 exec_lo, exec_lo, s14
	s_and_saveexec_b32 s0, s12
	s_cbranch_execnz .LBB14_1004
.LBB14_1000:
	s_or_b32 exec_lo, exec_lo, s0
	s_and_saveexec_b32 s0, s16
	s_delay_alu instid0(SALU_CYCLE_1)
	s_xor_b32 s0, exec_lo, s0
	s_cbranch_execz .LBB14_1005
.LBB14_1001:
	s_wait_loadcnt 0x0
	v_cmp_neq_f32_e32 vcc_lo, 0, v2
	v_cndmask_b32_e64 v3, 0, 1, vcc_lo
	global_store_b8 v[0:1], v3, off
	s_wait_xcnt 0x0
	s_or_b32 exec_lo, exec_lo, s0
	s_and_saveexec_b32 s0, s15
	s_delay_alu instid0(SALU_CYCLE_1)
	s_xor_b32 s0, exec_lo, s0
	s_cbranch_execz .LBB14_1043
	s_branch .LBB14_1006
.LBB14_1002:
	s_mov_b32 s17, 0
.LBB14_1003:
	s_and_not1_b32 s12, s12, exec_lo
	s_and_b32 s0, s0, exec_lo
	s_and_b32 s15, s16, exec_lo
	s_and_b32 s16, s17, exec_lo
	s_or_b32 s12, s12, s0
	s_wait_xcnt 0x0
	s_or_b32 exec_lo, exec_lo, s14
	s_and_saveexec_b32 s0, s12
	s_cbranch_execz .LBB14_1000
.LBB14_1004:
	s_or_b32 s13, s13, exec_lo
	s_and_not1_b32 s16, s16, exec_lo
	s_trap 2
	s_or_b32 exec_lo, exec_lo, s0
	s_and_saveexec_b32 s0, s16
	s_delay_alu instid0(SALU_CYCLE_1)
	s_xor_b32 s0, exec_lo, s0
	s_cbranch_execnz .LBB14_1001
.LBB14_1005:
	s_or_b32 exec_lo, exec_lo, s0
	s_and_saveexec_b32 s0, s15
	s_delay_alu instid0(SALU_CYCLE_1)
	s_xor_b32 s0, exec_lo, s0
	s_cbranch_execz .LBB14_1043
.LBB14_1006:
	s_sext_i32_i16 s14, s1
	s_mov_b32 s12, -1
	s_cmp_lt_i32 s14, 5
	s_cbranch_scc1 .LBB14_1027
; %bb.1007:
	s_cmp_lt_i32 s14, 8
	s_cbranch_scc1 .LBB14_1017
; %bb.1008:
	;; [unrolled: 3-line block ×3, first 2 shown]
	s_cmp_gt_i32 s14, 9
	s_cbranch_scc0 .LBB14_1011
; %bb.1010:
	s_wait_loadcnt 0x0
	v_cvt_f64_f32_e32 v[4:5], v2
	v_mov_b32_e32 v6, 0
	s_mov_b32 s12, 0
	s_delay_alu instid0(VALU_DEP_1)
	v_mov_b32_e32 v7, v6
	global_store_b128 v[0:1], v[4:7], off
.LBB14_1011:
	s_and_not1_b32 vcc_lo, exec_lo, s12
	s_cbranch_vccnz .LBB14_1013
; %bb.1012:
	s_wait_loadcnt 0x0
	v_mov_b32_e32 v3, 0
	global_store_b64 v[0:1], v[2:3], off
.LBB14_1013:
	s_mov_b32 s12, 0
.LBB14_1014:
	s_delay_alu instid0(SALU_CYCLE_1)
	s_and_not1_b32 vcc_lo, exec_lo, s12
	s_cbranch_vccnz .LBB14_1016
; %bb.1015:
	s_wait_loadcnt 0x0
	v_cvt_f16_f32_e32 v3, v2
	s_delay_alu instid0(VALU_DEP_1)
	v_and_b32_e32 v3, 0xffff, v3
	global_store_b32 v[0:1], v3, off
.LBB14_1016:
	s_mov_b32 s12, 0
.LBB14_1017:
	s_delay_alu instid0(SALU_CYCLE_1)
	s_and_not1_b32 vcc_lo, exec_lo, s12
	s_cbranch_vccnz .LBB14_1026
; %bb.1018:
	s_sext_i32_i16 s14, s1
	s_mov_b32 s12, -1
	s_cmp_lt_i32 s14, 6
	s_cbranch_scc1 .LBB14_1024
; %bb.1019:
	s_cmp_gt_i32 s14, 6
	s_cbranch_scc0 .LBB14_1021
; %bb.1020:
	s_wait_loadcnt 0x0
	v_cvt_f64_f32_e32 v[4:5], v2
	s_mov_b32 s12, 0
	global_store_b64 v[0:1], v[4:5], off
.LBB14_1021:
	s_and_not1_b32 vcc_lo, exec_lo, s12
	s_cbranch_vccnz .LBB14_1023
; %bb.1022:
	s_wait_loadcnt 0x0
	global_store_b32 v[0:1], v2, off
.LBB14_1023:
	s_mov_b32 s12, 0
.LBB14_1024:
	s_delay_alu instid0(SALU_CYCLE_1)
	s_and_not1_b32 vcc_lo, exec_lo, s12
	s_cbranch_vccnz .LBB14_1026
; %bb.1025:
	s_wait_loadcnt 0x0
	v_cvt_f16_f32_e32 v3, v2
	global_store_b16 v[0:1], v3, off
.LBB14_1026:
	s_mov_b32 s12, 0
.LBB14_1027:
	s_delay_alu instid0(SALU_CYCLE_1)
	s_and_not1_b32 vcc_lo, exec_lo, s12
	s_cbranch_vccnz .LBB14_1043
; %bb.1028:
	s_sext_i32_i16 s14, s1
	s_mov_b32 s12, -1
	s_cmp_lt_i32 s14, 2
	s_cbranch_scc1 .LBB14_1038
; %bb.1029:
	s_cmp_lt_i32 s14, 3
	s_cbranch_scc1 .LBB14_1035
; %bb.1030:
	s_cmp_gt_i32 s14, 3
	s_cbranch_scc0 .LBB14_1032
; %bb.1031:
	s_wait_loadcnt 0x0
	v_trunc_f32_e32 v3, v2
	s_mov_b32 s12, 0
	s_delay_alu instid0(VALU_DEP_1) | instskip(NEXT) | instid1(VALU_DEP_1)
	v_mul_f32_e64 v4, 0x2f800000, |v3|
	v_floor_f32_e32 v5, v4
	v_ashrrev_i32_e32 v4, 31, v3
	s_delay_alu instid0(VALU_DEP_2) | instskip(SKIP_1) | instid1(VALU_DEP_3)
	v_fma_f32 v6, 0xcf800000, v5, |v3|
	v_cvt_u32_f32_e32 v3, v5
	v_mov_b32_e32 v5, v4
	s_delay_alu instid0(VALU_DEP_3) | instskip(NEXT) | instid1(VALU_DEP_3)
	v_cvt_u32_f32_e32 v6, v6
	v_xor_b32_e32 v7, v3, v4
	s_delay_alu instid0(VALU_DEP_2) | instskip(NEXT) | instid1(VALU_DEP_1)
	v_xor_b32_e32 v6, v6, v4
	v_sub_nc_u64_e32 v[4:5], v[6:7], v[4:5]
	global_store_b64 v[0:1], v[4:5], off
.LBB14_1032:
	s_and_not1_b32 vcc_lo, exec_lo, s12
	s_cbranch_vccnz .LBB14_1034
; %bb.1033:
	s_wait_loadcnt 0x0
	v_cvt_i32_f32_e32 v3, v2
	global_store_b32 v[0:1], v3, off
.LBB14_1034:
	s_mov_b32 s12, 0
.LBB14_1035:
	s_delay_alu instid0(SALU_CYCLE_1)
	s_and_not1_b32 vcc_lo, exec_lo, s12
	s_cbranch_vccnz .LBB14_1037
; %bb.1036:
	s_wait_loadcnt 0x0
	v_cvt_i32_f32_e32 v3, v2
	global_store_b16 v[0:1], v3, off
.LBB14_1037:
	s_mov_b32 s12, 0
.LBB14_1038:
	s_delay_alu instid0(SALU_CYCLE_1)
	s_and_not1_b32 vcc_lo, exec_lo, s12
	s_cbranch_vccnz .LBB14_1043
; %bb.1039:
	s_sext_i32_i16 s1, s1
	s_delay_alu instid0(SALU_CYCLE_1)
	s_cmp_gt_i32 s1, 0
	s_mov_b32 s1, -1
	s_cbranch_scc0 .LBB14_1041
; %bb.1040:
	s_wait_loadcnt 0x0
	v_cvt_i32_f32_e32 v3, v2
	s_mov_b32 s1, 0
	global_store_b8 v[0:1], v3, off
.LBB14_1041:
	s_and_not1_b32 vcc_lo, exec_lo, s1
	s_cbranch_vccnz .LBB14_1043
; %bb.1042:
	s_wait_loadcnt 0x0
	v_trunc_f32_e32 v2, v2
	s_delay_alu instid0(VALU_DEP_1) | instskip(NEXT) | instid1(VALU_DEP_1)
	v_mul_f32_e64 v3, 0x2f800000, |v2|
	v_floor_f32_e32 v3, v3
	s_delay_alu instid0(VALU_DEP_1) | instskip(SKIP_1) | instid1(VALU_DEP_2)
	v_fma_f32 v3, 0xcf800000, v3, |v2|
	v_ashrrev_i32_e32 v2, 31, v2
	v_cvt_u32_f32_e32 v3, v3
	s_delay_alu instid0(VALU_DEP_1) | instskip(NEXT) | instid1(VALU_DEP_1)
	v_xor_b32_e32 v3, v3, v2
	v_sub_nc_u32_e32 v2, v3, v2
	global_store_b8 v[0:1], v2, off
.LBB14_1043:
	s_wait_xcnt 0x0
	s_or_b32 exec_lo, exec_lo, s0
	s_delay_alu instid0(SALU_CYCLE_1)
	s_and_b32 s12, s13, exec_lo
                                        ; implicit-def: $vgpr4
.LBB14_1044:
	s_or_saveexec_b32 s11, s11
	s_mov_b32 s0, 0
                                        ; implicit-def: $sgpr1
                                        ; implicit-def: $vgpr0_vgpr1
                                        ; implicit-def: $vgpr2
	s_xor_b32 exec_lo, exec_lo, s11
	s_cbranch_execz .LBB14_2009
; %bb.1045:
	v_mul_lo_u32 v0, s3, v4
	s_and_b32 s10, 0xffff, s10
	s_delay_alu instid0(SALU_CYCLE_1) | instskip(NEXT) | instid1(VALU_DEP_1)
	s_cmp_lt_i32 s10, 11
	v_ashrrev_i32_e32 v1, 31, v0
	s_wait_loadcnt 0x0
	s_delay_alu instid0(VALU_DEP_1)
	v_add_nc_u64_e32 v[2:3], s[6:7], v[0:1]
	s_cbranch_scc1 .LBB14_1052
; %bb.1046:
	s_cmp_gt_i32 s10, 25
	s_mov_b32 s1, 0
	s_cbranch_scc0 .LBB14_1054
; %bb.1047:
	s_cmp_gt_i32 s10, 28
	s_cbranch_scc0 .LBB14_1055
; %bb.1048:
	s_cmp_gt_i32 s10, 43
	;; [unrolled: 3-line block ×3, first 2 shown]
	s_cbranch_scc0 .LBB14_1057
; %bb.1050:
	s_cmp_eq_u32 s10, 46
	s_cbranch_scc0 .LBB14_1060
; %bb.1051:
	global_load_b32 v1, v[2:3], off
	s_mov_b32 s13, -1
	s_wait_loadcnt 0x0
	v_lshlrev_b32_e32 v5, 16, v1
	s_branch .LBB14_1062
.LBB14_1052:
	s_mov_b32 s13, 0
	s_mov_b32 s9, s12
                                        ; implicit-def: $vgpr5
	s_cbranch_execnz .LBB14_1125
.LBB14_1053:
	s_and_not1_b32 vcc_lo, exec_lo, s13
	s_cbranch_vccz .LBB14_1170
	s_branch .LBB14_2007
.LBB14_1054:
	s_mov_b32 s13, 0
                                        ; implicit-def: $vgpr5
	s_cbranch_execnz .LBB14_1090
	s_branch .LBB14_1121
.LBB14_1055:
	s_mov_b32 s9, -1
	s_mov_b32 s13, 0
                                        ; implicit-def: $vgpr5
	s_branch .LBB14_1071
.LBB14_1056:
	s_mov_b32 s13, 0
                                        ; implicit-def: $vgpr5
	s_cbranch_execnz .LBB14_1067
	s_branch .LBB14_1070
.LBB14_1057:
	s_mov_b32 s9, -1
	s_branch .LBB14_1061
.LBB14_1058:
	s_and_not1_saveexec_b32 s18, s18
	s_cbranch_execz .LBB14_954
.LBB14_1059:
	v_add_f32_e64 v3, 0x46000000, |v2|
	s_and_not1_b32 s17, s17, exec_lo
	s_delay_alu instid0(VALU_DEP_1) | instskip(NEXT) | instid1(VALU_DEP_1)
	v_and_b32_e32 v3, 0xff, v3
	v_cmp_ne_u32_e32 vcc_lo, 0, v3
	s_and_b32 s19, vcc_lo, exec_lo
	s_delay_alu instid0(SALU_CYCLE_1)
	s_or_b32 s17, s17, s19
	s_or_b32 exec_lo, exec_lo, s18
	v_mov_b32_e32 v4, 0
	s_and_saveexec_b32 s18, s17
	s_cbranch_execnz .LBB14_955
	s_branch .LBB14_956
.LBB14_1060:
	s_mov_b32 s0, -1
.LBB14_1061:
	s_mov_b32 s13, 0
                                        ; implicit-def: $vgpr5
.LBB14_1062:
	s_and_b32 vcc_lo, exec_lo, s9
	s_cbranch_vccz .LBB14_1065
; %bb.1063:
	s_cmp_eq_u32 s10, 44
	s_cbranch_scc0 .LBB14_1066
; %bb.1064:
	global_load_u8 v1, v[2:3], off
	s_mov_b32 s0, 0
	s_mov_b32 s13, -1
	s_wait_loadcnt 0x0
	v_lshlrev_b32_e32 v5, 23, v1
	v_cmp_ne_u32_e32 vcc_lo, 0xff, v1
	s_delay_alu instid0(VALU_DEP_2) | instskip(SKIP_1) | instid1(VALU_DEP_2)
	v_cndmask_b32_e32 v5, 0x7f800001, v5, vcc_lo
	v_cmp_ne_u32_e32 vcc_lo, 0, v1
	v_cndmask_b32_e32 v5, 0x400000, v5, vcc_lo
.LBB14_1065:
	s_branch .LBB14_1070
.LBB14_1066:
	s_mov_b32 s0, -1
                                        ; implicit-def: $vgpr5
	s_branch .LBB14_1070
.LBB14_1067:
	s_cmp_eq_u32 s10, 29
	s_cbranch_scc0 .LBB14_1069
; %bb.1068:
	global_load_b64 v[6:7], v[2:3], off
	s_mov_b32 s0, 0
	s_mov_b32 s13, -1
	s_mov_b32 s9, 0
	s_wait_loadcnt 0x0
	v_clz_i32_u32_e32 v1, v7
	s_delay_alu instid0(VALU_DEP_1) | instskip(NEXT) | instid1(VALU_DEP_1)
	v_min_u32_e32 v1, 32, v1
	v_lshlrev_b64_e32 v[6:7], v1, v[6:7]
	v_sub_nc_u32_e32 v1, 32, v1
	s_delay_alu instid0(VALU_DEP_2) | instskip(NEXT) | instid1(VALU_DEP_1)
	v_min_u32_e32 v5, 1, v6
	v_or_b32_e32 v5, v7, v5
	s_delay_alu instid0(VALU_DEP_1) | instskip(NEXT) | instid1(VALU_DEP_1)
	v_cvt_f32_u32_e32 v5, v5
	v_ldexp_f32 v5, v5, v1
	s_branch .LBB14_1071
.LBB14_1069:
	s_mov_b32 s0, -1
                                        ; implicit-def: $vgpr5
.LBB14_1070:
	s_mov_b32 s9, 0
.LBB14_1071:
	s_delay_alu instid0(SALU_CYCLE_1)
	s_and_b32 vcc_lo, exec_lo, s9
	s_cbranch_vccz .LBB14_1089
; %bb.1072:
	s_cmp_lt_i32 s10, 27
	s_cbranch_scc1 .LBB14_1075
; %bb.1073:
	s_cmp_gt_i32 s10, 27
	s_cbranch_scc0 .LBB14_1076
; %bb.1074:
	global_load_b32 v1, v[2:3], off
	s_mov_b32 s9, 0
	s_wait_loadcnt 0x0
	v_cvt_f32_u32_e32 v5, v1
	s_branch .LBB14_1077
.LBB14_1075:
	s_mov_b32 s9, -1
                                        ; implicit-def: $vgpr5
	s_branch .LBB14_1080
.LBB14_1076:
	s_mov_b32 s9, -1
                                        ; implicit-def: $vgpr5
.LBB14_1077:
	s_delay_alu instid0(SALU_CYCLE_1)
	s_and_not1_b32 vcc_lo, exec_lo, s9
	s_cbranch_vccnz .LBB14_1079
; %bb.1078:
	global_load_u16 v1, v[2:3], off
	s_wait_loadcnt 0x0
	v_cvt_f32_u32_e32 v5, v1
.LBB14_1079:
	s_mov_b32 s9, 0
.LBB14_1080:
	s_delay_alu instid0(SALU_CYCLE_1)
	s_and_not1_b32 vcc_lo, exec_lo, s9
	s_cbranch_vccnz .LBB14_1088
; %bb.1081:
	global_load_u8 v1, v[2:3], off
	s_mov_b32 s9, 0
	s_mov_b32 s13, exec_lo
	s_wait_loadcnt 0x0
	v_cmpx_lt_i16_e32 0x7f, v1
	s_xor_b32 s13, exec_lo, s13
	s_cbranch_execz .LBB14_1101
; %bb.1082:
	s_mov_b32 s9, -1
	s_mov_b32 s14, exec_lo
	v_cmpx_eq_u16_e32 0x80, v1
; %bb.1083:
	s_xor_b32 s9, exec_lo, -1
; %bb.1084:
	s_or_b32 exec_lo, exec_lo, s14
	s_delay_alu instid0(SALU_CYCLE_1)
	s_and_b32 s9, s9, exec_lo
	s_or_saveexec_b32 s13, s13
	v_mov_b32_e32 v5, 0x7f800001
	s_xor_b32 exec_lo, exec_lo, s13
	s_cbranch_execnz .LBB14_1102
.LBB14_1085:
	s_or_b32 exec_lo, exec_lo, s13
	s_and_saveexec_b32 s13, s9
	s_cbranch_execz .LBB14_1087
.LBB14_1086:
	v_and_b32_e32 v5, 0xffff, v1
	s_delay_alu instid0(VALU_DEP_1) | instskip(SKIP_1) | instid1(VALU_DEP_2)
	v_and_b32_e32 v6, 7, v5
	v_bfe_u32 v9, v5, 3, 4
	v_clz_i32_u32_e32 v7, v6
	s_delay_alu instid0(VALU_DEP_2) | instskip(NEXT) | instid1(VALU_DEP_2)
	v_cmp_eq_u32_e32 vcc_lo, 0, v9
	v_min_u32_e32 v7, 32, v7
	s_delay_alu instid0(VALU_DEP_1) | instskip(NEXT) | instid1(VALU_DEP_1)
	v_subrev_nc_u32_e32 v8, 28, v7
	v_dual_lshlrev_b32 v5, v8, v5 :: v_dual_sub_nc_u32 v7, 29, v7
	s_delay_alu instid0(VALU_DEP_1) | instskip(NEXT) | instid1(VALU_DEP_2)
	v_and_b32_e32 v5, 7, v5
	v_dual_lshlrev_b32 v1, 24, v1 :: v_dual_cndmask_b32 v7, v9, v7, vcc_lo
	s_delay_alu instid0(VALU_DEP_2) | instskip(NEXT) | instid1(VALU_DEP_2)
	v_cndmask_b32_e32 v5, v6, v5, vcc_lo
	v_and_b32_e32 v1, 0x80000000, v1
	s_delay_alu instid0(VALU_DEP_3) | instskip(NEXT) | instid1(VALU_DEP_3)
	v_lshl_add_u32 v6, v7, 23, 0x3b800000
	v_lshlrev_b32_e32 v5, 20, v5
	s_delay_alu instid0(VALU_DEP_1)
	v_or3_b32 v5, v1, v6, v5
.LBB14_1087:
	s_or_b32 exec_lo, exec_lo, s13
.LBB14_1088:
	s_mov_b32 s13, -1
.LBB14_1089:
	s_branch .LBB14_1121
.LBB14_1090:
	s_cmp_gt_i32 s10, 22
	s_cbranch_scc0 .LBB14_1100
; %bb.1091:
	s_cmp_lt_i32 s10, 24
	s_cbranch_scc1 .LBB14_1103
; %bb.1092:
	s_cmp_gt_i32 s10, 24
	s_cbranch_scc0 .LBB14_1104
; %bb.1093:
	global_load_u8 v1, v[2:3], off
	s_mov_b32 s9, exec_lo
	s_wait_loadcnt 0x0
	v_cmpx_lt_i16_e32 0x7f, v1
	s_xor_b32 s9, exec_lo, s9
	s_cbranch_execz .LBB14_1115
; %bb.1094:
	s_mov_b32 s1, -1
	s_mov_b32 s13, exec_lo
	v_cmpx_eq_u16_e32 0x80, v1
; %bb.1095:
	s_xor_b32 s1, exec_lo, -1
; %bb.1096:
	s_or_b32 exec_lo, exec_lo, s13
	s_delay_alu instid0(SALU_CYCLE_1)
	s_and_b32 s1, s1, exec_lo
	s_or_saveexec_b32 s9, s9
	v_mov_b32_e32 v5, 0x7f800001
	s_xor_b32 exec_lo, exec_lo, s9
	s_cbranch_execnz .LBB14_1116
.LBB14_1097:
	s_or_b32 exec_lo, exec_lo, s9
	s_and_saveexec_b32 s9, s1
	s_cbranch_execz .LBB14_1099
.LBB14_1098:
	v_and_b32_e32 v5, 0xffff, v1
	s_delay_alu instid0(VALU_DEP_1) | instskip(SKIP_1) | instid1(VALU_DEP_2)
	v_and_b32_e32 v6, 3, v5
	v_bfe_u32 v9, v5, 2, 5
	v_clz_i32_u32_e32 v7, v6
	s_delay_alu instid0(VALU_DEP_2) | instskip(NEXT) | instid1(VALU_DEP_2)
	v_cmp_eq_u32_e32 vcc_lo, 0, v9
	v_min_u32_e32 v7, 32, v7
	s_delay_alu instid0(VALU_DEP_1) | instskip(NEXT) | instid1(VALU_DEP_1)
	v_subrev_nc_u32_e32 v8, 29, v7
	v_dual_lshlrev_b32 v5, v8, v5 :: v_dual_sub_nc_u32 v7, 30, v7
	s_delay_alu instid0(VALU_DEP_1) | instskip(NEXT) | instid1(VALU_DEP_2)
	v_and_b32_e32 v5, 3, v5
	v_dual_lshlrev_b32 v1, 24, v1 :: v_dual_cndmask_b32 v7, v9, v7, vcc_lo
	s_delay_alu instid0(VALU_DEP_2) | instskip(NEXT) | instid1(VALU_DEP_2)
	v_cndmask_b32_e32 v5, v6, v5, vcc_lo
	v_and_b32_e32 v1, 0x80000000, v1
	s_delay_alu instid0(VALU_DEP_3) | instskip(NEXT) | instid1(VALU_DEP_3)
	v_lshl_add_u32 v6, v7, 23, 0x37800000
	v_lshlrev_b32_e32 v5, 21, v5
	s_delay_alu instid0(VALU_DEP_1)
	v_or3_b32 v5, v1, v6, v5
.LBB14_1099:
	s_or_b32 exec_lo, exec_lo, s9
	s_mov_b32 s1, 0
	s_branch .LBB14_1105
.LBB14_1100:
                                        ; implicit-def: $vgpr5
	s_mov_b32 s1, 0
	s_branch .LBB14_1111
.LBB14_1101:
	s_or_saveexec_b32 s13, s13
	v_mov_b32_e32 v5, 0x7f800001
	s_xor_b32 exec_lo, exec_lo, s13
	s_cbranch_execz .LBB14_1085
.LBB14_1102:
	v_cmp_ne_u16_e32 vcc_lo, 0, v1
	v_mov_b32_e32 v5, 0
	s_and_not1_b32 s9, s9, exec_lo
	s_and_b32 s14, vcc_lo, exec_lo
	s_delay_alu instid0(SALU_CYCLE_1)
	s_or_b32 s9, s9, s14
	s_or_b32 exec_lo, exec_lo, s13
	s_and_saveexec_b32 s13, s9
	s_cbranch_execnz .LBB14_1086
	s_branch .LBB14_1087
.LBB14_1103:
	s_mov_b32 s1, -1
                                        ; implicit-def: $vgpr5
	s_branch .LBB14_1108
.LBB14_1104:
	s_mov_b32 s1, -1
                                        ; implicit-def: $vgpr5
.LBB14_1105:
	s_delay_alu instid0(SALU_CYCLE_1)
	s_and_b32 vcc_lo, exec_lo, s1
	s_cbranch_vccz .LBB14_1107
; %bb.1106:
	global_load_u8 v1, v[2:3], off
	s_wait_loadcnt 0x0
	v_lshlrev_b32_e32 v1, 24, v1
	s_delay_alu instid0(VALU_DEP_1) | instskip(NEXT) | instid1(VALU_DEP_1)
	v_and_b32_e32 v5, 0x7f000000, v1
	v_clz_i32_u32_e32 v6, v5
	v_cmp_ne_u32_e32 vcc_lo, 0, v5
	v_add_nc_u32_e32 v8, 0x1000000, v5
	s_delay_alu instid0(VALU_DEP_3) | instskip(NEXT) | instid1(VALU_DEP_1)
	v_min_u32_e32 v6, 32, v6
	v_sub_nc_u32_e64 v6, v6, 4 clamp
	s_delay_alu instid0(VALU_DEP_1) | instskip(NEXT) | instid1(VALU_DEP_1)
	v_dual_lshlrev_b32 v7, v6, v5 :: v_dual_lshlrev_b32 v6, 23, v6
	v_lshrrev_b32_e32 v7, 4, v7
	s_delay_alu instid0(VALU_DEP_1) | instskip(NEXT) | instid1(VALU_DEP_1)
	v_dual_sub_nc_u32 v6, v7, v6 :: v_dual_ashrrev_i32 v7, 8, v8
	v_add_nc_u32_e32 v6, 0x3c000000, v6
	s_delay_alu instid0(VALU_DEP_1) | instskip(NEXT) | instid1(VALU_DEP_1)
	v_and_or_b32 v6, 0x7f800000, v7, v6
	v_cndmask_b32_e32 v5, 0, v6, vcc_lo
	s_delay_alu instid0(VALU_DEP_1)
	v_and_or_b32 v5, 0x80000000, v1, v5
.LBB14_1107:
	s_mov_b32 s1, 0
.LBB14_1108:
	s_delay_alu instid0(SALU_CYCLE_1)
	s_and_not1_b32 vcc_lo, exec_lo, s1
	s_cbranch_vccnz .LBB14_1110
; %bb.1109:
	global_load_u8 v1, v[2:3], off
	s_wait_loadcnt 0x0
	v_lshlrev_b32_e32 v5, 25, v1
	v_lshlrev_b16 v1, 8, v1
	s_delay_alu instid0(VALU_DEP_1) | instskip(SKIP_1) | instid1(VALU_DEP_2)
	v_and_or_b32 v7, 0x7f00, v1, 0.5
	v_bfe_i32 v1, v1, 0, 16
	v_dual_add_f32 v7, -0.5, v7 :: v_dual_lshrrev_b32 v6, 4, v5
	v_cmp_gt_u32_e32 vcc_lo, 0x8000000, v5
	s_delay_alu instid0(VALU_DEP_2) | instskip(NEXT) | instid1(VALU_DEP_1)
	v_or_b32_e32 v6, 0x70000000, v6
	v_mul_f32_e32 v6, 0x7800000, v6
	s_delay_alu instid0(VALU_DEP_1) | instskip(NEXT) | instid1(VALU_DEP_1)
	v_cndmask_b32_e32 v5, v6, v7, vcc_lo
	v_and_or_b32 v5, 0x80000000, v1, v5
.LBB14_1110:
	s_mov_b32 s13, -1
	s_mov_b32 s1, 0
	s_cbranch_execnz .LBB14_1121
.LBB14_1111:
	s_cmp_gt_i32 s10, 14
	s_cbranch_scc0 .LBB14_1114
; %bb.1112:
	s_cmp_eq_u32 s10, 15
	s_cbranch_scc0 .LBB14_1117
; %bb.1113:
	global_load_u16 v1, v[2:3], off
	s_mov_b32 s0, 0
	s_mov_b32 s13, -1
	s_wait_loadcnt 0x0
	v_lshlrev_b32_e32 v5, 16, v1
	s_branch .LBB14_1119
.LBB14_1114:
	s_mov_b32 s1, -1
	s_branch .LBB14_1118
.LBB14_1115:
	s_or_saveexec_b32 s9, s9
	v_mov_b32_e32 v5, 0x7f800001
	s_xor_b32 exec_lo, exec_lo, s9
	s_cbranch_execz .LBB14_1097
.LBB14_1116:
	v_cmp_ne_u16_e32 vcc_lo, 0, v1
	v_mov_b32_e32 v5, 0
	s_and_not1_b32 s1, s1, exec_lo
	s_and_b32 s13, vcc_lo, exec_lo
	s_delay_alu instid0(SALU_CYCLE_1)
	s_or_b32 s1, s1, s13
	s_or_b32 exec_lo, exec_lo, s9
	s_and_saveexec_b32 s9, s1
	s_cbranch_execnz .LBB14_1098
	s_branch .LBB14_1099
.LBB14_1117:
	s_mov_b32 s0, -1
.LBB14_1118:
                                        ; implicit-def: $vgpr5
.LBB14_1119:
	s_and_b32 vcc_lo, exec_lo, s1
	s_mov_b32 s1, 0
	s_cbranch_vccz .LBB14_1121
; %bb.1120:
	s_cmp_lg_u32 s10, 11
	s_mov_b32 s1, -1
	s_cselect_b32 s0, -1, 0
.LBB14_1121:
	s_delay_alu instid0(SALU_CYCLE_1)
	s_and_b32 vcc_lo, exec_lo, s0
	s_mov_b32 s9, s12
	s_cbranch_vccnz .LBB14_1186
; %bb.1122:
	s_and_not1_b32 vcc_lo, exec_lo, s1
	s_cbranch_vccnz .LBB14_1124
.LBB14_1123:
	global_load_u8 v1, v[2:3], off
	s_mov_b32 s13, -1
	s_wait_loadcnt 0x0
	v_cmp_ne_u16_e32 vcc_lo, 0, v1
	v_cndmask_b32_e64 v5, 0, 1.0, vcc_lo
.LBB14_1124:
	s_branch .LBB14_1053
.LBB14_1125:
	s_cmp_lt_i32 s10, 5
	s_cbranch_scc1 .LBB14_1130
; %bb.1126:
	s_cmp_lt_i32 s10, 8
	s_cbranch_scc1 .LBB14_1131
; %bb.1127:
	;; [unrolled: 3-line block ×3, first 2 shown]
	s_cmp_gt_i32 s10, 9
	s_cbranch_scc0 .LBB14_1133
; %bb.1129:
	global_load_b64 v[6:7], v[2:3], off
	s_mov_b32 s0, 0
	s_wait_loadcnt 0x0
	v_cvt_f32_f64_e32 v5, v[6:7]
	s_branch .LBB14_1134
.LBB14_1130:
                                        ; implicit-def: $vgpr5
	s_branch .LBB14_1151
.LBB14_1131:
                                        ; implicit-def: $vgpr5
	s_branch .LBB14_1140
.LBB14_1132:
	s_mov_b32 s0, -1
                                        ; implicit-def: $vgpr5
	s_branch .LBB14_1137
.LBB14_1133:
	s_mov_b32 s0, -1
                                        ; implicit-def: $vgpr5
.LBB14_1134:
	s_delay_alu instid0(SALU_CYCLE_1)
	s_and_not1_b32 vcc_lo, exec_lo, s0
	s_cbranch_vccnz .LBB14_1136
; %bb.1135:
	global_load_b32 v5, v[2:3], off
.LBB14_1136:
	s_mov_b32 s0, 0
.LBB14_1137:
	s_delay_alu instid0(SALU_CYCLE_1)
	s_and_not1_b32 vcc_lo, exec_lo, s0
	s_cbranch_vccnz .LBB14_1139
; %bb.1138:
	global_load_b32 v1, v[2:3], off
	s_wait_loadcnt 0x0
	v_cvt_f32_f16_e32 v5, v1
.LBB14_1139:
	s_cbranch_execnz .LBB14_1150
.LBB14_1140:
	s_cmp_lt_i32 s10, 6
	s_cbranch_scc1 .LBB14_1143
; %bb.1141:
	s_cmp_gt_i32 s10, 6
	s_cbranch_scc0 .LBB14_1144
; %bb.1142:
	global_load_b64 v[6:7], v[2:3], off
	s_mov_b32 s0, 0
	s_wait_loadcnt 0x0
	v_cvt_f32_f64_e32 v5, v[6:7]
	s_branch .LBB14_1145
.LBB14_1143:
	s_mov_b32 s0, -1
                                        ; implicit-def: $vgpr5
	s_branch .LBB14_1148
.LBB14_1144:
	s_mov_b32 s0, -1
                                        ; implicit-def: $vgpr5
.LBB14_1145:
	s_delay_alu instid0(SALU_CYCLE_1)
	s_and_not1_b32 vcc_lo, exec_lo, s0
	s_cbranch_vccnz .LBB14_1147
; %bb.1146:
	s_wait_loadcnt 0x0
	global_load_b32 v5, v[2:3], off
.LBB14_1147:
	s_mov_b32 s0, 0
.LBB14_1148:
	s_delay_alu instid0(SALU_CYCLE_1)
	s_and_not1_b32 vcc_lo, exec_lo, s0
	s_cbranch_vccnz .LBB14_1150
; %bb.1149:
	global_load_u16 v1, v[2:3], off
	s_wait_loadcnt 0x0
	v_cvt_f32_f16_e32 v5, v1
.LBB14_1150:
	s_cbranch_execnz .LBB14_1169
.LBB14_1151:
	s_cmp_lt_i32 s10, 2
	s_cbranch_scc1 .LBB14_1155
; %bb.1152:
	s_cmp_lt_i32 s10, 3
	s_cbranch_scc1 .LBB14_1156
; %bb.1153:
	s_cmp_gt_i32 s10, 3
	s_cbranch_scc0 .LBB14_1157
; %bb.1154:
	global_load_b64 v[6:7], v[2:3], off
	s_mov_b32 s0, 0
	s_wait_loadcnt 0x0
	v_xor_b32_e32 v1, v6, v7
	v_cls_i32_e32 v5, v7
	s_delay_alu instid0(VALU_DEP_2) | instskip(NEXT) | instid1(VALU_DEP_1)
	v_ashrrev_i32_e32 v1, 31, v1
	v_add_nc_u32_e32 v1, 32, v1
	s_delay_alu instid0(VALU_DEP_1) | instskip(NEXT) | instid1(VALU_DEP_1)
	v_add_min_u32_e64 v1, v5, -1, v1
	v_lshlrev_b64_e32 v[6:7], v1, v[6:7]
	v_sub_nc_u32_e32 v1, 32, v1
	s_delay_alu instid0(VALU_DEP_2) | instskip(NEXT) | instid1(VALU_DEP_1)
	v_min_u32_e32 v5, 1, v6
	v_or_b32_e32 v5, v7, v5
	s_delay_alu instid0(VALU_DEP_1) | instskip(NEXT) | instid1(VALU_DEP_1)
	v_cvt_f32_i32_e32 v5, v5
	v_ldexp_f32 v5, v5, v1
	s_branch .LBB14_1158
.LBB14_1155:
                                        ; implicit-def: $vgpr5
	s_branch .LBB14_1164
.LBB14_1156:
	s_mov_b32 s0, -1
                                        ; implicit-def: $vgpr5
	s_branch .LBB14_1161
.LBB14_1157:
	s_mov_b32 s0, -1
                                        ; implicit-def: $vgpr5
.LBB14_1158:
	s_delay_alu instid0(SALU_CYCLE_1)
	s_and_not1_b32 vcc_lo, exec_lo, s0
	s_cbranch_vccnz .LBB14_1160
; %bb.1159:
	global_load_b32 v1, v[2:3], off
	s_wait_loadcnt 0x0
	v_cvt_f32_i32_e32 v5, v1
.LBB14_1160:
	s_mov_b32 s0, 0
.LBB14_1161:
	s_delay_alu instid0(SALU_CYCLE_1)
	s_and_not1_b32 vcc_lo, exec_lo, s0
	s_cbranch_vccnz .LBB14_1163
; %bb.1162:
	global_load_i16 v1, v[2:3], off
	s_wait_loadcnt 0x0
	v_cvt_f32_i32_e32 v5, v1
.LBB14_1163:
	s_cbranch_execnz .LBB14_1169
.LBB14_1164:
	s_cmp_gt_i32 s10, 0
	s_mov_b32 s0, 0
	s_cbranch_scc0 .LBB14_1166
; %bb.1165:
	global_load_i8 v1, v[2:3], off
	s_wait_loadcnt 0x0
	v_cvt_f32_i32_e32 v5, v1
	s_branch .LBB14_1167
.LBB14_1166:
	s_mov_b32 s0, -1
                                        ; implicit-def: $vgpr5
.LBB14_1167:
	s_delay_alu instid0(SALU_CYCLE_1)
	s_and_not1_b32 vcc_lo, exec_lo, s0
	s_cbranch_vccnz .LBB14_1169
; %bb.1168:
	global_load_u8 v1, v[2:3], off
	s_wait_loadcnt 0x0
	v_cvt_f32_ubyte0_e32 v5, v1
.LBB14_1169:
.LBB14_1170:
	s_wait_loadcnt 0x0
	s_delay_alu instid0(VALU_DEP_1)
	v_and_b32_e32 v9, 0x7fffffff, v5
                                        ; implicit-def: $vgpr11
                                        ; implicit-def: $vgpr10
	s_mov_b32 s1, exec_lo
	s_wait_xcnt 0x0
	v_cmpx_ngt_f32_e64 0x48000000, |v5|
	s_xor_b32 s13, exec_lo, s1
	s_cbranch_execz .LBB14_1172
; %bb.1171:
	s_mov_b32 s0, 0x7fffff
	v_mov_b32_e32 v3, 0
	v_and_or_b32 v2, v9, s0, 0x800000
	s_mov_b64 s[0:1], 0xfe5163ab
	v_lshrrev_b32_e32 v1, 23, v9
	s_delay_alu instid0(VALU_DEP_2) | instskip(NEXT) | instid1(VALU_DEP_1)
	v_mul_u64_e32 v[6:7], s[0:1], v[2:3]
	v_dual_mov_b32 v10, v7 :: v_dual_mov_b32 v11, v3
	v_dual_mov_b32 v13, v3 :: v_dual_mov_b32 v15, v3
	v_mov_b32_e32 v17, v3
	s_delay_alu instid0(VALU_DEP_3) | instskip(NEXT) | instid1(VALU_DEP_1)
	v_mad_nc_u64_u32 v[10:11], 0x3c439041, v2, v[10:11]
	v_mov_b32_e32 v12, v11
	s_delay_alu instid0(VALU_DEP_1) | instskip(NEXT) | instid1(VALU_DEP_1)
	v_mad_nc_u64_u32 v[12:13], 0xdb629599, v2, v[12:13]
	v_mov_b32_e32 v14, v13
	s_delay_alu instid0(VALU_DEP_1) | instskip(NEXT) | instid1(VALU_DEP_1)
	;; [unrolled: 3-line block ×3, first 2 shown]
	v_mad_nc_u64_u32 v[16:17], 0xfc2757d1, v2, v[16:17]
	v_dual_mov_b32 v19, v3 :: v_dual_mov_b32 v18, v17
	s_delay_alu instid0(VALU_DEP_1) | instskip(NEXT) | instid1(VALU_DEP_1)
	v_mad_nc_u64_u32 v[18:19], 0x4e441529, v2, v[18:19]
	v_dual_mov_b32 v20, v19 :: v_dual_add_nc_u32 v1, 0xffffff88, v1
	s_delay_alu instid0(VALU_DEP_1) | instskip(SKIP_2) | instid1(VALU_DEP_2)
	v_cmp_lt_u32_e32 vcc_lo, 63, v1
	v_mov_b32_e32 v21, v3
	v_cndmask_b32_e64 v7, 0, 0xffffffc0, vcc_lo
	v_mad_nc_u64_u32 v[2:3], 0xa2f9836e, v2, v[20:21]
	v_dual_cndmask_b32 v8, v18, v14 :: v_dual_cndmask_b32 v11, v16, v12
	s_delay_alu instid0(VALU_DEP_3) | instskip(NEXT) | instid1(VALU_DEP_1)
	v_dual_cndmask_b32 v6, v12, v6 :: v_dual_add_nc_u32 v1, v7, v1
	v_cmp_lt_u32_e64 s0, 31, v1
	s_delay_alu instid0(VALU_DEP_4) | instskip(NEXT) | instid1(VALU_DEP_2)
	v_dual_cndmask_b32 v2, v2, v16 :: v_dual_cndmask_b32 v3, v3, v18
	v_cndmask_b32_e64 v7, 0, 0xffffffe0, s0
	s_delay_alu instid0(VALU_DEP_1) | instskip(NEXT) | instid1(VALU_DEP_1)
	v_add_nc_u32_e32 v1, v7, v1
	v_cmp_lt_u32_e64 s1, 31, v1
	s_delay_alu instid0(VALU_DEP_1) | instskip(NEXT) | instid1(VALU_DEP_1)
	v_cndmask_b32_e64 v7, 0, 0xffffffe0, s1
	v_dual_add_nc_u32 v1, v7, v1 :: v_dual_cndmask_b32 v7, v14, v10, vcc_lo
	v_dual_cndmask_b32 v10, v2, v8, s0 :: v_dual_cndmask_b32 v2, v3, v2, s0
	s_delay_alu instid0(VALU_DEP_2) | instskip(NEXT) | instid1(VALU_DEP_3)
	v_dual_cndmask_b32 v3, v8, v11, s0 :: v_dual_sub_nc_u32 v8, 32, v1
	v_cndmask_b32_e64 v11, v11, v7, s0
	v_cmp_eq_u32_e32 vcc_lo, 0, v1
	s_delay_alu instid0(VALU_DEP_4) | instskip(NEXT) | instid1(VALU_DEP_4)
	v_cndmask_b32_e64 v2, v2, v10, s1
	v_cndmask_b32_e64 v10, v10, v3, s1
	s_delay_alu instid0(VALU_DEP_4) | instskip(NEXT) | instid1(VALU_DEP_2)
	v_cndmask_b32_e64 v3, v3, v11, s1
	v_alignbit_b32 v13, v2, v10, v8
	s_delay_alu instid0(VALU_DEP_2) | instskip(NEXT) | instid1(VALU_DEP_2)
	v_alignbit_b32 v12, v10, v3, v8
	v_cndmask_b32_e32 v1, v13, v2, vcc_lo
	v_cndmask_b32_e64 v2, v7, v6, s0
	s_delay_alu instid0(VALU_DEP_1) | instskip(NEXT) | instid1(VALU_DEP_3)
	v_cndmask_b32_e64 v2, v11, v2, s1
	v_bfe_u32 v7, v1, 29, 1
	s_delay_alu instid0(VALU_DEP_2) | instskip(NEXT) | instid1(VALU_DEP_2)
	v_alignbit_b32 v8, v3, v2, v8
	v_dual_cndmask_b32 v6, v12, v10 :: v_dual_sub_nc_u32 v11, 0, v7
	s_delay_alu instid0(VALU_DEP_2) | instskip(NEXT) | instid1(VALU_DEP_2)
	v_cndmask_b32_e32 v3, v8, v3, vcc_lo
	v_alignbit_b32 v10, v1, v6, 30
	s_delay_alu instid0(VALU_DEP_2) | instskip(NEXT) | instid1(VALU_DEP_2)
	v_alignbit_b32 v2, v3, v2, 30
	v_xor_b32_e32 v10, v10, v11
	v_alignbit_b32 v6, v6, v3, 30
	s_delay_alu instid0(VALU_DEP_3) | instskip(NEXT) | instid1(VALU_DEP_3)
	v_xor_b32_e32 v2, v2, v11
	v_clz_i32_u32_e32 v8, v10
	s_delay_alu instid0(VALU_DEP_3) | instskip(SKIP_1) | instid1(VALU_DEP_3)
	v_dual_lshrrev_b32 v11, 29, v1 :: v_dual_bitop2_b32 v3, v6, v11 bitop3:0x14
	v_lshrrev_b32_e32 v1, 30, v1
	v_min_u32_e32 v8, 32, v8
	s_delay_alu instid0(VALU_DEP_1) | instskip(NEXT) | instid1(VALU_DEP_1)
	v_dual_sub_nc_u32 v6, 31, v8 :: v_dual_lshlrev_b32 v12, 23, v8
	v_alignbit_b32 v10, v10, v3, v6
	v_alignbit_b32 v2, v3, v2, v6
	v_lshlrev_b32_e32 v3, 31, v11
	s_delay_alu instid0(VALU_DEP_2) | instskip(NEXT) | instid1(VALU_DEP_2)
	v_alignbit_b32 v6, v10, v2, 9
	v_dual_lshrrev_b32 v10, 9, v10 :: v_dual_bitop2_b32 v11, 0.5, v3 bitop3:0x54
	v_or_b32_e32 v3, 0x33000000, v3
	s_delay_alu instid0(VALU_DEP_3) | instskip(NEXT) | instid1(VALU_DEP_3)
	v_clz_i32_u32_e32 v13, v6
	v_sub_nc_u32_e32 v11, v11, v12
	s_delay_alu instid0(VALU_DEP_2) | instskip(NEXT) | instid1(VALU_DEP_1)
	v_min_u32_e32 v12, 32, v13
	v_add_lshl_u32 v8, v12, v8, 23
	s_delay_alu instid0(VALU_DEP_3) | instskip(SKIP_1) | instid1(VALU_DEP_3)
	v_or_b32_e32 v10, v10, v11
	v_not_b32_e32 v11, v12
	v_sub_nc_u32_e32 v3, v3, v8
	s_delay_alu instid0(VALU_DEP_3) | instskip(NEXT) | instid1(VALU_DEP_3)
	v_mul_f32_e32 v13, 0x3fc90fda, v10
	v_alignbit_b32 v2, v6, v2, v11
	v_add_nc_u32_e32 v11, v7, v1
	s_delay_alu instid0(VALU_DEP_3) | instskip(NEXT) | instid1(VALU_DEP_3)
	v_fma_f32 v6, 0x3fc90fda, v10, -v13
	v_lshrrev_b32_e32 v2, 9, v2
	s_delay_alu instid0(VALU_DEP_2) | instskip(NEXT) | instid1(VALU_DEP_2)
	v_fmamk_f32 v6, v10, 0x33a22168, v6
	v_or_b32_e32 v2, v3, v2
	s_delay_alu instid0(VALU_DEP_1) | instskip(NEXT) | instid1(VALU_DEP_1)
	v_fmac_f32_e32 v6, 0x3fc90fda, v2
	v_add_f32_e32 v10, v13, v6
.LBB14_1172:
	s_and_not1_saveexec_b32 s0, s13
; %bb.1173:
	v_mul_f32_e64 v1, 0x3f22f983, |v5|
	s_delay_alu instid0(VALU_DEP_1) | instskip(NEXT) | instid1(VALU_DEP_1)
	v_rndne_f32_e32 v1, v1
	v_fma_f32 v2, 0xbfc90fda, v1, |v5|
	v_cvt_i32_f32_e32 v11, v1
	s_delay_alu instid0(VALU_DEP_2) | instskip(NEXT) | instid1(VALU_DEP_1)
	v_fmamk_f32 v2, v1, 0xb3a22168, v2
	v_fmamk_f32 v10, v1, 0xa7c234c4, v2
; %bb.1174:
	s_or_b32 exec_lo, exec_lo, s0
	s_lshl_b32 s3, s3, 7
	s_cmp_lt_i32 s10, 11
	v_add_nc_u32_e32 v0, s3, v0
	s_delay_alu instid0(VALU_DEP_1) | instskip(NEXT) | instid1(VALU_DEP_1)
	v_ashrrev_i32_e32 v1, 31, v0
	v_add_nc_u64_e32 v[2:3], s[6:7], v[0:1]
	s_cbranch_scc1 .LBB14_1181
; %bb.1175:
	s_cmp_gt_i32 s10, 25
	s_mov_b32 s1, 0
	s_cbranch_scc0 .LBB14_1183
; %bb.1176:
	s_cmp_gt_i32 s10, 28
	s_cbranch_scc0 .LBB14_1184
; %bb.1177:
	s_cmp_gt_i32 s10, 43
	s_cbranch_scc0 .LBB14_1185
; %bb.1178:
	s_cmp_gt_i32 s10, 45
	s_cbranch_scc0 .LBB14_1187
; %bb.1179:
	s_cmp_eq_u32 s10, 46
	s_mov_b32 s14, 0
	s_cbranch_scc0 .LBB14_1190
; %bb.1180:
	global_load_b32 v1, v[2:3], off
	s_mov_b32 s0, 0
	s_mov_b32 s13, -1
	s_wait_loadcnt 0x0
	v_lshlrev_b32_e32 v6, 16, v1
	s_branch .LBB14_1192
.LBB14_1181:
	s_mov_b32 s13, 0
                                        ; implicit-def: $vgpr6
	s_cbranch_execnz .LBB14_1257
.LBB14_1182:
	s_and_not1_b32 vcc_lo, exec_lo, s13
	s_cbranch_vccz .LBB14_1304
	s_branch .LBB14_2007
.LBB14_1183:
	s_mov_b32 s13, 0
	s_mov_b32 s0, 0
                                        ; implicit-def: $vgpr6
	s_cbranch_execnz .LBB14_1221
	s_branch .LBB14_1253
.LBB14_1184:
	s_mov_b32 s14, -1
	s_mov_b32 s13, 0
	s_mov_b32 s0, 0
                                        ; implicit-def: $vgpr6
	s_branch .LBB14_1202
.LBB14_1185:
	s_mov_b32 s14, -1
	s_mov_b32 s13, 0
	s_mov_b32 s0, 0
                                        ; implicit-def: $vgpr6
	s_branch .LBB14_1197
.LBB14_1186:
	s_or_b32 s9, s12, exec_lo
	s_trap 2
	s_cbranch_execz .LBB14_1123
	s_branch .LBB14_1124
.LBB14_1187:
	s_mov_b32 s14, -1
	s_mov_b32 s13, 0
	s_mov_b32 s0, 0
	s_branch .LBB14_1191
.LBB14_1188:
	s_and_not1_saveexec_b32 s19, s19
	s_cbranch_execz .LBB14_966
.LBB14_1189:
	v_add_f32_e64 v3, 0x42800000, |v2|
	s_and_not1_b32 s18, s18, exec_lo
	s_delay_alu instid0(VALU_DEP_1) | instskip(NEXT) | instid1(VALU_DEP_1)
	v_and_b32_e32 v3, 0xff, v3
	v_cmp_ne_u32_e32 vcc_lo, 0, v3
	s_and_b32 s20, vcc_lo, exec_lo
	s_delay_alu instid0(SALU_CYCLE_1)
	s_or_b32 s18, s18, s20
	s_or_b32 exec_lo, exec_lo, s19
	v_mov_b32_e32 v4, 0
	s_and_saveexec_b32 s19, s18
	s_cbranch_execnz .LBB14_967
	s_branch .LBB14_968
.LBB14_1190:
	s_mov_b32 s0, -1
	s_mov_b32 s13, 0
.LBB14_1191:
                                        ; implicit-def: $vgpr6
.LBB14_1192:
	s_and_b32 vcc_lo, exec_lo, s14
	s_cbranch_vccz .LBB14_1196
; %bb.1193:
	s_cmp_eq_u32 s10, 44
	s_cbranch_scc0 .LBB14_1195
; %bb.1194:
	global_load_u8 v1, v[2:3], off
	s_mov_b32 s0, 0
	s_mov_b32 s13, -1
	s_wait_loadcnt 0x0
	v_lshlrev_b32_e32 v6, 23, v1
	v_cmp_ne_u32_e32 vcc_lo, 0xff, v1
	s_delay_alu instid0(VALU_DEP_2) | instskip(SKIP_1) | instid1(VALU_DEP_2)
	v_cndmask_b32_e32 v6, 0x7f800001, v6, vcc_lo
	v_cmp_ne_u32_e32 vcc_lo, 0, v1
	v_cndmask_b32_e32 v6, 0x400000, v6, vcc_lo
	s_branch .LBB14_1196
.LBB14_1195:
	s_mov_b32 s0, -1
                                        ; implicit-def: $vgpr6
.LBB14_1196:
	s_mov_b32 s14, 0
.LBB14_1197:
	s_delay_alu instid0(SALU_CYCLE_1)
	s_and_b32 vcc_lo, exec_lo, s14
	s_cbranch_vccz .LBB14_1201
; %bb.1198:
	s_cmp_eq_u32 s10, 29
	s_cbranch_scc0 .LBB14_1200
; %bb.1199:
	global_load_b64 v[6:7], v[2:3], off
	s_mov_b32 s0, 0
	s_mov_b32 s13, -1
	s_mov_b32 s14, 0
	s_wait_loadcnt 0x0
	v_clz_i32_u32_e32 v1, v7
	s_delay_alu instid0(VALU_DEP_1) | instskip(NEXT) | instid1(VALU_DEP_1)
	v_min_u32_e32 v1, 32, v1
	v_lshlrev_b64_e32 v[6:7], v1, v[6:7]
	v_sub_nc_u32_e32 v1, 32, v1
	s_delay_alu instid0(VALU_DEP_2) | instskip(NEXT) | instid1(VALU_DEP_1)
	v_min_u32_e32 v6, 1, v6
	v_or_b32_e32 v6, v7, v6
	s_delay_alu instid0(VALU_DEP_1) | instskip(NEXT) | instid1(VALU_DEP_1)
	v_cvt_f32_u32_e32 v6, v6
	v_ldexp_f32 v6, v6, v1
	s_branch .LBB14_1202
.LBB14_1200:
	s_mov_b32 s0, -1
                                        ; implicit-def: $vgpr6
.LBB14_1201:
	s_mov_b32 s14, 0
.LBB14_1202:
	s_delay_alu instid0(SALU_CYCLE_1)
	s_and_b32 vcc_lo, exec_lo, s14
	s_cbranch_vccz .LBB14_1220
; %bb.1203:
	s_cmp_lt_i32 s10, 27
	s_cbranch_scc1 .LBB14_1206
; %bb.1204:
	s_cmp_gt_i32 s10, 27
	s_cbranch_scc0 .LBB14_1207
; %bb.1205:
	global_load_b32 v1, v[2:3], off
	s_mov_b32 s13, 0
	s_wait_loadcnt 0x0
	v_cvt_f32_u32_e32 v6, v1
	s_branch .LBB14_1208
.LBB14_1206:
	s_mov_b32 s13, -1
                                        ; implicit-def: $vgpr6
	s_branch .LBB14_1211
.LBB14_1207:
	s_mov_b32 s13, -1
                                        ; implicit-def: $vgpr6
.LBB14_1208:
	s_delay_alu instid0(SALU_CYCLE_1)
	s_and_not1_b32 vcc_lo, exec_lo, s13
	s_cbranch_vccnz .LBB14_1210
; %bb.1209:
	global_load_u16 v1, v[2:3], off
	s_wait_loadcnt 0x0
	v_cvt_f32_u32_e32 v6, v1
.LBB14_1210:
	s_mov_b32 s13, 0
.LBB14_1211:
	s_delay_alu instid0(SALU_CYCLE_1)
	s_and_not1_b32 vcc_lo, exec_lo, s13
	s_cbranch_vccnz .LBB14_1219
; %bb.1212:
	global_load_u8 v1, v[2:3], off
	s_mov_b32 s13, 0
	s_mov_b32 s14, exec_lo
	s_wait_loadcnt 0x0
	v_cmpx_lt_i16_e32 0x7f, v1
	s_xor_b32 s14, exec_lo, s14
	s_cbranch_execz .LBB14_1232
; %bb.1213:
	s_mov_b32 s13, -1
	s_mov_b32 s15, exec_lo
	v_cmpx_eq_u16_e32 0x80, v1
; %bb.1214:
	s_xor_b32 s13, exec_lo, -1
; %bb.1215:
	s_or_b32 exec_lo, exec_lo, s15
	s_delay_alu instid0(SALU_CYCLE_1)
	s_and_b32 s13, s13, exec_lo
	s_or_saveexec_b32 s14, s14
	v_mov_b32_e32 v6, 0x7f800001
	s_xor_b32 exec_lo, exec_lo, s14
	s_cbranch_execnz .LBB14_1233
.LBB14_1216:
	s_or_b32 exec_lo, exec_lo, s14
	s_and_saveexec_b32 s14, s13
	s_cbranch_execz .LBB14_1218
.LBB14_1217:
	v_and_b32_e32 v6, 0xffff, v1
	s_delay_alu instid0(VALU_DEP_1) | instskip(SKIP_1) | instid1(VALU_DEP_2)
	v_and_b32_e32 v7, 7, v6
	v_bfe_u32 v13, v6, 3, 4
	v_clz_i32_u32_e32 v8, v7
	s_delay_alu instid0(VALU_DEP_2) | instskip(NEXT) | instid1(VALU_DEP_2)
	v_cmp_eq_u32_e32 vcc_lo, 0, v13
	v_min_u32_e32 v8, 32, v8
	s_delay_alu instid0(VALU_DEP_1) | instskip(NEXT) | instid1(VALU_DEP_1)
	v_subrev_nc_u32_e32 v12, 28, v8
	v_dual_lshlrev_b32 v6, v12, v6 :: v_dual_sub_nc_u32 v8, 29, v8
	s_delay_alu instid0(VALU_DEP_1) | instskip(NEXT) | instid1(VALU_DEP_1)
	v_dual_lshlrev_b32 v1, 24, v1 :: v_dual_bitop2_b32 v6, 7, v6 bitop3:0x40
	v_dual_cndmask_b32 v8, v13, v8, vcc_lo :: v_dual_cndmask_b32 v6, v7, v6, vcc_lo
	s_delay_alu instid0(VALU_DEP_2) | instskip(NEXT) | instid1(VALU_DEP_2)
	v_and_b32_e32 v1, 0x80000000, v1
	v_lshl_add_u32 v7, v8, 23, 0x3b800000
	s_delay_alu instid0(VALU_DEP_3) | instskip(NEXT) | instid1(VALU_DEP_1)
	v_lshlrev_b32_e32 v6, 20, v6
	v_or3_b32 v6, v1, v7, v6
.LBB14_1218:
	s_or_b32 exec_lo, exec_lo, s14
.LBB14_1219:
	s_mov_b32 s13, -1
.LBB14_1220:
	s_branch .LBB14_1253
.LBB14_1221:
	s_cmp_gt_i32 s10, 22
	s_cbranch_scc0 .LBB14_1231
; %bb.1222:
	s_cmp_lt_i32 s10, 24
	s_cbranch_scc1 .LBB14_1234
; %bb.1223:
	s_cmp_gt_i32 s10, 24
	s_cbranch_scc0 .LBB14_1235
; %bb.1224:
	global_load_u8 v1, v[2:3], off
	s_mov_b32 s13, exec_lo
	s_wait_loadcnt 0x0
	v_cmpx_lt_i16_e32 0x7f, v1
	s_xor_b32 s13, exec_lo, s13
	s_cbranch_execz .LBB14_1247
; %bb.1225:
	s_mov_b32 s1, -1
	s_mov_b32 s14, exec_lo
	v_cmpx_eq_u16_e32 0x80, v1
; %bb.1226:
	s_xor_b32 s1, exec_lo, -1
; %bb.1227:
	s_or_b32 exec_lo, exec_lo, s14
	s_delay_alu instid0(SALU_CYCLE_1)
	s_and_b32 s1, s1, exec_lo
	s_or_saveexec_b32 s13, s13
	v_mov_b32_e32 v6, 0x7f800001
	s_xor_b32 exec_lo, exec_lo, s13
	s_cbranch_execnz .LBB14_1248
.LBB14_1228:
	s_or_b32 exec_lo, exec_lo, s13
	s_and_saveexec_b32 s13, s1
	s_cbranch_execz .LBB14_1230
.LBB14_1229:
	v_and_b32_e32 v6, 0xffff, v1
	s_delay_alu instid0(VALU_DEP_1) | instskip(SKIP_1) | instid1(VALU_DEP_2)
	v_and_b32_e32 v7, 3, v6
	v_bfe_u32 v13, v6, 2, 5
	v_clz_i32_u32_e32 v8, v7
	s_delay_alu instid0(VALU_DEP_2) | instskip(NEXT) | instid1(VALU_DEP_2)
	v_cmp_eq_u32_e32 vcc_lo, 0, v13
	v_min_u32_e32 v8, 32, v8
	s_delay_alu instid0(VALU_DEP_1) | instskip(NEXT) | instid1(VALU_DEP_1)
	v_subrev_nc_u32_e32 v12, 29, v8
	v_dual_lshlrev_b32 v6, v12, v6 :: v_dual_sub_nc_u32 v8, 30, v8
	s_delay_alu instid0(VALU_DEP_1) | instskip(NEXT) | instid1(VALU_DEP_1)
	v_dual_lshlrev_b32 v1, 24, v1 :: v_dual_bitop2_b32 v6, 3, v6 bitop3:0x40
	v_dual_cndmask_b32 v8, v13, v8, vcc_lo :: v_dual_cndmask_b32 v6, v7, v6, vcc_lo
	s_delay_alu instid0(VALU_DEP_2) | instskip(NEXT) | instid1(VALU_DEP_2)
	v_and_b32_e32 v1, 0x80000000, v1
	v_lshl_add_u32 v7, v8, 23, 0x37800000
	s_delay_alu instid0(VALU_DEP_3) | instskip(NEXT) | instid1(VALU_DEP_1)
	v_lshlrev_b32_e32 v6, 21, v6
	v_or3_b32 v6, v1, v7, v6
.LBB14_1230:
	s_or_b32 exec_lo, exec_lo, s13
	s_mov_b32 s1, 0
	s_branch .LBB14_1236
.LBB14_1231:
	s_mov_b32 s1, -1
                                        ; implicit-def: $vgpr6
	s_branch .LBB14_1242
.LBB14_1232:
	s_or_saveexec_b32 s14, s14
	v_mov_b32_e32 v6, 0x7f800001
	s_xor_b32 exec_lo, exec_lo, s14
	s_cbranch_execz .LBB14_1216
.LBB14_1233:
	v_cmp_ne_u16_e32 vcc_lo, 0, v1
	v_mov_b32_e32 v6, 0
	s_and_not1_b32 s13, s13, exec_lo
	s_and_b32 s15, vcc_lo, exec_lo
	s_delay_alu instid0(SALU_CYCLE_1)
	s_or_b32 s13, s13, s15
	s_or_b32 exec_lo, exec_lo, s14
	s_and_saveexec_b32 s14, s13
	s_cbranch_execnz .LBB14_1217
	s_branch .LBB14_1218
.LBB14_1234:
	s_mov_b32 s1, -1
                                        ; implicit-def: $vgpr6
	s_branch .LBB14_1239
.LBB14_1235:
	s_mov_b32 s1, -1
                                        ; implicit-def: $vgpr6
.LBB14_1236:
	s_delay_alu instid0(SALU_CYCLE_1)
	s_and_b32 vcc_lo, exec_lo, s1
	s_cbranch_vccz .LBB14_1238
; %bb.1237:
	global_load_u8 v1, v[2:3], off
	s_wait_loadcnt 0x0
	v_lshlrev_b32_e32 v1, 24, v1
	s_delay_alu instid0(VALU_DEP_1) | instskip(NEXT) | instid1(VALU_DEP_1)
	v_and_b32_e32 v6, 0x7f000000, v1
	v_clz_i32_u32_e32 v7, v6
	v_add_nc_u32_e32 v12, 0x1000000, v6
	v_cmp_ne_u32_e32 vcc_lo, 0, v6
	s_delay_alu instid0(VALU_DEP_3) | instskip(NEXT) | instid1(VALU_DEP_1)
	v_min_u32_e32 v7, 32, v7
	v_sub_nc_u32_e64 v7, v7, 4 clamp
	s_delay_alu instid0(VALU_DEP_1) | instskip(NEXT) | instid1(VALU_DEP_1)
	v_dual_lshlrev_b32 v8, v7, v6 :: v_dual_lshlrev_b32 v7, 23, v7
	v_lshrrev_b32_e32 v8, 4, v8
	s_delay_alu instid0(VALU_DEP_1) | instskip(NEXT) | instid1(VALU_DEP_1)
	v_dual_sub_nc_u32 v7, v8, v7 :: v_dual_ashrrev_i32 v8, 8, v12
	v_add_nc_u32_e32 v7, 0x3c000000, v7
	s_delay_alu instid0(VALU_DEP_1) | instskip(NEXT) | instid1(VALU_DEP_1)
	v_and_or_b32 v7, 0x7f800000, v8, v7
	v_cndmask_b32_e32 v6, 0, v7, vcc_lo
	s_delay_alu instid0(VALU_DEP_1)
	v_and_or_b32 v6, 0x80000000, v1, v6
.LBB14_1238:
	s_mov_b32 s1, 0
.LBB14_1239:
	s_delay_alu instid0(SALU_CYCLE_1)
	s_and_not1_b32 vcc_lo, exec_lo, s1
	s_cbranch_vccnz .LBB14_1241
; %bb.1240:
	global_load_u8 v1, v[2:3], off
	s_wait_loadcnt 0x0
	v_lshlrev_b32_e32 v6, 25, v1
	v_lshlrev_b16 v1, 8, v1
	s_delay_alu instid0(VALU_DEP_1) | instskip(SKIP_1) | instid1(VALU_DEP_2)
	v_and_or_b32 v8, 0x7f00, v1, 0.5
	v_bfe_i32 v1, v1, 0, 16
	v_dual_add_f32 v8, -0.5, v8 :: v_dual_lshrrev_b32 v7, 4, v6
	v_cmp_gt_u32_e32 vcc_lo, 0x8000000, v6
	s_delay_alu instid0(VALU_DEP_2) | instskip(NEXT) | instid1(VALU_DEP_1)
	v_or_b32_e32 v7, 0x70000000, v7
	v_mul_f32_e32 v7, 0x7800000, v7
	s_delay_alu instid0(VALU_DEP_1) | instskip(NEXT) | instid1(VALU_DEP_1)
	v_cndmask_b32_e32 v6, v7, v8, vcc_lo
	v_and_or_b32 v6, 0x80000000, v1, v6
.LBB14_1241:
	s_mov_b32 s1, 0
	s_mov_b32 s13, -1
.LBB14_1242:
	s_and_not1_b32 vcc_lo, exec_lo, s1
	s_mov_b32 s1, 0
	s_cbranch_vccnz .LBB14_1253
; %bb.1243:
	s_cmp_gt_i32 s10, 14
	s_cbranch_scc0 .LBB14_1246
; %bb.1244:
	s_cmp_eq_u32 s10, 15
	s_cbranch_scc0 .LBB14_1249
; %bb.1245:
	global_load_u16 v1, v[2:3], off
	s_mov_b32 s0, 0
	s_mov_b32 s13, -1
	s_wait_loadcnt 0x0
	v_lshlrev_b32_e32 v6, 16, v1
	s_branch .LBB14_1251
.LBB14_1246:
	s_mov_b32 s1, -1
	s_branch .LBB14_1250
.LBB14_1247:
	s_or_saveexec_b32 s13, s13
	v_mov_b32_e32 v6, 0x7f800001
	s_xor_b32 exec_lo, exec_lo, s13
	s_cbranch_execz .LBB14_1228
.LBB14_1248:
	v_cmp_ne_u16_e32 vcc_lo, 0, v1
	v_mov_b32_e32 v6, 0
	s_and_not1_b32 s1, s1, exec_lo
	s_and_b32 s14, vcc_lo, exec_lo
	s_delay_alu instid0(SALU_CYCLE_1)
	s_or_b32 s1, s1, s14
	s_or_b32 exec_lo, exec_lo, s13
	s_and_saveexec_b32 s13, s1
	s_cbranch_execnz .LBB14_1229
	s_branch .LBB14_1230
.LBB14_1249:
	s_mov_b32 s0, -1
.LBB14_1250:
                                        ; implicit-def: $vgpr6
.LBB14_1251:
	s_and_b32 vcc_lo, exec_lo, s1
	s_mov_b32 s1, 0
	s_cbranch_vccz .LBB14_1253
; %bb.1252:
	s_cmp_lg_u32 s10, 11
	s_mov_b32 s1, -1
	s_cselect_b32 s0, -1, 0
.LBB14_1253:
	s_delay_alu instid0(SALU_CYCLE_1)
	s_and_b32 vcc_lo, exec_lo, s0
	s_cbranch_vccnz .LBB14_1320
; %bb.1254:
	s_and_not1_b32 vcc_lo, exec_lo, s1
	s_cbranch_vccnz .LBB14_1256
.LBB14_1255:
	global_load_u8 v1, v[2:3], off
	s_mov_b32 s13, -1
	s_wait_loadcnt 0x0
	v_cmp_ne_u16_e32 vcc_lo, 0, v1
	v_cndmask_b32_e64 v6, 0, 1.0, vcc_lo
.LBB14_1256:
	s_branch .LBB14_1182
.LBB14_1257:
	s_cmp_lt_i32 s10, 5
	s_cbranch_scc1 .LBB14_1262
; %bb.1258:
	s_cmp_lt_i32 s10, 8
	s_cbranch_scc1 .LBB14_1263
; %bb.1259:
	s_cmp_lt_i32 s10, 9
	s_cbranch_scc1 .LBB14_1264
; %bb.1260:
	s_cmp_gt_i32 s10, 9
	s_cbranch_scc0 .LBB14_1265
; %bb.1261:
	global_load_b64 v[6:7], v[2:3], off
	s_mov_b32 s0, 0
	s_wait_loadcnt 0x0
	v_cvt_f32_f64_e32 v6, v[6:7]
	s_branch .LBB14_1266
.LBB14_1262:
                                        ; implicit-def: $vgpr6
	s_branch .LBB14_1284
.LBB14_1263:
	s_mov_b32 s0, -1
                                        ; implicit-def: $vgpr6
	s_branch .LBB14_1272
.LBB14_1264:
	s_mov_b32 s0, -1
                                        ; implicit-def: $vgpr6
	s_branch .LBB14_1269
.LBB14_1265:
	s_mov_b32 s0, -1
                                        ; implicit-def: $vgpr6
.LBB14_1266:
	s_delay_alu instid0(SALU_CYCLE_1)
	s_and_not1_b32 vcc_lo, exec_lo, s0
	s_cbranch_vccnz .LBB14_1268
; %bb.1267:
	global_load_b32 v6, v[2:3], off
.LBB14_1268:
	s_mov_b32 s0, 0
.LBB14_1269:
	s_delay_alu instid0(SALU_CYCLE_1)
	s_and_not1_b32 vcc_lo, exec_lo, s0
	s_cbranch_vccnz .LBB14_1271
; %bb.1270:
	global_load_b32 v1, v[2:3], off
	s_wait_loadcnt 0x0
	v_cvt_f32_f16_e32 v6, v1
.LBB14_1271:
	s_mov_b32 s0, 0
.LBB14_1272:
	s_delay_alu instid0(SALU_CYCLE_1)
	s_and_not1_b32 vcc_lo, exec_lo, s0
	s_cbranch_vccnz .LBB14_1283
; %bb.1273:
	s_cmp_lt_i32 s10, 6
	s_cbranch_scc1 .LBB14_1276
; %bb.1274:
	s_cmp_gt_i32 s10, 6
	s_cbranch_scc0 .LBB14_1277
; %bb.1275:
	s_wait_loadcnt 0x0
	global_load_b64 v[6:7], v[2:3], off
	s_mov_b32 s0, 0
	s_wait_loadcnt 0x0
	v_cvt_f32_f64_e32 v6, v[6:7]
	s_branch .LBB14_1278
.LBB14_1276:
	s_mov_b32 s0, -1
                                        ; implicit-def: $vgpr6
	s_branch .LBB14_1281
.LBB14_1277:
	s_mov_b32 s0, -1
                                        ; implicit-def: $vgpr6
.LBB14_1278:
	s_delay_alu instid0(SALU_CYCLE_1)
	s_and_not1_b32 vcc_lo, exec_lo, s0
	s_cbranch_vccnz .LBB14_1280
; %bb.1279:
	s_wait_loadcnt 0x0
	global_load_b32 v6, v[2:3], off
.LBB14_1280:
	s_mov_b32 s0, 0
.LBB14_1281:
	s_delay_alu instid0(SALU_CYCLE_1)
	s_and_not1_b32 vcc_lo, exec_lo, s0
	s_cbranch_vccnz .LBB14_1283
; %bb.1282:
	global_load_u16 v1, v[2:3], off
	s_wait_loadcnt 0x0
	v_cvt_f32_f16_e32 v6, v1
.LBB14_1283:
	s_cbranch_execnz .LBB14_1303
.LBB14_1284:
	s_cmp_lt_i32 s10, 2
	s_cbranch_scc1 .LBB14_1288
; %bb.1285:
	s_cmp_lt_i32 s10, 3
	s_cbranch_scc1 .LBB14_1289
; %bb.1286:
	s_cmp_gt_i32 s10, 3
	s_cbranch_scc0 .LBB14_1290
; %bb.1287:
	s_wait_loadcnt 0x0
	global_load_b64 v[6:7], v[2:3], off
	s_mov_b32 s0, 0
	s_wait_loadcnt 0x0
	v_xor_b32_e32 v1, v6, v7
	v_cls_i32_e32 v8, v7
	s_delay_alu instid0(VALU_DEP_2) | instskip(NEXT) | instid1(VALU_DEP_1)
	v_ashrrev_i32_e32 v1, 31, v1
	v_add_nc_u32_e32 v1, 32, v1
	s_delay_alu instid0(VALU_DEP_1) | instskip(NEXT) | instid1(VALU_DEP_1)
	v_add_min_u32_e64 v1, v8, -1, v1
	v_lshlrev_b64_e32 v[6:7], v1, v[6:7]
	v_sub_nc_u32_e32 v1, 32, v1
	s_delay_alu instid0(VALU_DEP_2) | instskip(NEXT) | instid1(VALU_DEP_1)
	v_min_u32_e32 v6, 1, v6
	v_or_b32_e32 v6, v7, v6
	s_delay_alu instid0(VALU_DEP_1) | instskip(NEXT) | instid1(VALU_DEP_1)
	v_cvt_f32_i32_e32 v6, v6
	v_ldexp_f32 v6, v6, v1
	s_branch .LBB14_1291
.LBB14_1288:
	s_mov_b32 s0, -1
                                        ; implicit-def: $vgpr6
	s_branch .LBB14_1297
.LBB14_1289:
	s_mov_b32 s0, -1
                                        ; implicit-def: $vgpr6
	s_branch .LBB14_1294
.LBB14_1290:
	s_mov_b32 s0, -1
                                        ; implicit-def: $vgpr6
.LBB14_1291:
	s_delay_alu instid0(SALU_CYCLE_1)
	s_and_not1_b32 vcc_lo, exec_lo, s0
	s_cbranch_vccnz .LBB14_1293
; %bb.1292:
	global_load_b32 v1, v[2:3], off
	s_wait_loadcnt 0x0
	v_cvt_f32_i32_e32 v6, v1
.LBB14_1293:
	s_mov_b32 s0, 0
.LBB14_1294:
	s_delay_alu instid0(SALU_CYCLE_1)
	s_and_not1_b32 vcc_lo, exec_lo, s0
	s_cbranch_vccnz .LBB14_1296
; %bb.1295:
	global_load_i16 v1, v[2:3], off
	s_wait_loadcnt 0x0
	v_cvt_f32_i32_e32 v6, v1
.LBB14_1296:
	s_mov_b32 s0, 0
.LBB14_1297:
	s_delay_alu instid0(SALU_CYCLE_1)
	s_and_not1_b32 vcc_lo, exec_lo, s0
	s_cbranch_vccnz .LBB14_1303
; %bb.1298:
	s_cmp_gt_i32 s10, 0
	s_mov_b32 s0, 0
	s_cbranch_scc0 .LBB14_1300
; %bb.1299:
	global_load_i8 v1, v[2:3], off
	s_wait_loadcnt 0x0
	v_cvt_f32_i32_e32 v6, v1
	s_branch .LBB14_1301
.LBB14_1300:
	s_mov_b32 s0, -1
                                        ; implicit-def: $vgpr6
.LBB14_1301:
	s_delay_alu instid0(SALU_CYCLE_1)
	s_and_not1_b32 vcc_lo, exec_lo, s0
	s_cbranch_vccnz .LBB14_1303
; %bb.1302:
	global_load_u8 v1, v[2:3], off
	s_wait_loadcnt 0x0
	v_cvt_f32_ubyte0_e32 v6, v1
.LBB14_1303:
.LBB14_1304:
	s_wait_loadcnt 0x0
	s_delay_alu instid0(VALU_DEP_1)
	v_and_b32_e32 v12, 0x7fffffff, v6
                                        ; implicit-def: $vgpr15
                                        ; implicit-def: $vgpr13
	s_mov_b32 s1, exec_lo
	s_wait_xcnt 0x0
	v_cmpx_ngt_f32_e64 0x48000000, |v6|
	s_xor_b32 s13, exec_lo, s1
	s_cbranch_execz .LBB14_1306
; %bb.1305:
	s_mov_b32 s0, 0x7fffff
	v_mov_b32_e32 v3, 0
	v_and_or_b32 v2, v12, s0, 0x800000
	s_mov_b64 s[0:1], 0xfe5163ab
	v_lshrrev_b32_e32 v1, 23, v12
	s_delay_alu instid0(VALU_DEP_2) | instskip(NEXT) | instid1(VALU_DEP_1)
	v_mul_u64_e32 v[14:15], s[0:1], v[2:3]
	v_dual_mov_b32 v16, v15 :: v_dual_mov_b32 v17, v3
	v_dual_mov_b32 v19, v3 :: v_dual_mov_b32 v21, v3
	v_mov_b32_e32 v23, v3
	s_delay_alu instid0(VALU_DEP_3) | instskip(NEXT) | instid1(VALU_DEP_1)
	v_mad_nc_u64_u32 v[16:17], 0x3c439041, v2, v[16:17]
	v_mov_b32_e32 v18, v17
	s_delay_alu instid0(VALU_DEP_1) | instskip(NEXT) | instid1(VALU_DEP_1)
	v_mad_nc_u64_u32 v[18:19], 0xdb629599, v2, v[18:19]
	v_mov_b32_e32 v20, v19
	s_delay_alu instid0(VALU_DEP_1) | instskip(NEXT) | instid1(VALU_DEP_1)
	;; [unrolled: 3-line block ×3, first 2 shown]
	v_mad_nc_u64_u32 v[22:23], 0xfc2757d1, v2, v[22:23]
	v_dual_mov_b32 v25, v3 :: v_dual_mov_b32 v24, v23
	s_delay_alu instid0(VALU_DEP_1) | instskip(NEXT) | instid1(VALU_DEP_1)
	v_mad_nc_u64_u32 v[24:25], 0x4e441529, v2, v[24:25]
	v_dual_mov_b32 v26, v25 :: v_dual_add_nc_u32 v1, 0xffffff88, v1
	s_delay_alu instid0(VALU_DEP_1) | instskip(SKIP_2) | instid1(VALU_DEP_2)
	v_cmp_lt_u32_e32 vcc_lo, 63, v1
	v_mov_b32_e32 v27, v3
	v_cndmask_b32_e64 v7, 0, 0xffffffc0, vcc_lo
	v_mad_nc_u64_u32 v[2:3], 0xa2f9836e, v2, v[26:27]
	v_dual_cndmask_b32 v8, v24, v20 :: v_dual_cndmask_b32 v13, v22, v18
	s_delay_alu instid0(VALU_DEP_3) | instskip(NEXT) | instid1(VALU_DEP_1)
	v_dual_cndmask_b32 v14, v18, v14 :: v_dual_add_nc_u32 v1, v7, v1
	v_cmp_lt_u32_e64 s0, 31, v1
	s_delay_alu instid0(VALU_DEP_4) | instskip(NEXT) | instid1(VALU_DEP_2)
	v_cndmask_b32_e32 v2, v2, v22, vcc_lo
	v_cndmask_b32_e64 v7, 0, 0xffffffe0, s0
	s_delay_alu instid0(VALU_DEP_1) | instskip(NEXT) | instid1(VALU_DEP_1)
	v_add_nc_u32_e32 v1, v7, v1
	v_cmp_lt_u32_e64 s1, 31, v1
	s_delay_alu instid0(VALU_DEP_1) | instskip(NEXT) | instid1(VALU_DEP_1)
	v_cndmask_b32_e64 v7, 0, 0xffffffe0, s1
	v_dual_add_nc_u32 v1, v7, v1 :: v_dual_cndmask_b32 v7, v20, v16, vcc_lo
	v_cndmask_b32_e32 v3, v3, v24, vcc_lo
	v_cndmask_b32_e64 v15, v2, v8, s0
	s_delay_alu instid0(VALU_DEP_3) | instskip(NEXT) | instid1(VALU_DEP_3)
	v_cmp_eq_u32_e32 vcc_lo, 0, v1
	v_dual_cndmask_b32 v2, v3, v2, s0 :: v_dual_cndmask_b32 v3, v8, v13, s0
	v_dual_cndmask_b32 v13, v13, v7, s0 :: v_dual_sub_nc_u32 v8, 32, v1
	s_delay_alu instid0(VALU_DEP_2) | instskip(NEXT) | instid1(VALU_DEP_3)
	v_cndmask_b32_e64 v2, v2, v15, s1
	v_cndmask_b32_e64 v15, v15, v3, s1
	s_delay_alu instid0(VALU_DEP_3) | instskip(NEXT) | instid1(VALU_DEP_2)
	v_cndmask_b32_e64 v3, v3, v13, s1
	v_alignbit_b32 v16, v2, v15, v8
	s_delay_alu instid0(VALU_DEP_2) | instskip(NEXT) | instid1(VALU_DEP_2)
	v_alignbit_b32 v17, v15, v3, v8
	v_cndmask_b32_e32 v1, v16, v2, vcc_lo
	s_delay_alu instid0(VALU_DEP_2) | instskip(NEXT) | instid1(VALU_DEP_2)
	v_dual_cndmask_b32 v2, v7, v14, s0 :: v_dual_cndmask_b32 v7, v17, v15, vcc_lo
	v_bfe_u32 v14, v1, 29, 1
	s_delay_alu instid0(VALU_DEP_1) | instskip(NEXT) | instid1(VALU_DEP_3)
	v_sub_nc_u32_e32 v15, 0, v14
	v_cndmask_b32_e64 v2, v13, v2, s1
	s_delay_alu instid0(VALU_DEP_4) | instskip(NEXT) | instid1(VALU_DEP_1)
	v_alignbit_b32 v13, v1, v7, 30
	v_xor_b32_e32 v13, v13, v15
	s_delay_alu instid0(VALU_DEP_3) | instskip(NEXT) | instid1(VALU_DEP_1)
	v_alignbit_b32 v8, v3, v2, v8
	v_cndmask_b32_e32 v3, v8, v3, vcc_lo
	s_delay_alu instid0(VALU_DEP_3) | instskip(NEXT) | instid1(VALU_DEP_2)
	v_clz_i32_u32_e32 v8, v13
	v_alignbit_b32 v7, v7, v3, 30
	s_delay_alu instid0(VALU_DEP_2) | instskip(SKIP_1) | instid1(VALU_DEP_2)
	v_min_u32_e32 v8, 32, v8
	v_alignbit_b32 v2, v3, v2, 30
	v_dual_sub_nc_u32 v7, 31, v8 :: v_dual_bitop2_b32 v3, v7, v15 bitop3:0x14
	s_delay_alu instid0(VALU_DEP_2) | instskip(SKIP_1) | instid1(VALU_DEP_3)
	v_dual_lshrrev_b32 v15, 29, v1 :: v_dual_bitop2_b32 v2, v2, v15 bitop3:0x14
	v_dual_lshlrev_b32 v16, 23, v8 :: v_dual_lshrrev_b32 v1, 30, v1
	v_alignbit_b32 v13, v13, v3, v7
	s_delay_alu instid0(VALU_DEP_3) | instskip(NEXT) | instid1(VALU_DEP_4)
	v_alignbit_b32 v2, v3, v2, v7
	v_lshlrev_b32_e32 v3, 31, v15
	s_delay_alu instid0(VALU_DEP_2) | instskip(NEXT) | instid1(VALU_DEP_2)
	v_alignbit_b32 v7, v13, v2, 9
	v_dual_lshrrev_b32 v13, 9, v13 :: v_dual_bitop2_b32 v15, 0.5, v3 bitop3:0x54
	v_or_b32_e32 v3, 0x33000000, v3
	s_delay_alu instid0(VALU_DEP_3) | instskip(NEXT) | instid1(VALU_DEP_3)
	v_clz_i32_u32_e32 v17, v7
	v_sub_nc_u32_e32 v15, v15, v16
	s_delay_alu instid0(VALU_DEP_2) | instskip(NEXT) | instid1(VALU_DEP_1)
	v_min_u32_e32 v16, 32, v17
	v_add_lshl_u32 v8, v16, v8, 23
	s_delay_alu instid0(VALU_DEP_3) | instskip(SKIP_1) | instid1(VALU_DEP_3)
	v_or_b32_e32 v13, v13, v15
	v_not_b32_e32 v15, v16
	v_sub_nc_u32_e32 v3, v3, v8
	s_delay_alu instid0(VALU_DEP_2) | instskip(NEXT) | instid1(VALU_DEP_4)
	v_alignbit_b32 v2, v7, v2, v15
	v_mul_f32_e32 v17, 0x3fc90fda, v13
	s_delay_alu instid0(VALU_DEP_2) | instskip(NEXT) | instid1(VALU_DEP_2)
	v_dual_add_nc_u32 v15, v14, v1 :: v_dual_lshrrev_b32 v2, 9, v2
	v_fma_f32 v7, 0x3fc90fda, v13, -v17
	s_delay_alu instid0(VALU_DEP_2) | instskip(NEXT) | instid1(VALU_DEP_2)
	v_or_b32_e32 v2, v3, v2
	v_fmamk_f32 v7, v13, 0x33a22168, v7
	s_delay_alu instid0(VALU_DEP_1) | instskip(NEXT) | instid1(VALU_DEP_1)
	v_fmac_f32_e32 v7, 0x3fc90fda, v2
	v_add_f32_e32 v13, v17, v7
.LBB14_1306:
	s_and_not1_saveexec_b32 s0, s13
; %bb.1307:
	v_mul_f32_e64 v1, 0x3f22f983, |v6|
	s_delay_alu instid0(VALU_DEP_1) | instskip(NEXT) | instid1(VALU_DEP_1)
	v_rndne_f32_e32 v1, v1
	v_fma_f32 v2, 0xbfc90fda, v1, |v6|
	v_cvt_i32_f32_e32 v15, v1
	s_delay_alu instid0(VALU_DEP_2) | instskip(NEXT) | instid1(VALU_DEP_1)
	v_fmamk_f32 v2, v1, 0xb3a22168, v2
	v_fmamk_f32 v13, v1, 0xa7c234c4, v2
; %bb.1308:
	s_or_b32 exec_lo, exec_lo, s0
	v_add_nc_u32_e32 v0, s3, v0
	s_cmp_lt_i32 s10, 11
	s_delay_alu instid0(VALU_DEP_1) | instskip(NEXT) | instid1(VALU_DEP_1)
	v_ashrrev_i32_e32 v1, 31, v0
	v_add_nc_u64_e32 v[2:3], s[6:7], v[0:1]
	s_cbranch_scc1 .LBB14_1315
; %bb.1309:
	s_cmp_gt_i32 s10, 25
	s_mov_b32 s1, 0
	s_cbranch_scc0 .LBB14_1317
; %bb.1310:
	s_cmp_gt_i32 s10, 28
	s_cbranch_scc0 .LBB14_1318
; %bb.1311:
	s_cmp_gt_i32 s10, 43
	s_cbranch_scc0 .LBB14_1319
; %bb.1312:
	s_cmp_gt_i32 s10, 45
	s_cbranch_scc0 .LBB14_1321
; %bb.1313:
	s_cmp_eq_u32 s10, 46
	s_mov_b32 s14, 0
	s_cbranch_scc0 .LBB14_1322
; %bb.1314:
	global_load_b32 v1, v[2:3], off
	s_mov_b32 s0, 0
	s_mov_b32 s13, -1
	s_wait_loadcnt 0x0
	v_lshlrev_b32_e32 v7, 16, v1
	s_branch .LBB14_1324
.LBB14_1315:
	s_mov_b32 s13, 0
                                        ; implicit-def: $vgpr7
	s_cbranch_execnz .LBB14_1390
.LBB14_1316:
	s_and_not1_b32 vcc_lo, exec_lo, s13
	s_cbranch_vccz .LBB14_1438
	s_branch .LBB14_2007
.LBB14_1317:
	s_mov_b32 s14, -1
	s_mov_b32 s13, 0
	s_mov_b32 s0, 0
                                        ; implicit-def: $vgpr7
	s_branch .LBB14_1353
.LBB14_1318:
	s_mov_b32 s14, -1
	s_mov_b32 s13, 0
	s_mov_b32 s0, 0
                                        ; implicit-def: $vgpr7
	s_branch .LBB14_1334
.LBB14_1319:
	s_mov_b32 s14, -1
	s_mov_b32 s13, 0
	s_mov_b32 s0, 0
                                        ; implicit-def: $vgpr7
	s_branch .LBB14_1329
.LBB14_1320:
	s_or_b32 s9, s9, exec_lo
	s_trap 2
	s_cbranch_execz .LBB14_1255
	s_branch .LBB14_1256
.LBB14_1321:
	s_mov_b32 s14, -1
	s_mov_b32 s13, 0
	s_mov_b32 s0, 0
	s_branch .LBB14_1323
.LBB14_1322:
	s_mov_b32 s0, -1
	s_mov_b32 s13, 0
.LBB14_1323:
                                        ; implicit-def: $vgpr7
.LBB14_1324:
	s_and_b32 vcc_lo, exec_lo, s14
	s_cbranch_vccz .LBB14_1328
; %bb.1325:
	s_cmp_eq_u32 s10, 44
	s_cbranch_scc0 .LBB14_1327
; %bb.1326:
	global_load_u8 v1, v[2:3], off
	s_mov_b32 s0, 0
	s_mov_b32 s13, -1
	s_wait_loadcnt 0x0
	v_lshlrev_b32_e32 v7, 23, v1
	v_cmp_ne_u32_e32 vcc_lo, 0xff, v1
	s_delay_alu instid0(VALU_DEP_2) | instskip(SKIP_1) | instid1(VALU_DEP_2)
	v_cndmask_b32_e32 v7, 0x7f800001, v7, vcc_lo
	v_cmp_ne_u32_e32 vcc_lo, 0, v1
	v_cndmask_b32_e32 v7, 0x400000, v7, vcc_lo
	s_branch .LBB14_1328
.LBB14_1327:
	s_mov_b32 s0, -1
                                        ; implicit-def: $vgpr7
.LBB14_1328:
	s_mov_b32 s14, 0
.LBB14_1329:
	s_delay_alu instid0(SALU_CYCLE_1)
	s_and_b32 vcc_lo, exec_lo, s14
	s_cbranch_vccz .LBB14_1333
; %bb.1330:
	s_cmp_eq_u32 s10, 29
	s_cbranch_scc0 .LBB14_1332
; %bb.1331:
	global_load_b64 v[16:17], v[2:3], off
	s_mov_b32 s0, 0
	s_mov_b32 s13, -1
	s_mov_b32 s14, 0
	s_wait_loadcnt 0x0
	v_clz_i32_u32_e32 v1, v17
	s_delay_alu instid0(VALU_DEP_1) | instskip(NEXT) | instid1(VALU_DEP_1)
	v_min_u32_e32 v1, 32, v1
	v_lshlrev_b64_e32 v[16:17], v1, v[16:17]
	v_sub_nc_u32_e32 v1, 32, v1
	s_delay_alu instid0(VALU_DEP_2) | instskip(NEXT) | instid1(VALU_DEP_1)
	v_min_u32_e32 v7, 1, v16
	v_or_b32_e32 v7, v17, v7
	s_delay_alu instid0(VALU_DEP_1) | instskip(NEXT) | instid1(VALU_DEP_1)
	v_cvt_f32_u32_e32 v7, v7
	v_ldexp_f32 v7, v7, v1
	s_branch .LBB14_1334
.LBB14_1332:
	s_mov_b32 s0, -1
                                        ; implicit-def: $vgpr7
.LBB14_1333:
	s_mov_b32 s14, 0
.LBB14_1334:
	s_delay_alu instid0(SALU_CYCLE_1)
	s_and_b32 vcc_lo, exec_lo, s14
	s_cbranch_vccz .LBB14_1352
; %bb.1335:
	s_cmp_lt_i32 s10, 27
	s_cbranch_scc1 .LBB14_1338
; %bb.1336:
	s_cmp_gt_i32 s10, 27
	s_cbranch_scc0 .LBB14_1339
; %bb.1337:
	global_load_b32 v1, v[2:3], off
	s_mov_b32 s13, 0
	s_wait_loadcnt 0x0
	v_cvt_f32_u32_e32 v7, v1
	s_branch .LBB14_1340
.LBB14_1338:
	s_mov_b32 s13, -1
                                        ; implicit-def: $vgpr7
	s_branch .LBB14_1343
.LBB14_1339:
	s_mov_b32 s13, -1
                                        ; implicit-def: $vgpr7
.LBB14_1340:
	s_delay_alu instid0(SALU_CYCLE_1)
	s_and_not1_b32 vcc_lo, exec_lo, s13
	s_cbranch_vccnz .LBB14_1342
; %bb.1341:
	global_load_u16 v1, v[2:3], off
	s_wait_loadcnt 0x0
	v_cvt_f32_u32_e32 v7, v1
.LBB14_1342:
	s_mov_b32 s13, 0
.LBB14_1343:
	s_delay_alu instid0(SALU_CYCLE_1)
	s_and_not1_b32 vcc_lo, exec_lo, s13
	s_cbranch_vccnz .LBB14_1351
; %bb.1344:
	global_load_u8 v1, v[2:3], off
	s_mov_b32 s13, 0
	s_mov_b32 s14, exec_lo
	s_wait_loadcnt 0x0
	v_cmpx_lt_i16_e32 0x7f, v1
	s_xor_b32 s14, exec_lo, s14
	s_cbranch_execz .LBB14_1365
; %bb.1345:
	s_mov_b32 s13, -1
	s_mov_b32 s15, exec_lo
	v_cmpx_eq_u16_e32 0x80, v1
; %bb.1346:
	s_xor_b32 s13, exec_lo, -1
; %bb.1347:
	s_or_b32 exec_lo, exec_lo, s15
	s_delay_alu instid0(SALU_CYCLE_1)
	s_and_b32 s13, s13, exec_lo
	s_or_saveexec_b32 s14, s14
	v_mov_b32_e32 v7, 0x7f800001
	s_xor_b32 exec_lo, exec_lo, s14
	s_cbranch_execnz .LBB14_1366
.LBB14_1348:
	s_or_b32 exec_lo, exec_lo, s14
	s_and_saveexec_b32 s14, s13
	s_cbranch_execz .LBB14_1350
.LBB14_1349:
	v_and_b32_e32 v7, 0xffff, v1
	s_delay_alu instid0(VALU_DEP_1) | instskip(SKIP_1) | instid1(VALU_DEP_2)
	v_and_b32_e32 v8, 7, v7
	v_bfe_u32 v17, v7, 3, 4
	v_clz_i32_u32_e32 v14, v8
	s_delay_alu instid0(VALU_DEP_2) | instskip(NEXT) | instid1(VALU_DEP_2)
	v_cmp_eq_u32_e32 vcc_lo, 0, v17
	v_min_u32_e32 v14, 32, v14
	s_delay_alu instid0(VALU_DEP_1) | instskip(NEXT) | instid1(VALU_DEP_1)
	v_subrev_nc_u32_e32 v16, 28, v14
	v_dual_lshlrev_b32 v7, v16, v7 :: v_dual_sub_nc_u32 v14, 29, v14
	s_delay_alu instid0(VALU_DEP_1) | instskip(NEXT) | instid1(VALU_DEP_1)
	v_dual_lshlrev_b32 v1, 24, v1 :: v_dual_bitop2_b32 v7, 7, v7 bitop3:0x40
	v_dual_cndmask_b32 v14, v17, v14 :: v_dual_cndmask_b32 v7, v8, v7
	s_delay_alu instid0(VALU_DEP_2) | instskip(NEXT) | instid1(VALU_DEP_2)
	v_and_b32_e32 v1, 0x80000000, v1
	v_lshl_add_u32 v8, v14, 23, 0x3b800000
	s_delay_alu instid0(VALU_DEP_3) | instskip(NEXT) | instid1(VALU_DEP_1)
	v_lshlrev_b32_e32 v7, 20, v7
	v_or3_b32 v7, v1, v8, v7
.LBB14_1350:
	s_or_b32 exec_lo, exec_lo, s14
.LBB14_1351:
	s_mov_b32 s13, -1
.LBB14_1352:
	s_mov_b32 s14, 0
.LBB14_1353:
	s_delay_alu instid0(SALU_CYCLE_1)
	s_and_b32 vcc_lo, exec_lo, s14
	s_cbranch_vccz .LBB14_1386
; %bb.1354:
	s_cmp_gt_i32 s10, 22
	s_cbranch_scc0 .LBB14_1364
; %bb.1355:
	s_cmp_lt_i32 s10, 24
	s_cbranch_scc1 .LBB14_1367
; %bb.1356:
	s_cmp_gt_i32 s10, 24
	s_cbranch_scc0 .LBB14_1368
; %bb.1357:
	global_load_u8 v1, v[2:3], off
	s_mov_b32 s13, exec_lo
	s_wait_loadcnt 0x0
	v_cmpx_lt_i16_e32 0x7f, v1
	s_xor_b32 s13, exec_lo, s13
	s_cbranch_execz .LBB14_1380
; %bb.1358:
	s_mov_b32 s1, -1
	s_mov_b32 s14, exec_lo
	v_cmpx_eq_u16_e32 0x80, v1
; %bb.1359:
	s_xor_b32 s1, exec_lo, -1
; %bb.1360:
	s_or_b32 exec_lo, exec_lo, s14
	s_delay_alu instid0(SALU_CYCLE_1)
	s_and_b32 s1, s1, exec_lo
	s_or_saveexec_b32 s13, s13
	v_mov_b32_e32 v7, 0x7f800001
	s_xor_b32 exec_lo, exec_lo, s13
	s_cbranch_execnz .LBB14_1381
.LBB14_1361:
	s_or_b32 exec_lo, exec_lo, s13
	s_and_saveexec_b32 s13, s1
	s_cbranch_execz .LBB14_1363
.LBB14_1362:
	v_and_b32_e32 v7, 0xffff, v1
	s_delay_alu instid0(VALU_DEP_1) | instskip(SKIP_1) | instid1(VALU_DEP_2)
	v_and_b32_e32 v8, 3, v7
	v_bfe_u32 v17, v7, 2, 5
	v_clz_i32_u32_e32 v14, v8
	s_delay_alu instid0(VALU_DEP_2) | instskip(NEXT) | instid1(VALU_DEP_2)
	v_cmp_eq_u32_e32 vcc_lo, 0, v17
	v_min_u32_e32 v14, 32, v14
	s_delay_alu instid0(VALU_DEP_1) | instskip(NEXT) | instid1(VALU_DEP_1)
	v_subrev_nc_u32_e32 v16, 29, v14
	v_dual_lshlrev_b32 v7, v16, v7 :: v_dual_sub_nc_u32 v14, 30, v14
	s_delay_alu instid0(VALU_DEP_1) | instskip(NEXT) | instid1(VALU_DEP_1)
	v_dual_lshlrev_b32 v1, 24, v1 :: v_dual_bitop2_b32 v7, 3, v7 bitop3:0x40
	v_dual_cndmask_b32 v14, v17, v14 :: v_dual_cndmask_b32 v7, v8, v7
	s_delay_alu instid0(VALU_DEP_2) | instskip(NEXT) | instid1(VALU_DEP_2)
	v_and_b32_e32 v1, 0x80000000, v1
	v_lshl_add_u32 v8, v14, 23, 0x37800000
	s_delay_alu instid0(VALU_DEP_3) | instskip(NEXT) | instid1(VALU_DEP_1)
	v_lshlrev_b32_e32 v7, 21, v7
	v_or3_b32 v7, v1, v8, v7
.LBB14_1363:
	s_or_b32 exec_lo, exec_lo, s13
	s_mov_b32 s1, 0
	s_branch .LBB14_1369
.LBB14_1364:
	s_mov_b32 s1, -1
                                        ; implicit-def: $vgpr7
	s_branch .LBB14_1375
.LBB14_1365:
	s_or_saveexec_b32 s14, s14
	v_mov_b32_e32 v7, 0x7f800001
	s_xor_b32 exec_lo, exec_lo, s14
	s_cbranch_execz .LBB14_1348
.LBB14_1366:
	v_cmp_ne_u16_e32 vcc_lo, 0, v1
	v_mov_b32_e32 v7, 0
	s_and_not1_b32 s13, s13, exec_lo
	s_and_b32 s15, vcc_lo, exec_lo
	s_delay_alu instid0(SALU_CYCLE_1)
	s_or_b32 s13, s13, s15
	s_or_b32 exec_lo, exec_lo, s14
	s_and_saveexec_b32 s14, s13
	s_cbranch_execnz .LBB14_1349
	s_branch .LBB14_1350
.LBB14_1367:
	s_mov_b32 s1, -1
                                        ; implicit-def: $vgpr7
	s_branch .LBB14_1372
.LBB14_1368:
	s_mov_b32 s1, -1
                                        ; implicit-def: $vgpr7
.LBB14_1369:
	s_delay_alu instid0(SALU_CYCLE_1)
	s_and_b32 vcc_lo, exec_lo, s1
	s_cbranch_vccz .LBB14_1371
; %bb.1370:
	global_load_u8 v1, v[2:3], off
	s_wait_loadcnt 0x0
	v_lshlrev_b32_e32 v1, 24, v1
	s_delay_alu instid0(VALU_DEP_1) | instskip(NEXT) | instid1(VALU_DEP_1)
	v_and_b32_e32 v7, 0x7f000000, v1
	v_clz_i32_u32_e32 v8, v7
	v_cmp_ne_u32_e32 vcc_lo, 0, v7
	v_add_nc_u32_e32 v16, 0x1000000, v7
	s_delay_alu instid0(VALU_DEP_3) | instskip(NEXT) | instid1(VALU_DEP_1)
	v_min_u32_e32 v8, 32, v8
	v_sub_nc_u32_e64 v8, v8, 4 clamp
	s_delay_alu instid0(VALU_DEP_1) | instskip(NEXT) | instid1(VALU_DEP_1)
	v_dual_lshlrev_b32 v14, v8, v7 :: v_dual_lshlrev_b32 v8, 23, v8
	v_lshrrev_b32_e32 v14, 4, v14
	s_delay_alu instid0(VALU_DEP_1) | instskip(SKIP_1) | instid1(VALU_DEP_2)
	v_sub_nc_u32_e32 v8, v14, v8
	v_ashrrev_i32_e32 v14, 8, v16
	v_add_nc_u32_e32 v8, 0x3c000000, v8
	s_delay_alu instid0(VALU_DEP_1) | instskip(NEXT) | instid1(VALU_DEP_1)
	v_and_or_b32 v8, 0x7f800000, v14, v8
	v_cndmask_b32_e32 v7, 0, v8, vcc_lo
	s_delay_alu instid0(VALU_DEP_1)
	v_and_or_b32 v7, 0x80000000, v1, v7
.LBB14_1371:
	s_mov_b32 s1, 0
.LBB14_1372:
	s_delay_alu instid0(SALU_CYCLE_1)
	s_and_not1_b32 vcc_lo, exec_lo, s1
	s_cbranch_vccnz .LBB14_1374
; %bb.1373:
	global_load_u8 v1, v[2:3], off
	s_wait_loadcnt 0x0
	v_lshlrev_b32_e32 v7, 25, v1
	v_lshlrev_b16 v1, 8, v1
	s_delay_alu instid0(VALU_DEP_1) | instskip(SKIP_1) | instid1(VALU_DEP_2)
	v_and_or_b32 v14, 0x7f00, v1, 0.5
	v_bfe_i32 v1, v1, 0, 16
	v_dual_add_f32 v14, -0.5, v14 :: v_dual_lshrrev_b32 v8, 4, v7
	v_cmp_gt_u32_e32 vcc_lo, 0x8000000, v7
	s_delay_alu instid0(VALU_DEP_2) | instskip(NEXT) | instid1(VALU_DEP_1)
	v_or_b32_e32 v8, 0x70000000, v8
	v_mul_f32_e32 v8, 0x7800000, v8
	s_delay_alu instid0(VALU_DEP_1) | instskip(NEXT) | instid1(VALU_DEP_1)
	v_cndmask_b32_e32 v7, v8, v14, vcc_lo
	v_and_or_b32 v7, 0x80000000, v1, v7
.LBB14_1374:
	s_mov_b32 s1, 0
	s_mov_b32 s13, -1
.LBB14_1375:
	s_and_not1_b32 vcc_lo, exec_lo, s1
	s_mov_b32 s1, 0
	s_cbranch_vccnz .LBB14_1386
; %bb.1376:
	s_cmp_gt_i32 s10, 14
	s_cbranch_scc0 .LBB14_1379
; %bb.1377:
	s_cmp_eq_u32 s10, 15
	s_cbranch_scc0 .LBB14_1382
; %bb.1378:
	global_load_u16 v1, v[2:3], off
	s_mov_b32 s0, 0
	s_mov_b32 s13, -1
	s_wait_loadcnt 0x0
	v_lshlrev_b32_e32 v7, 16, v1
	s_branch .LBB14_1384
.LBB14_1379:
	s_mov_b32 s1, -1
	s_branch .LBB14_1383
.LBB14_1380:
	s_or_saveexec_b32 s13, s13
	v_mov_b32_e32 v7, 0x7f800001
	s_xor_b32 exec_lo, exec_lo, s13
	s_cbranch_execz .LBB14_1361
.LBB14_1381:
	v_cmp_ne_u16_e32 vcc_lo, 0, v1
	v_mov_b32_e32 v7, 0
	s_and_not1_b32 s1, s1, exec_lo
	s_and_b32 s14, vcc_lo, exec_lo
	s_delay_alu instid0(SALU_CYCLE_1)
	s_or_b32 s1, s1, s14
	s_or_b32 exec_lo, exec_lo, s13
	s_and_saveexec_b32 s13, s1
	s_cbranch_execnz .LBB14_1362
	s_branch .LBB14_1363
.LBB14_1382:
	s_mov_b32 s0, -1
.LBB14_1383:
                                        ; implicit-def: $vgpr7
.LBB14_1384:
	s_and_b32 vcc_lo, exec_lo, s1
	s_mov_b32 s1, 0
	s_cbranch_vccz .LBB14_1386
; %bb.1385:
	s_cmp_lg_u32 s10, 11
	s_mov_b32 s1, -1
	s_cselect_b32 s0, -1, 0
.LBB14_1386:
	s_delay_alu instid0(SALU_CYCLE_1)
	s_and_b32 vcc_lo, exec_lo, s0
	s_cbranch_vccnz .LBB14_1453
; %bb.1387:
	s_and_not1_b32 vcc_lo, exec_lo, s1
	s_cbranch_vccnz .LBB14_1389
.LBB14_1388:
	global_load_u8 v1, v[2:3], off
	s_mov_b32 s13, -1
	s_wait_loadcnt 0x0
	v_cmp_ne_u16_e32 vcc_lo, 0, v1
	v_cndmask_b32_e64 v7, 0, 1.0, vcc_lo
.LBB14_1389:
	s_branch .LBB14_1316
.LBB14_1390:
	s_cmp_lt_i32 s10, 5
	s_cbranch_scc1 .LBB14_1395
; %bb.1391:
	s_cmp_lt_i32 s10, 8
	s_cbranch_scc1 .LBB14_1396
; %bb.1392:
	;; [unrolled: 3-line block ×3, first 2 shown]
	s_cmp_gt_i32 s10, 9
	s_cbranch_scc0 .LBB14_1398
; %bb.1394:
	global_load_b64 v[16:17], v[2:3], off
	s_mov_b32 s0, 0
	s_wait_loadcnt 0x0
	v_cvt_f32_f64_e32 v7, v[16:17]
	s_branch .LBB14_1399
.LBB14_1395:
	s_mov_b32 s0, -1
                                        ; implicit-def: $vgpr7
	s_branch .LBB14_1417
.LBB14_1396:
	s_mov_b32 s0, -1
                                        ; implicit-def: $vgpr7
	s_branch .LBB14_1405
.LBB14_1397:
	s_mov_b32 s0, -1
                                        ; implicit-def: $vgpr7
	s_branch .LBB14_1402
.LBB14_1398:
	s_mov_b32 s0, -1
                                        ; implicit-def: $vgpr7
.LBB14_1399:
	s_delay_alu instid0(SALU_CYCLE_1)
	s_and_not1_b32 vcc_lo, exec_lo, s0
	s_cbranch_vccnz .LBB14_1401
; %bb.1400:
	global_load_b32 v7, v[2:3], off
.LBB14_1401:
	s_mov_b32 s0, 0
.LBB14_1402:
	s_delay_alu instid0(SALU_CYCLE_1)
	s_and_not1_b32 vcc_lo, exec_lo, s0
	s_cbranch_vccnz .LBB14_1404
; %bb.1403:
	global_load_b32 v1, v[2:3], off
	s_wait_loadcnt 0x0
	v_cvt_f32_f16_e32 v7, v1
.LBB14_1404:
	s_mov_b32 s0, 0
.LBB14_1405:
	s_delay_alu instid0(SALU_CYCLE_1)
	s_and_not1_b32 vcc_lo, exec_lo, s0
	s_cbranch_vccnz .LBB14_1416
; %bb.1406:
	s_cmp_lt_i32 s10, 6
	s_cbranch_scc1 .LBB14_1409
; %bb.1407:
	s_cmp_gt_i32 s10, 6
	s_cbranch_scc0 .LBB14_1410
; %bb.1408:
	global_load_b64 v[16:17], v[2:3], off
	s_mov_b32 s0, 0
	s_wait_loadcnt 0x0
	v_cvt_f32_f64_e32 v7, v[16:17]
	s_branch .LBB14_1411
.LBB14_1409:
	s_mov_b32 s0, -1
                                        ; implicit-def: $vgpr7
	s_branch .LBB14_1414
.LBB14_1410:
	s_mov_b32 s0, -1
                                        ; implicit-def: $vgpr7
.LBB14_1411:
	s_delay_alu instid0(SALU_CYCLE_1)
	s_and_not1_b32 vcc_lo, exec_lo, s0
	s_cbranch_vccnz .LBB14_1413
; %bb.1412:
	s_wait_loadcnt 0x0
	global_load_b32 v7, v[2:3], off
.LBB14_1413:
	s_mov_b32 s0, 0
.LBB14_1414:
	s_delay_alu instid0(SALU_CYCLE_1)
	s_and_not1_b32 vcc_lo, exec_lo, s0
	s_cbranch_vccnz .LBB14_1416
; %bb.1415:
	global_load_u16 v1, v[2:3], off
	s_wait_loadcnt 0x0
	v_cvt_f32_f16_e32 v7, v1
.LBB14_1416:
	s_mov_b32 s0, 0
.LBB14_1417:
	s_delay_alu instid0(SALU_CYCLE_1)
	s_and_not1_b32 vcc_lo, exec_lo, s0
	s_cbranch_vccnz .LBB14_1437
; %bb.1418:
	s_cmp_lt_i32 s10, 2
	s_cbranch_scc1 .LBB14_1422
; %bb.1419:
	s_cmp_lt_i32 s10, 3
	s_cbranch_scc1 .LBB14_1423
; %bb.1420:
	s_cmp_gt_i32 s10, 3
	s_cbranch_scc0 .LBB14_1424
; %bb.1421:
	global_load_b64 v[16:17], v[2:3], off
	s_mov_b32 s0, 0
	s_wait_loadcnt 0x0
	v_xor_b32_e32 v1, v16, v17
	v_cls_i32_e32 v7, v17
	s_delay_alu instid0(VALU_DEP_2) | instskip(NEXT) | instid1(VALU_DEP_1)
	v_ashrrev_i32_e32 v1, 31, v1
	v_add_nc_u32_e32 v1, 32, v1
	s_delay_alu instid0(VALU_DEP_1) | instskip(NEXT) | instid1(VALU_DEP_1)
	v_add_min_u32_e64 v1, v7, -1, v1
	v_lshlrev_b64_e32 v[16:17], v1, v[16:17]
	v_sub_nc_u32_e32 v1, 32, v1
	s_delay_alu instid0(VALU_DEP_2) | instskip(NEXT) | instid1(VALU_DEP_1)
	v_min_u32_e32 v7, 1, v16
	v_or_b32_e32 v7, v17, v7
	s_delay_alu instid0(VALU_DEP_1) | instskip(NEXT) | instid1(VALU_DEP_1)
	v_cvt_f32_i32_e32 v7, v7
	v_ldexp_f32 v7, v7, v1
	s_branch .LBB14_1425
.LBB14_1422:
	s_mov_b32 s0, -1
                                        ; implicit-def: $vgpr7
	s_branch .LBB14_1431
.LBB14_1423:
	s_mov_b32 s0, -1
                                        ; implicit-def: $vgpr7
	s_branch .LBB14_1428
.LBB14_1424:
	s_mov_b32 s0, -1
                                        ; implicit-def: $vgpr7
.LBB14_1425:
	s_delay_alu instid0(SALU_CYCLE_1)
	s_and_not1_b32 vcc_lo, exec_lo, s0
	s_cbranch_vccnz .LBB14_1427
; %bb.1426:
	global_load_b32 v1, v[2:3], off
	s_wait_loadcnt 0x0
	v_cvt_f32_i32_e32 v7, v1
.LBB14_1427:
	s_mov_b32 s0, 0
.LBB14_1428:
	s_delay_alu instid0(SALU_CYCLE_1)
	s_and_not1_b32 vcc_lo, exec_lo, s0
	s_cbranch_vccnz .LBB14_1430
; %bb.1429:
	global_load_i16 v1, v[2:3], off
	s_wait_loadcnt 0x0
	v_cvt_f32_i32_e32 v7, v1
.LBB14_1430:
	s_mov_b32 s0, 0
.LBB14_1431:
	s_delay_alu instid0(SALU_CYCLE_1)
	s_and_not1_b32 vcc_lo, exec_lo, s0
	s_cbranch_vccnz .LBB14_1437
; %bb.1432:
	s_cmp_gt_i32 s10, 0
	s_mov_b32 s0, 0
	s_cbranch_scc0 .LBB14_1434
; %bb.1433:
	global_load_i8 v1, v[2:3], off
	s_wait_loadcnt 0x0
	v_cvt_f32_i32_e32 v7, v1
	s_branch .LBB14_1435
.LBB14_1434:
	s_mov_b32 s0, -1
                                        ; implicit-def: $vgpr7
.LBB14_1435:
	s_delay_alu instid0(SALU_CYCLE_1)
	s_and_not1_b32 vcc_lo, exec_lo, s0
	s_cbranch_vccnz .LBB14_1437
; %bb.1436:
	global_load_u8 v1, v[2:3], off
	s_wait_loadcnt 0x0
	v_cvt_f32_ubyte0_e32 v7, v1
.LBB14_1437:
.LBB14_1438:
	s_wait_loadcnt 0x0
	s_delay_alu instid0(VALU_DEP_1)
	v_and_b32_e32 v14, 0x7fffffff, v7
                                        ; implicit-def: $vgpr18
                                        ; implicit-def: $vgpr16
	s_mov_b32 s1, exec_lo
	s_wait_xcnt 0x0
	v_cmpx_ngt_f32_e64 0x48000000, |v7|
	s_xor_b32 s13, exec_lo, s1
	s_cbranch_execz .LBB14_1440
; %bb.1439:
	s_mov_b32 s0, 0x7fffff
	v_mov_b32_e32 v3, 0
	v_and_or_b32 v2, v14, s0, 0x800000
	s_mov_b64 s[0:1], 0xfe5163ab
	v_lshrrev_b32_e32 v1, 23, v14
	s_delay_alu instid0(VALU_DEP_2) | instskip(NEXT) | instid1(VALU_DEP_1)
	v_mul_u64_e32 v[16:17], s[0:1], v[2:3]
	v_dual_mov_b32 v18, v17 :: v_dual_mov_b32 v19, v3
	v_dual_mov_b32 v21, v3 :: v_dual_mov_b32 v23, v3
	;; [unrolled: 1-line block ×3, first 2 shown]
	s_delay_alu instid0(VALU_DEP_3) | instskip(NEXT) | instid1(VALU_DEP_1)
	v_mad_nc_u64_u32 v[18:19], 0x3c439041, v2, v[18:19]
	v_mov_b32_e32 v20, v19
	s_delay_alu instid0(VALU_DEP_1) | instskip(NEXT) | instid1(VALU_DEP_1)
	v_mad_nc_u64_u32 v[20:21], 0xdb629599, v2, v[20:21]
	v_mov_b32_e32 v22, v21
	s_delay_alu instid0(VALU_DEP_1) | instskip(NEXT) | instid1(VALU_DEP_1)
	;; [unrolled: 3-line block ×3, first 2 shown]
	v_mad_nc_u64_u32 v[24:25], 0xfc2757d1, v2, v[24:25]
	v_dual_mov_b32 v27, v3 :: v_dual_mov_b32 v26, v25
	s_delay_alu instid0(VALU_DEP_1) | instskip(NEXT) | instid1(VALU_DEP_1)
	v_mad_nc_u64_u32 v[26:27], 0x4e441529, v2, v[26:27]
	v_dual_mov_b32 v28, v27 :: v_dual_add_nc_u32 v1, 0xffffff88, v1
	s_delay_alu instid0(VALU_DEP_1) | instskip(NEXT) | instid1(VALU_DEP_2)
	v_cmp_lt_u32_e32 vcc_lo, 63, v1
	v_mad_nc_u64_u32 v[2:3], 0xa2f9836e, v2, v[28:29]
	v_cndmask_b32_e64 v8, 0, 0xffffffc0, vcc_lo
	v_dual_cndmask_b32 v19, v24, v20, vcc_lo :: v_dual_cndmask_b32 v17, v26, v22, vcc_lo
	v_cndmask_b32_e32 v16, v20, v16, vcc_lo
	s_delay_alu instid0(VALU_DEP_3) | instskip(NEXT) | instid1(VALU_DEP_1)
	v_add_nc_u32_e32 v1, v8, v1
	v_cmp_lt_u32_e64 s0, 31, v1
	v_dual_cndmask_b32 v2, v2, v24 :: v_dual_cndmask_b32 v3, v3, v26
	s_delay_alu instid0(VALU_DEP_2) | instskip(NEXT) | instid1(VALU_DEP_1)
	v_cndmask_b32_e64 v8, 0, 0xffffffe0, s0
	v_add_nc_u32_e32 v1, v8, v1
	s_delay_alu instid0(VALU_DEP_1) | instskip(NEXT) | instid1(VALU_DEP_1)
	v_cmp_lt_u32_e64 s1, 31, v1
	v_cndmask_b32_e64 v8, 0, 0xffffffe0, s1
	s_delay_alu instid0(VALU_DEP_1) | instskip(SKIP_1) | instid1(VALU_DEP_2)
	v_dual_cndmask_b32 v8, v22, v18 :: v_dual_add_nc_u32 v1, v8, v1
	v_dual_cndmask_b32 v18, v2, v17, s0 :: v_dual_cndmask_b32 v2, v3, v2, s0
	v_dual_cndmask_b32 v3, v17, v19, s0 :: v_dual_sub_nc_u32 v17, 32, v1
	s_delay_alu instid0(VALU_DEP_3) | instskip(SKIP_1) | instid1(VALU_DEP_4)
	v_cndmask_b32_e64 v19, v19, v8, s0
	v_cmp_eq_u32_e32 vcc_lo, 0, v1
	v_cndmask_b32_e64 v2, v2, v18, s1
	s_delay_alu instid0(VALU_DEP_4) | instskip(NEXT) | instid1(VALU_DEP_4)
	v_cndmask_b32_e64 v18, v18, v3, s1
	v_cndmask_b32_e64 v3, v3, v19, s1
	s_delay_alu instid0(VALU_DEP_2) | instskip(NEXT) | instid1(VALU_DEP_2)
	v_alignbit_b32 v21, v2, v18, v17
	v_alignbit_b32 v20, v18, v3, v17
	s_delay_alu instid0(VALU_DEP_2) | instskip(NEXT) | instid1(VALU_DEP_2)
	v_dual_cndmask_b32 v1, v21, v2, vcc_lo :: v_dual_cndmask_b32 v2, v8, v16, s0
	v_cndmask_b32_e32 v8, v20, v18, vcc_lo
	s_delay_alu instid0(VALU_DEP_2) | instskip(NEXT) | instid1(VALU_DEP_3)
	v_bfe_u32 v18, v1, 29, 1
	v_cndmask_b32_e64 v2, v19, v2, s1
	s_delay_alu instid0(VALU_DEP_2) | instskip(NEXT) | instid1(VALU_DEP_4)
	v_sub_nc_u32_e32 v19, 0, v18
	v_alignbit_b32 v16, v1, v8, 30
	s_delay_alu instid0(VALU_DEP_1) | instskip(NEXT) | instid1(VALU_DEP_4)
	v_xor_b32_e32 v16, v16, v19
	v_alignbit_b32 v17, v3, v2, v17
	s_delay_alu instid0(VALU_DEP_1) | instskip(NEXT) | instid1(VALU_DEP_3)
	v_cndmask_b32_e32 v3, v17, v3, vcc_lo
	v_clz_i32_u32_e32 v17, v16
	s_delay_alu instid0(VALU_DEP_2) | instskip(NEXT) | instid1(VALU_DEP_2)
	v_alignbit_b32 v8, v8, v3, 30
	v_min_u32_e32 v17, 32, v17
	v_alignbit_b32 v2, v3, v2, 30
	s_delay_alu instid0(VALU_DEP_2) | instskip(NEXT) | instid1(VALU_DEP_2)
	v_dual_sub_nc_u32 v8, 31, v17 :: v_dual_bitop2_b32 v3, v8, v19 bitop3:0x14
	v_dual_lshrrev_b32 v19, 29, v1 :: v_dual_bitop2_b32 v2, v2, v19 bitop3:0x14
	v_lshlrev_b32_e32 v20, 23, v17
	v_lshrrev_b32_e32 v1, 30, v1
	s_delay_alu instid0(VALU_DEP_4) | instskip(NEXT) | instid1(VALU_DEP_4)
	v_alignbit_b32 v16, v16, v3, v8
	v_alignbit_b32 v2, v3, v2, v8
	s_delay_alu instid0(VALU_DEP_3) | instskip(NEXT) | instid1(VALU_DEP_2)
	v_dual_lshlrev_b32 v3, 31, v19 :: v_dual_add_nc_u32 v18, v18, v1
	v_alignbit_b32 v8, v16, v2, 9
	s_delay_alu instid0(VALU_DEP_2) | instskip(SKIP_1) | instid1(VALU_DEP_3)
	v_or_b32_e32 v19, 0.5, v3
	v_or_b32_e32 v3, 0x33000000, v3
	v_clz_i32_u32_e32 v21, v8
	s_delay_alu instid0(VALU_DEP_3) | instskip(NEXT) | instid1(VALU_DEP_2)
	v_sub_nc_u32_e32 v19, v19, v20
	v_min_u32_e32 v20, 32, v21
	s_delay_alu instid0(VALU_DEP_1) | instskip(NEXT) | instid1(VALU_DEP_1)
	v_add_lshl_u32 v17, v20, v17, 23
	v_dual_lshrrev_b32 v16, 9, v16 :: v_dual_sub_nc_u32 v3, v3, v17
	s_delay_alu instid0(VALU_DEP_1) | instskip(SKIP_1) | instid1(VALU_DEP_1)
	v_or_b32_e32 v16, v16, v19
	v_not_b32_e32 v19, v20
	v_alignbit_b32 v2, v8, v2, v19
	s_delay_alu instid0(VALU_DEP_1) | instskip(NEXT) | instid1(VALU_DEP_1)
	v_lshrrev_b32_e32 v2, 9, v2
	v_or_b32_e32 v2, v3, v2
	v_mul_f32_e32 v21, 0x3fc90fda, v16
	s_delay_alu instid0(VALU_DEP_1) | instskip(NEXT) | instid1(VALU_DEP_1)
	v_fma_f32 v8, 0x3fc90fda, v16, -v21
	v_fmamk_f32 v8, v16, 0x33a22168, v8
	s_delay_alu instid0(VALU_DEP_1) | instskip(NEXT) | instid1(VALU_DEP_1)
	v_fmac_f32_e32 v8, 0x3fc90fda, v2
	v_add_f32_e32 v16, v21, v8
.LBB14_1440:
	s_and_not1_saveexec_b32 s0, s13
; %bb.1441:
	v_mul_f32_e64 v1, 0x3f22f983, |v7|
	s_delay_alu instid0(VALU_DEP_1) | instskip(NEXT) | instid1(VALU_DEP_1)
	v_rndne_f32_e32 v1, v1
	v_fma_f32 v2, 0xbfc90fda, v1, |v7|
	v_cvt_i32_f32_e32 v18, v1
	s_delay_alu instid0(VALU_DEP_2) | instskip(NEXT) | instid1(VALU_DEP_1)
	v_fmamk_f32 v2, v1, 0xb3a22168, v2
	v_fmamk_f32 v16, v1, 0xa7c234c4, v2
; %bb.1442:
	s_or_b32 exec_lo, exec_lo, s0
	v_add_nc_u32_e32 v0, s3, v0
	s_cmp_lt_i32 s10, 11
	s_delay_alu instid0(VALU_DEP_1) | instskip(NEXT) | instid1(VALU_DEP_1)
	v_ashrrev_i32_e32 v1, 31, v0
	v_add_nc_u64_e32 v[0:1], s[6:7], v[0:1]
	s_cbranch_scc1 .LBB14_1449
; %bb.1443:
	s_cmp_gt_i32 s10, 25
	s_mov_b32 s1, 0
	s_cbranch_scc0 .LBB14_1450
; %bb.1444:
	s_cmp_gt_i32 s10, 28
	s_cbranch_scc0 .LBB14_1451
; %bb.1445:
	s_cmp_gt_i32 s10, 43
	;; [unrolled: 3-line block ×3, first 2 shown]
	s_cbranch_scc0 .LBB14_1454
; %bb.1447:
	s_cmp_eq_u32 s10, 46
	s_mov_b32 s6, 0
	s_cbranch_scc0 .LBB14_1455
; %bb.1448:
	global_load_b32 v2, v[0:1], off
	s_mov_b32 s0, 0
	s_mov_b32 s3, -1
	s_wait_loadcnt 0x0
	v_lshlrev_b32_e32 v8, 16, v2
	s_branch .LBB14_1457
.LBB14_1449:
	s_mov_b32 s0, -1
	s_mov_b32 s3, 0
                                        ; implicit-def: $vgpr8
	s_branch .LBB14_1523
.LBB14_1450:
	s_mov_b32 s6, -1
	s_mov_b32 s3, 0
	s_mov_b32 s0, 0
                                        ; implicit-def: $vgpr8
	s_branch .LBB14_1486
.LBB14_1451:
	s_mov_b32 s6, -1
	s_mov_b32 s3, 0
	s_mov_b32 s0, 0
                                        ; implicit-def: $vgpr8
	s_branch .LBB14_1467
.LBB14_1452:
	s_mov_b32 s6, -1
	s_mov_b32 s3, 0
	s_mov_b32 s0, 0
                                        ; implicit-def: $vgpr8
	s_branch .LBB14_1462
.LBB14_1453:
	s_or_b32 s9, s9, exec_lo
	s_trap 2
	s_cbranch_execz .LBB14_1388
	s_branch .LBB14_1389
.LBB14_1454:
	s_mov_b32 s6, -1
	s_mov_b32 s3, 0
	s_mov_b32 s0, 0
	s_branch .LBB14_1456
.LBB14_1455:
	s_mov_b32 s0, -1
	s_mov_b32 s3, 0
.LBB14_1456:
                                        ; implicit-def: $vgpr8
.LBB14_1457:
	s_and_b32 vcc_lo, exec_lo, s6
	s_cbranch_vccz .LBB14_1461
; %bb.1458:
	s_cmp_eq_u32 s10, 44
	s_cbranch_scc0 .LBB14_1460
; %bb.1459:
	global_load_u8 v2, v[0:1], off
	s_mov_b32 s0, 0
	s_mov_b32 s3, -1
	s_wait_loadcnt 0x0
	v_lshlrev_b32_e32 v3, 23, v2
	v_cmp_ne_u32_e32 vcc_lo, 0xff, v2
	s_delay_alu instid0(VALU_DEP_2) | instskip(SKIP_1) | instid1(VALU_DEP_2)
	v_cndmask_b32_e32 v3, 0x7f800001, v3, vcc_lo
	v_cmp_ne_u32_e32 vcc_lo, 0, v2
	v_cndmask_b32_e32 v8, 0x400000, v3, vcc_lo
	s_branch .LBB14_1461
.LBB14_1460:
	s_mov_b32 s0, -1
                                        ; implicit-def: $vgpr8
.LBB14_1461:
	s_mov_b32 s6, 0
.LBB14_1462:
	s_delay_alu instid0(SALU_CYCLE_1)
	s_and_b32 vcc_lo, exec_lo, s6
	s_cbranch_vccz .LBB14_1466
; %bb.1463:
	s_cmp_eq_u32 s10, 29
	s_cbranch_scc0 .LBB14_1465
; %bb.1464:
	global_load_b64 v[2:3], v[0:1], off
	s_mov_b32 s0, 0
	s_mov_b32 s3, -1
	s_mov_b32 s6, 0
	s_wait_loadcnt 0x0
	v_clz_i32_u32_e32 v8, v3
	s_delay_alu instid0(VALU_DEP_1) | instskip(NEXT) | instid1(VALU_DEP_1)
	v_min_u32_e32 v8, 32, v8
	v_lshlrev_b64_e32 v[2:3], v8, v[2:3]
	s_delay_alu instid0(VALU_DEP_1) | instskip(NEXT) | instid1(VALU_DEP_1)
	v_min_u32_e32 v2, 1, v2
	v_dual_sub_nc_u32 v3, 32, v8 :: v_dual_bitop2_b32 v2, v3, v2 bitop3:0x54
	s_delay_alu instid0(VALU_DEP_1) | instskip(NEXT) | instid1(VALU_DEP_1)
	v_cvt_f32_u32_e32 v2, v2
	v_ldexp_f32 v8, v2, v3
	s_branch .LBB14_1467
.LBB14_1465:
	s_mov_b32 s0, -1
                                        ; implicit-def: $vgpr8
.LBB14_1466:
	s_mov_b32 s6, 0
.LBB14_1467:
	s_delay_alu instid0(SALU_CYCLE_1)
	s_and_b32 vcc_lo, exec_lo, s6
	s_cbranch_vccz .LBB14_1485
; %bb.1468:
	s_cmp_lt_i32 s10, 27
	s_cbranch_scc1 .LBB14_1471
; %bb.1469:
	s_cmp_gt_i32 s10, 27
	s_cbranch_scc0 .LBB14_1472
; %bb.1470:
	global_load_b32 v2, v[0:1], off
	s_mov_b32 s3, 0
	s_wait_loadcnt 0x0
	v_cvt_f32_u32_e32 v8, v2
	s_branch .LBB14_1473
.LBB14_1471:
	s_mov_b32 s3, -1
                                        ; implicit-def: $vgpr8
	s_branch .LBB14_1476
.LBB14_1472:
	s_mov_b32 s3, -1
                                        ; implicit-def: $vgpr8
.LBB14_1473:
	s_delay_alu instid0(SALU_CYCLE_1)
	s_and_not1_b32 vcc_lo, exec_lo, s3
	s_cbranch_vccnz .LBB14_1475
; %bb.1474:
	global_load_u16 v2, v[0:1], off
	s_wait_loadcnt 0x0
	v_cvt_f32_u32_e32 v8, v2
.LBB14_1475:
	s_mov_b32 s3, 0
.LBB14_1476:
	s_delay_alu instid0(SALU_CYCLE_1)
	s_and_not1_b32 vcc_lo, exec_lo, s3
	s_cbranch_vccnz .LBB14_1484
; %bb.1477:
	global_load_u8 v2, v[0:1], off
	s_mov_b32 s3, 0
	s_mov_b32 s6, exec_lo
	s_wait_loadcnt 0x0
	v_cmpx_lt_i16_e32 0x7f, v2
	s_xor_b32 s6, exec_lo, s6
	s_cbranch_execz .LBB14_1498
; %bb.1478:
	s_mov_b32 s3, -1
	s_mov_b32 s7, exec_lo
	v_cmpx_eq_u16_e32 0x80, v2
; %bb.1479:
	s_xor_b32 s3, exec_lo, -1
; %bb.1480:
	s_or_b32 exec_lo, exec_lo, s7
	s_delay_alu instid0(SALU_CYCLE_1)
	s_and_b32 s3, s3, exec_lo
	s_or_saveexec_b32 s6, s6
	v_mov_b32_e32 v8, 0x7f800001
	s_xor_b32 exec_lo, exec_lo, s6
	s_cbranch_execnz .LBB14_1499
.LBB14_1481:
	s_or_b32 exec_lo, exec_lo, s6
	s_and_saveexec_b32 s6, s3
	s_cbranch_execz .LBB14_1483
.LBB14_1482:
	v_and_b32_e32 v3, 0xffff, v2
	s_delay_alu instid0(VALU_DEP_1) | instskip(SKIP_1) | instid1(VALU_DEP_2)
	v_and_b32_e32 v8, 7, v3
	v_bfe_u32 v20, v3, 3, 4
	v_clz_i32_u32_e32 v17, v8
	s_delay_alu instid0(VALU_DEP_2) | instskip(NEXT) | instid1(VALU_DEP_2)
	v_cmp_eq_u32_e32 vcc_lo, 0, v20
	v_min_u32_e32 v17, 32, v17
	s_delay_alu instid0(VALU_DEP_1) | instskip(NEXT) | instid1(VALU_DEP_1)
	v_subrev_nc_u32_e32 v19, 28, v17
	v_dual_lshlrev_b32 v3, v19, v3 :: v_dual_sub_nc_u32 v17, 29, v17
	s_delay_alu instid0(VALU_DEP_1) | instskip(NEXT) | instid1(VALU_DEP_2)
	v_dual_lshlrev_b32 v2, 24, v2 :: v_dual_bitop2_b32 v3, 7, v3 bitop3:0x40
	v_cndmask_b32_e32 v17, v20, v17, vcc_lo
	s_delay_alu instid0(VALU_DEP_2) | instskip(NEXT) | instid1(VALU_DEP_3)
	v_cndmask_b32_e32 v3, v8, v3, vcc_lo
	v_and_b32_e32 v2, 0x80000000, v2
	s_delay_alu instid0(VALU_DEP_3) | instskip(NEXT) | instid1(VALU_DEP_3)
	v_lshl_add_u32 v8, v17, 23, 0x3b800000
	v_lshlrev_b32_e32 v3, 20, v3
	s_delay_alu instid0(VALU_DEP_1)
	v_or3_b32 v8, v2, v8, v3
.LBB14_1483:
	s_or_b32 exec_lo, exec_lo, s6
.LBB14_1484:
	s_mov_b32 s3, -1
.LBB14_1485:
	s_mov_b32 s6, 0
.LBB14_1486:
	s_delay_alu instid0(SALU_CYCLE_1)
	s_and_b32 vcc_lo, exec_lo, s6
	s_cbranch_vccz .LBB14_1519
; %bb.1487:
	s_cmp_gt_i32 s10, 22
	s_cbranch_scc0 .LBB14_1497
; %bb.1488:
	s_cmp_lt_i32 s10, 24
	s_cbranch_scc1 .LBB14_1500
; %bb.1489:
	s_cmp_gt_i32 s10, 24
	s_cbranch_scc0 .LBB14_1501
; %bb.1490:
	global_load_u8 v2, v[0:1], off
	s_mov_b32 s3, exec_lo
	s_wait_loadcnt 0x0
	v_cmpx_lt_i16_e32 0x7f, v2
	s_xor_b32 s3, exec_lo, s3
	s_cbranch_execz .LBB14_1513
; %bb.1491:
	s_mov_b32 s1, -1
	s_mov_b32 s6, exec_lo
	v_cmpx_eq_u16_e32 0x80, v2
; %bb.1492:
	s_xor_b32 s1, exec_lo, -1
; %bb.1493:
	s_or_b32 exec_lo, exec_lo, s6
	s_delay_alu instid0(SALU_CYCLE_1)
	s_and_b32 s1, s1, exec_lo
	s_or_saveexec_b32 s3, s3
	v_mov_b32_e32 v8, 0x7f800001
	s_xor_b32 exec_lo, exec_lo, s3
	s_cbranch_execnz .LBB14_1514
.LBB14_1494:
	s_or_b32 exec_lo, exec_lo, s3
	s_and_saveexec_b32 s3, s1
	s_cbranch_execz .LBB14_1496
.LBB14_1495:
	v_and_b32_e32 v3, 0xffff, v2
	s_delay_alu instid0(VALU_DEP_1) | instskip(SKIP_1) | instid1(VALU_DEP_2)
	v_and_b32_e32 v8, 3, v3
	v_bfe_u32 v20, v3, 2, 5
	v_clz_i32_u32_e32 v17, v8
	s_delay_alu instid0(VALU_DEP_2) | instskip(NEXT) | instid1(VALU_DEP_2)
	v_cmp_eq_u32_e32 vcc_lo, 0, v20
	v_min_u32_e32 v17, 32, v17
	s_delay_alu instid0(VALU_DEP_1) | instskip(NEXT) | instid1(VALU_DEP_1)
	v_subrev_nc_u32_e32 v19, 29, v17
	v_dual_lshlrev_b32 v3, v19, v3 :: v_dual_sub_nc_u32 v17, 30, v17
	s_delay_alu instid0(VALU_DEP_1) | instskip(NEXT) | instid1(VALU_DEP_2)
	v_dual_lshlrev_b32 v2, 24, v2 :: v_dual_bitop2_b32 v3, 3, v3 bitop3:0x40
	v_cndmask_b32_e32 v17, v20, v17, vcc_lo
	s_delay_alu instid0(VALU_DEP_2) | instskip(NEXT) | instid1(VALU_DEP_3)
	v_cndmask_b32_e32 v3, v8, v3, vcc_lo
	v_and_b32_e32 v2, 0x80000000, v2
	s_delay_alu instid0(VALU_DEP_3) | instskip(NEXT) | instid1(VALU_DEP_3)
	v_lshl_add_u32 v8, v17, 23, 0x37800000
	v_lshlrev_b32_e32 v3, 21, v3
	s_delay_alu instid0(VALU_DEP_1)
	v_or3_b32 v8, v2, v8, v3
.LBB14_1496:
	s_or_b32 exec_lo, exec_lo, s3
	s_mov_b32 s1, 0
	s_branch .LBB14_1502
.LBB14_1497:
	s_mov_b32 s1, -1
                                        ; implicit-def: $vgpr8
	s_branch .LBB14_1508
.LBB14_1498:
	s_or_saveexec_b32 s6, s6
	v_mov_b32_e32 v8, 0x7f800001
	s_xor_b32 exec_lo, exec_lo, s6
	s_cbranch_execz .LBB14_1481
.LBB14_1499:
	v_cmp_ne_u16_e32 vcc_lo, 0, v2
	v_mov_b32_e32 v8, 0
	s_and_not1_b32 s3, s3, exec_lo
	s_and_b32 s7, vcc_lo, exec_lo
	s_delay_alu instid0(SALU_CYCLE_1)
	s_or_b32 s3, s3, s7
	s_or_b32 exec_lo, exec_lo, s6
	s_and_saveexec_b32 s6, s3
	s_cbranch_execnz .LBB14_1482
	s_branch .LBB14_1483
.LBB14_1500:
	s_mov_b32 s1, -1
                                        ; implicit-def: $vgpr8
	s_branch .LBB14_1505
.LBB14_1501:
	s_mov_b32 s1, -1
                                        ; implicit-def: $vgpr8
.LBB14_1502:
	s_delay_alu instid0(SALU_CYCLE_1)
	s_and_b32 vcc_lo, exec_lo, s1
	s_cbranch_vccz .LBB14_1504
; %bb.1503:
	global_load_u8 v2, v[0:1], off
	s_wait_loadcnt 0x0
	v_lshlrev_b32_e32 v2, 24, v2
	s_delay_alu instid0(VALU_DEP_1) | instskip(NEXT) | instid1(VALU_DEP_1)
	v_and_b32_e32 v3, 0x7f000000, v2
	v_clz_i32_u32_e32 v8, v3
	v_add_nc_u32_e32 v19, 0x1000000, v3
	v_cmp_ne_u32_e32 vcc_lo, 0, v3
	s_delay_alu instid0(VALU_DEP_3) | instskip(NEXT) | instid1(VALU_DEP_1)
	v_min_u32_e32 v8, 32, v8
	v_sub_nc_u32_e64 v8, v8, 4 clamp
	s_delay_alu instid0(VALU_DEP_1) | instskip(NEXT) | instid1(VALU_DEP_1)
	v_dual_lshlrev_b32 v17, v8, v3 :: v_dual_lshlrev_b32 v8, 23, v8
	v_lshrrev_b32_e32 v17, 4, v17
	s_delay_alu instid0(VALU_DEP_1) | instskip(NEXT) | instid1(VALU_DEP_1)
	v_dual_sub_nc_u32 v8, v17, v8 :: v_dual_ashrrev_i32 v17, 8, v19
	v_add_nc_u32_e32 v8, 0x3c000000, v8
	s_delay_alu instid0(VALU_DEP_1) | instskip(NEXT) | instid1(VALU_DEP_1)
	v_and_or_b32 v8, 0x7f800000, v17, v8
	v_cndmask_b32_e32 v3, 0, v8, vcc_lo
	s_delay_alu instid0(VALU_DEP_1)
	v_and_or_b32 v8, 0x80000000, v2, v3
.LBB14_1504:
	s_mov_b32 s1, 0
.LBB14_1505:
	s_delay_alu instid0(SALU_CYCLE_1)
	s_and_not1_b32 vcc_lo, exec_lo, s1
	s_cbranch_vccnz .LBB14_1507
; %bb.1506:
	global_load_u8 v2, v[0:1], off
	s_wait_loadcnt 0x0
	v_lshlrev_b32_e32 v3, 25, v2
	v_lshlrev_b16 v2, 8, v2
	s_delay_alu instid0(VALU_DEP_1) | instskip(SKIP_1) | instid1(VALU_DEP_2)
	v_and_or_b32 v17, 0x7f00, v2, 0.5
	v_bfe_i32 v2, v2, 0, 16
	v_dual_add_f32 v17, -0.5, v17 :: v_dual_lshrrev_b32 v8, 4, v3
	v_cmp_gt_u32_e32 vcc_lo, 0x8000000, v3
	s_delay_alu instid0(VALU_DEP_2) | instskip(NEXT) | instid1(VALU_DEP_1)
	v_or_b32_e32 v8, 0x70000000, v8
	v_mul_f32_e32 v8, 0x7800000, v8
	s_delay_alu instid0(VALU_DEP_1) | instskip(NEXT) | instid1(VALU_DEP_1)
	v_cndmask_b32_e32 v3, v8, v17, vcc_lo
	v_and_or_b32 v8, 0x80000000, v2, v3
.LBB14_1507:
	s_mov_b32 s1, 0
	s_mov_b32 s3, -1
.LBB14_1508:
	s_and_not1_b32 vcc_lo, exec_lo, s1
	s_mov_b32 s1, 0
	s_cbranch_vccnz .LBB14_1519
; %bb.1509:
	s_cmp_gt_i32 s10, 14
	s_cbranch_scc0 .LBB14_1512
; %bb.1510:
	s_cmp_eq_u32 s10, 15
	s_cbranch_scc0 .LBB14_1515
; %bb.1511:
	global_load_u16 v2, v[0:1], off
	s_mov_b32 s0, 0
	s_mov_b32 s3, -1
	s_wait_loadcnt 0x0
	v_lshlrev_b32_e32 v8, 16, v2
	s_branch .LBB14_1517
.LBB14_1512:
	s_mov_b32 s1, -1
	s_branch .LBB14_1516
.LBB14_1513:
	s_or_saveexec_b32 s3, s3
	v_mov_b32_e32 v8, 0x7f800001
	s_xor_b32 exec_lo, exec_lo, s3
	s_cbranch_execz .LBB14_1494
.LBB14_1514:
	v_cmp_ne_u16_e32 vcc_lo, 0, v2
	v_mov_b32_e32 v8, 0
	s_and_not1_b32 s1, s1, exec_lo
	s_and_b32 s6, vcc_lo, exec_lo
	s_delay_alu instid0(SALU_CYCLE_1)
	s_or_b32 s1, s1, s6
	s_or_b32 exec_lo, exec_lo, s3
	s_and_saveexec_b32 s3, s1
	s_cbranch_execnz .LBB14_1495
	s_branch .LBB14_1496
.LBB14_1515:
	s_mov_b32 s0, -1
.LBB14_1516:
                                        ; implicit-def: $vgpr8
.LBB14_1517:
	s_and_b32 vcc_lo, exec_lo, s1
	s_mov_b32 s1, 0
	s_cbranch_vccz .LBB14_1519
; %bb.1518:
	s_cmp_lg_u32 s10, 11
	s_mov_b32 s1, -1
	s_cselect_b32 s0, -1, 0
.LBB14_1519:
	s_delay_alu instid0(SALU_CYCLE_1)
	s_and_b32 vcc_lo, exec_lo, s0
	s_cbranch_vccnz .LBB14_2052
; %bb.1520:
	s_and_not1_b32 vcc_lo, exec_lo, s1
	s_cbranch_vccnz .LBB14_1522
.LBB14_1521:
	global_load_u8 v2, v[0:1], off
	s_mov_b32 s3, -1
	s_wait_loadcnt 0x0
	v_cmp_ne_u16_e32 vcc_lo, 0, v2
	v_cndmask_b32_e64 v8, 0, 1.0, vcc_lo
.LBB14_1522:
	s_mov_b32 s0, 0
.LBB14_1523:
	s_delay_alu instid0(SALU_CYCLE_1)
	s_and_b32 vcc_lo, exec_lo, s0
	s_cbranch_vccz .LBB14_1572
; %bb.1524:
	s_cmp_lt_i32 s10, 5
	s_cbranch_scc1 .LBB14_1529
; %bb.1525:
	s_cmp_lt_i32 s10, 8
	s_cbranch_scc1 .LBB14_1530
	;; [unrolled: 3-line block ×3, first 2 shown]
; %bb.1527:
	s_cmp_gt_i32 s10, 9
	s_cbranch_scc0 .LBB14_1532
; %bb.1528:
	global_load_b64 v[2:3], v[0:1], off
	s_mov_b32 s0, 0
	s_wait_loadcnt 0x0
	v_cvt_f32_f64_e32 v8, v[2:3]
	s_branch .LBB14_1533
.LBB14_1529:
	s_mov_b32 s0, -1
                                        ; implicit-def: $vgpr8
	s_branch .LBB14_1551
.LBB14_1530:
	s_mov_b32 s0, -1
                                        ; implicit-def: $vgpr8
	s_branch .LBB14_1539
.LBB14_1531:
	s_mov_b32 s0, -1
                                        ; implicit-def: $vgpr8
	s_branch .LBB14_1536
.LBB14_1532:
	s_mov_b32 s0, -1
                                        ; implicit-def: $vgpr8
.LBB14_1533:
	s_delay_alu instid0(SALU_CYCLE_1)
	s_and_not1_b32 vcc_lo, exec_lo, s0
	s_cbranch_vccnz .LBB14_1535
; %bb.1534:
	global_load_b32 v8, v[0:1], off
.LBB14_1535:
	s_mov_b32 s0, 0
.LBB14_1536:
	s_delay_alu instid0(SALU_CYCLE_1)
	s_and_not1_b32 vcc_lo, exec_lo, s0
	s_cbranch_vccnz .LBB14_1538
; %bb.1537:
	global_load_b32 v2, v[0:1], off
	s_wait_loadcnt 0x0
	v_cvt_f32_f16_e32 v8, v2
.LBB14_1538:
	s_mov_b32 s0, 0
.LBB14_1539:
	s_delay_alu instid0(SALU_CYCLE_1)
	s_and_not1_b32 vcc_lo, exec_lo, s0
	s_cbranch_vccnz .LBB14_1550
; %bb.1540:
	s_cmp_lt_i32 s10, 6
	s_cbranch_scc1 .LBB14_1543
; %bb.1541:
	s_cmp_gt_i32 s10, 6
	s_cbranch_scc0 .LBB14_1544
; %bb.1542:
	global_load_b64 v[2:3], v[0:1], off
	s_mov_b32 s0, 0
	s_wait_loadcnt 0x0
	v_cvt_f32_f64_e32 v8, v[2:3]
	s_branch .LBB14_1545
.LBB14_1543:
	s_mov_b32 s0, -1
                                        ; implicit-def: $vgpr8
	s_branch .LBB14_1548
.LBB14_1544:
	s_mov_b32 s0, -1
                                        ; implicit-def: $vgpr8
.LBB14_1545:
	s_delay_alu instid0(SALU_CYCLE_1)
	s_and_not1_b32 vcc_lo, exec_lo, s0
	s_cbranch_vccnz .LBB14_1547
; %bb.1546:
	s_wait_loadcnt 0x0
	global_load_b32 v8, v[0:1], off
.LBB14_1547:
	s_mov_b32 s0, 0
.LBB14_1548:
	s_delay_alu instid0(SALU_CYCLE_1)
	s_and_not1_b32 vcc_lo, exec_lo, s0
	s_cbranch_vccnz .LBB14_1550
; %bb.1549:
	global_load_u16 v2, v[0:1], off
	s_wait_loadcnt 0x0
	v_cvt_f32_f16_e32 v8, v2
.LBB14_1550:
	s_mov_b32 s0, 0
.LBB14_1551:
	s_delay_alu instid0(SALU_CYCLE_1)
	s_and_not1_b32 vcc_lo, exec_lo, s0
	s_cbranch_vccnz .LBB14_1571
; %bb.1552:
	s_cmp_lt_i32 s10, 2
	s_cbranch_scc1 .LBB14_1556
; %bb.1553:
	s_cmp_lt_i32 s10, 3
	s_cbranch_scc1 .LBB14_1557
; %bb.1554:
	s_cmp_gt_i32 s10, 3
	s_cbranch_scc0 .LBB14_1558
; %bb.1555:
	global_load_b64 v[2:3], v[0:1], off
	s_mov_b32 s0, 0
	s_wait_loadcnt 0x0
	v_xor_b32_e32 v8, v2, v3
	v_cls_i32_e32 v17, v3
	s_delay_alu instid0(VALU_DEP_2) | instskip(NEXT) | instid1(VALU_DEP_1)
	v_ashrrev_i32_e32 v8, 31, v8
	v_add_nc_u32_e32 v8, 32, v8
	s_delay_alu instid0(VALU_DEP_1) | instskip(NEXT) | instid1(VALU_DEP_1)
	v_add_min_u32_e64 v8, v17, -1, v8
	v_lshlrev_b64_e32 v[2:3], v8, v[2:3]
	s_delay_alu instid0(VALU_DEP_1) | instskip(NEXT) | instid1(VALU_DEP_1)
	v_min_u32_e32 v2, 1, v2
	v_dual_sub_nc_u32 v3, 32, v8 :: v_dual_bitop2_b32 v2, v3, v2 bitop3:0x54
	s_delay_alu instid0(VALU_DEP_1) | instskip(NEXT) | instid1(VALU_DEP_1)
	v_cvt_f32_i32_e32 v2, v2
	v_ldexp_f32 v8, v2, v3
	s_branch .LBB14_1559
.LBB14_1556:
	s_mov_b32 s0, -1
                                        ; implicit-def: $vgpr8
	s_branch .LBB14_1565
.LBB14_1557:
	s_mov_b32 s0, -1
                                        ; implicit-def: $vgpr8
	s_branch .LBB14_1562
.LBB14_1558:
	s_mov_b32 s0, -1
                                        ; implicit-def: $vgpr8
.LBB14_1559:
	s_delay_alu instid0(SALU_CYCLE_1)
	s_and_not1_b32 vcc_lo, exec_lo, s0
	s_cbranch_vccnz .LBB14_1561
; %bb.1560:
	global_load_b32 v2, v[0:1], off
	s_wait_loadcnt 0x0
	v_cvt_f32_i32_e32 v8, v2
.LBB14_1561:
	s_mov_b32 s0, 0
.LBB14_1562:
	s_delay_alu instid0(SALU_CYCLE_1)
	s_and_not1_b32 vcc_lo, exec_lo, s0
	s_cbranch_vccnz .LBB14_1564
; %bb.1563:
	global_load_i16 v2, v[0:1], off
	s_wait_loadcnt 0x0
	v_cvt_f32_i32_e32 v8, v2
.LBB14_1564:
	s_mov_b32 s0, 0
.LBB14_1565:
	s_delay_alu instid0(SALU_CYCLE_1)
	s_and_not1_b32 vcc_lo, exec_lo, s0
	s_cbranch_vccnz .LBB14_1571
; %bb.1566:
	s_cmp_gt_i32 s10, 0
	s_mov_b32 s0, 0
	s_cbranch_scc0 .LBB14_1568
; %bb.1567:
	global_load_i8 v2, v[0:1], off
	s_wait_loadcnt 0x0
	v_cvt_f32_i32_e32 v8, v2
	s_branch .LBB14_1569
.LBB14_1568:
	s_mov_b32 s0, -1
                                        ; implicit-def: $vgpr8
.LBB14_1569:
	s_delay_alu instid0(SALU_CYCLE_1)
	s_and_not1_b32 vcc_lo, exec_lo, s0
	s_cbranch_vccnz .LBB14_1571
; %bb.1570:
	global_load_u8 v0, v[0:1], off
	s_wait_loadcnt 0x0
	v_cvt_f32_ubyte0_e32 v8, v0
.LBB14_1571:
	s_mov_b32 s3, -1
.LBB14_1572:
	s_delay_alu instid0(SALU_CYCLE_1)
	s_and_not1_b32 vcc_lo, exec_lo, s3
	s_cbranch_vccnz .LBB14_2007
; %bb.1573:
	s_wait_loadcnt 0x0
	s_delay_alu instid0(VALU_DEP_1)
	v_and_b32_e32 v17, 0x7fffffff, v8
                                        ; implicit-def: $vgpr20
                                        ; implicit-def: $vgpr19
	s_mov_b32 s1, exec_lo
	s_wait_xcnt 0x0
	v_cmpx_ngt_f32_e64 0x48000000, |v8|
	s_xor_b32 s3, exec_lo, s1
	s_cbranch_execz .LBB14_1575
; %bb.1574:
	s_mov_b32 s0, 0x7fffff
	v_mov_b32_e32 v1, 0
	v_and_or_b32 v0, v17, s0, 0x800000
	s_mov_b64 s[0:1], 0xfe5163ab
	s_delay_alu instid0(VALU_DEP_1) | instid1(SALU_CYCLE_1)
	v_mul_u64_e32 v[2:3], s[0:1], v[0:1]
	s_delay_alu instid0(VALU_DEP_1) | instskip(SKIP_2) | instid1(VALU_DEP_3)
	v_dual_mov_b32 v20, v3 :: v_dual_mov_b32 v21, v1
	v_dual_mov_b32 v23, v1 :: v_dual_mov_b32 v25, v1
	v_dual_mov_b32 v27, v1 :: v_dual_lshrrev_b32 v3, 23, v17
	v_mad_nc_u64_u32 v[20:21], 0x3c439041, v0, v[20:21]
	s_delay_alu instid0(VALU_DEP_1) | instskip(NEXT) | instid1(VALU_DEP_1)
	v_dual_mov_b32 v31, v1 :: v_dual_mov_b32 v22, v21
	v_mad_nc_u64_u32 v[22:23], 0xdb629599, v0, v[22:23]
	s_delay_alu instid0(VALU_DEP_1) | instskip(NEXT) | instid1(VALU_DEP_1)
	v_mov_b32_e32 v24, v23
	v_mad_nc_u64_u32 v[24:25], 0xf534ddc0, v0, v[24:25]
	s_delay_alu instid0(VALU_DEP_1) | instskip(NEXT) | instid1(VALU_DEP_1)
	v_mov_b32_e32 v26, v25
	v_mad_nc_u64_u32 v[26:27], 0xfc2757d1, v0, v[26:27]
	s_delay_alu instid0(VALU_DEP_1) | instskip(NEXT) | instid1(VALU_DEP_1)
	v_dual_mov_b32 v29, v1 :: v_dual_mov_b32 v28, v27
	v_mad_nc_u64_u32 v[28:29], 0x4e441529, v0, v[28:29]
	s_delay_alu instid0(VALU_DEP_1) | instskip(NEXT) | instid1(VALU_DEP_1)
	v_dual_mov_b32 v30, v29 :: v_dual_add_nc_u32 v3, 0xffffff88, v3
	v_cmp_lt_u32_e32 vcc_lo, 63, v3
	s_delay_alu instid0(VALU_DEP_2) | instskip(SKIP_2) | instid1(VALU_DEP_2)
	v_mad_nc_u64_u32 v[0:1], 0xa2f9836e, v0, v[30:31]
	v_cndmask_b32_e64 v19, 0, 0xffffffc0, vcc_lo
	v_dual_cndmask_b32 v21, v28, v24 :: v_dual_cndmask_b32 v2, v22, v2
	v_add_nc_u32_e32 v3, v19, v3
	s_delay_alu instid0(VALU_DEP_1) | instskip(SKIP_1) | instid1(VALU_DEP_2)
	v_cmp_lt_u32_e64 s0, 31, v3
	v_dual_cndmask_b32 v0, v0, v26 :: v_dual_cndmask_b32 v1, v1, v28
	v_cndmask_b32_e64 v19, 0, 0xffffffe0, s0
	s_delay_alu instid0(VALU_DEP_1) | instskip(NEXT) | instid1(VALU_DEP_1)
	v_add_nc_u32_e32 v3, v19, v3
	v_cmp_lt_u32_e64 s1, 31, v3
	s_delay_alu instid0(VALU_DEP_1) | instskip(NEXT) | instid1(VALU_DEP_1)
	v_cndmask_b32_e64 v19, 0, 0xffffffe0, s1
	v_dual_cndmask_b32 v23, v26, v22, vcc_lo :: v_dual_add_nc_u32 v3, v19, v3
	v_cndmask_b32_e32 v19, v24, v20, vcc_lo
	v_dual_cndmask_b32 v20, v0, v21, s0 :: v_dual_cndmask_b32 v0, v1, v0, s0
	s_delay_alu instid0(VALU_DEP_3) | instskip(NEXT) | instid1(VALU_DEP_4)
	v_cndmask_b32_e64 v1, v21, v23, s0
	v_sub_nc_u32_e32 v21, 32, v3
	s_delay_alu instid0(VALU_DEP_4) | instskip(SKIP_3) | instid1(VALU_DEP_4)
	v_cndmask_b32_e64 v23, v23, v19, s0
	v_cmp_eq_u32_e32 vcc_lo, 0, v3
	v_cndmask_b32_e64 v0, v0, v20, s1
	v_dual_cndmask_b32 v20, v20, v1, s1 :: v_dual_cndmask_b32 v2, v19, v2, s0
	v_cndmask_b32_e64 v1, v1, v23, s1
	s_delay_alu instid0(VALU_DEP_2) | instskip(NEXT) | instid1(VALU_DEP_3)
	v_alignbit_b32 v24, v0, v20, v21
	v_cndmask_b32_e64 v2, v23, v2, s1
	s_delay_alu instid0(VALU_DEP_3) | instskip(NEXT) | instid1(VALU_DEP_3)
	v_alignbit_b32 v22, v20, v1, v21
	v_cndmask_b32_e32 v0, v24, v0, vcc_lo
	s_delay_alu instid0(VALU_DEP_3) | instskip(NEXT) | instid1(VALU_DEP_3)
	v_alignbit_b32 v21, v1, v2, v21
	v_cndmask_b32_e32 v3, v22, v20, vcc_lo
	s_delay_alu instid0(VALU_DEP_3) | instskip(NEXT) | instid1(VALU_DEP_3)
	v_bfe_u32 v20, v0, 29, 1
	v_cndmask_b32_e32 v1, v21, v1, vcc_lo
	s_delay_alu instid0(VALU_DEP_3) | instskip(NEXT) | instid1(VALU_DEP_3)
	v_alignbit_b32 v19, v0, v3, 30
	v_sub_nc_u32_e32 v22, 0, v20
	s_delay_alu instid0(VALU_DEP_3) | instskip(SKIP_1) | instid1(VALU_DEP_3)
	v_alignbit_b32 v3, v3, v1, 30
	v_alignbit_b32 v1, v1, v2, 30
	v_xor_b32_e32 v19, v19, v22
	s_delay_alu instid0(VALU_DEP_3) | instskip(NEXT) | instid1(VALU_DEP_3)
	v_xor_b32_e32 v2, v3, v22
	v_dual_lshrrev_b32 v22, 29, v0 :: v_dual_bitop2_b32 v1, v1, v22 bitop3:0x14
	v_lshrrev_b32_e32 v0, 30, v0
	s_delay_alu instid0(VALU_DEP_4) | instskip(NEXT) | instid1(VALU_DEP_2)
	v_clz_i32_u32_e32 v21, v19
	v_add_nc_u32_e32 v20, v20, v0
	s_delay_alu instid0(VALU_DEP_2) | instskip(NEXT) | instid1(VALU_DEP_1)
	v_min_u32_e32 v21, 32, v21
	v_dual_sub_nc_u32 v3, 31, v21 :: v_dual_lshlrev_b32 v23, 23, v21
	s_delay_alu instid0(VALU_DEP_1) | instskip(SKIP_2) | instid1(VALU_DEP_2)
	v_alignbit_b32 v19, v19, v2, v3
	v_alignbit_b32 v1, v2, v1, v3
	v_lshlrev_b32_e32 v2, 31, v22
	v_alignbit_b32 v3, v19, v1, 9
	s_delay_alu instid0(VALU_DEP_2) | instskip(SKIP_1) | instid1(VALU_DEP_3)
	v_or_b32_e32 v22, 0.5, v2
	v_or_b32_e32 v2, 0x33000000, v2
	v_clz_i32_u32_e32 v24, v3
	s_delay_alu instid0(VALU_DEP_3) | instskip(NEXT) | instid1(VALU_DEP_2)
	v_sub_nc_u32_e32 v22, v22, v23
	v_min_u32_e32 v23, 32, v24
	s_delay_alu instid0(VALU_DEP_1) | instskip(NEXT) | instid1(VALU_DEP_1)
	v_add_lshl_u32 v21, v23, v21, 23
	v_dual_lshrrev_b32 v19, 9, v19 :: v_dual_sub_nc_u32 v2, v2, v21
	s_delay_alu instid0(VALU_DEP_1) | instskip(SKIP_1) | instid1(VALU_DEP_1)
	v_or_b32_e32 v19, v19, v22
	v_not_b32_e32 v22, v23
	v_alignbit_b32 v1, v3, v1, v22
	s_delay_alu instid0(VALU_DEP_1) | instskip(NEXT) | instid1(VALU_DEP_1)
	v_lshrrev_b32_e32 v1, 9, v1
	v_or_b32_e32 v1, v2, v1
	v_mul_f32_e32 v24, 0x3fc90fda, v19
	s_delay_alu instid0(VALU_DEP_1) | instskip(NEXT) | instid1(VALU_DEP_1)
	v_fma_f32 v3, 0x3fc90fda, v19, -v24
	v_fmamk_f32 v3, v19, 0x33a22168, v3
	s_delay_alu instid0(VALU_DEP_1) | instskip(NEXT) | instid1(VALU_DEP_1)
	v_fmac_f32_e32 v3, 0x3fc90fda, v1
	v_add_f32_e32 v19, v24, v3
.LBB14_1575:
	s_and_not1_saveexec_b32 s0, s3
; %bb.1576:
	v_mul_f32_e64 v0, 0x3f22f983, |v8|
	s_delay_alu instid0(VALU_DEP_1) | instskip(NEXT) | instid1(VALU_DEP_1)
	v_rndne_f32_e32 v0, v0
	v_fma_f32 v1, 0xbfc90fda, v0, |v8|
	v_cvt_i32_f32_e32 v20, v0
	s_delay_alu instid0(VALU_DEP_2) | instskip(NEXT) | instid1(VALU_DEP_1)
	v_fmamk_f32 v1, v0, 0xb3a22168, v1
	v_fmamk_f32 v19, v0, 0xa7c234c4, v1
; %bb.1577:
	s_or_b32 exec_lo, exec_lo, s0
	v_dual_mul_f32 v1, v10, v10 :: v_dual_bitop2_b32 v21, 1, v11 bitop3:0x40
	s_mov_b32 s0, 0xb94c1982
	s_mov_b32 s1, 0x37d75334
	;; [unrolled: 1-line block ×3, first 2 shown]
	s_delay_alu instid0(VALU_DEP_1) | instskip(SKIP_2) | instid1(VALU_DEP_2)
	v_fmaak_f32 v0, s0, v1, 0x3c0881c4
	v_cmp_eq_u32_e32 vcc_lo, 0, v21
	s_mov_b32 s0, -1
	v_fmaak_f32 v0, v1, v0, 0xbe2aaa9d
	v_fmaak_f32 v2, s1, v1, 0xbab64f3b
	s_and_b32 s1, s8, 0xff
	s_delay_alu instid0(SALU_CYCLE_1) | instskip(NEXT) | instid1(VALU_DEP_2)
	s_cmp_lt_i32 s1, 11
	v_mul_f32_e32 v3, v1, v0
	v_mul_lo_u32 v0, s2, v4
	v_fmaak_f32 v2, v1, v2, 0x3d2aabf7
	v_lshlrev_b32_e32 v4, 30, v11
	s_delay_alu instid0(VALU_DEP_4) | instskip(NEXT) | instid1(VALU_DEP_3)
	v_fmac_f32_e32 v10, v10, v3
	v_fmaak_f32 v2, v1, v2, 0xbf000004
	s_delay_alu instid0(VALU_DEP_1) | instskip(SKIP_2) | instid1(VALU_DEP_3)
	v_fma_f32 v1, v1, v2, 1.0
	v_xor_b32_e32 v2, v9, v5
	v_and_b32_e32 v3, 0x80000000, v4
	v_dual_cndmask_b32 v4, v1, v10 :: v_dual_ashrrev_i32 v1, 31, v0
	v_cmp_class_f32_e64 vcc_lo, v5, 0x1f8
	s_delay_alu instid0(VALU_DEP_2) | instskip(NEXT) | instid1(VALU_DEP_3)
	v_xor3_b32 v4, v2, v3, v4
	v_add_nc_u64_e32 v[2:3], s[4:5], v[0:1]
	s_delay_alu instid0(VALU_DEP_2)
	v_cndmask_b32_e32 v4, 0x7fc00000, v4, vcc_lo
	s_cbranch_scc1 .LBB14_1656
; %bb.1578:
	s_and_b32 s3, 0xffff, s1
	s_mov_b32 s8, -1
	s_mov_b32 s6, 0
	s_cmp_gt_i32 s3, 25
	s_mov_b32 s0, 0
	s_cbranch_scc0 .LBB14_1611
; %bb.1579:
	s_cmp_gt_i32 s3, 28
	s_cbranch_scc0 .LBB14_1594
; %bb.1580:
	s_cmp_gt_i32 s3, 43
	;; [unrolled: 3-line block ×3, first 2 shown]
	s_cbranch_scc0 .LBB14_1584
; %bb.1582:
	s_mov_b32 s0, -1
	s_mov_b32 s8, 0
	s_cmp_eq_u32 s3, 46
	s_cbranch_scc0 .LBB14_1584
; %bb.1583:
	v_bfe_u32 v1, v4, 16, 1
	v_cmp_o_f32_e32 vcc_lo, v4, v4
	s_mov_b32 s0, 0
	s_mov_b32 s7, -1
	s_delay_alu instid0(VALU_DEP_2) | instskip(NEXT) | instid1(VALU_DEP_1)
	v_add3_u32 v1, v4, v1, 0x7fff
	v_lshrrev_b32_e32 v1, 16, v1
	s_delay_alu instid0(VALU_DEP_1)
	v_cndmask_b32_e32 v1, 0x7fc0, v1, vcc_lo
	global_store_b32 v[2:3], v1, off
.LBB14_1584:
	s_and_b32 vcc_lo, exec_lo, s8
	s_cbranch_vccz .LBB14_1589
; %bb.1585:
	s_cmp_eq_u32 s3, 44
	s_mov_b32 s0, -1
	s_cbranch_scc0 .LBB14_1589
; %bb.1586:
	v_bfe_u32 v5, v4, 23, 8
	s_wait_xcnt 0x0
	v_mov_b32_e32 v1, 0xff
	s_mov_b32 s7, exec_lo
	s_delay_alu instid0(VALU_DEP_2)
	v_cmpx_ne_u32_e32 0xff, v5
	s_cbranch_execz .LBB14_1588
; %bb.1587:
	v_and_b32_e32 v1, 0x400000, v4
	v_and_or_b32 v5, 0x3fffff, v4, v5
	s_delay_alu instid0(VALU_DEP_2) | instskip(NEXT) | instid1(VALU_DEP_2)
	v_cmp_ne_u32_e32 vcc_lo, 0, v1
	v_cmp_ne_u32_e64 s0, 0, v5
	v_lshrrev_b32_e32 v1, 23, v4
	s_and_b32 s0, vcc_lo, s0
	s_delay_alu instid0(SALU_CYCLE_1) | instskip(NEXT) | instid1(VALU_DEP_1)
	v_cndmask_b32_e64 v5, 0, 1, s0
	v_add_nc_u32_e32 v1, v1, v5
.LBB14_1588:
	s_or_b32 exec_lo, exec_lo, s7
	s_mov_b32 s0, 0
	s_mov_b32 s7, -1
	global_store_b8 v[2:3], v1, off
.LBB14_1589:
	s_mov_b32 s8, 0
.LBB14_1590:
	s_delay_alu instid0(SALU_CYCLE_1)
	s_and_b32 vcc_lo, exec_lo, s8
	s_cbranch_vccz .LBB14_1593
; %bb.1591:
	s_cmp_eq_u32 s3, 29
	s_mov_b32 s0, -1
	s_cbranch_scc0 .LBB14_1593
; %bb.1592:
	s_wait_xcnt 0x0
	v_trunc_f32_e32 v1, v4
	s_mov_b32 s0, 0
	s_mov_b32 s7, -1
	s_delay_alu instid0(VALU_DEP_1) | instskip(NEXT) | instid1(VALU_DEP_1)
	v_mul_f32_e32 v5, 0x2f800000, v1
	v_floor_f32_e32 v5, v5
	s_delay_alu instid0(VALU_DEP_1) | instskip(SKIP_1) | instid1(VALU_DEP_2)
	v_fmamk_f32 v1, v5, 0xcf800000, v1
	v_cvt_u32_f32_e32 v11, v5
	v_cvt_u32_f32_e32 v10, v1
	global_store_b64 v[2:3], v[10:11], off
.LBB14_1593:
	s_mov_b32 s8, 0
.LBB14_1594:
	s_delay_alu instid0(SALU_CYCLE_1)
	s_and_b32 vcc_lo, exec_lo, s8
	s_cbranch_vccz .LBB14_1610
; %bb.1595:
	s_cmp_lt_i32 s3, 27
	s_mov_b32 s7, -1
	s_cbranch_scc1 .LBB14_1601
; %bb.1596:
	s_wait_xcnt 0x0
	v_cvt_u32_f32_e32 v1, v4
	s_cmp_gt_i32 s3, 27
	s_cbranch_scc0 .LBB14_1598
; %bb.1597:
	s_mov_b32 s7, 0
	global_store_b32 v[2:3], v1, off
.LBB14_1598:
	s_and_not1_b32 vcc_lo, exec_lo, s7
	s_cbranch_vccnz .LBB14_1600
; %bb.1599:
	global_store_b16 v[2:3], v1, off
.LBB14_1600:
	s_mov_b32 s7, 0
.LBB14_1601:
	s_delay_alu instid0(SALU_CYCLE_1)
	s_and_not1_b32 vcc_lo, exec_lo, s7
	s_cbranch_vccnz .LBB14_1609
; %bb.1602:
	s_wait_xcnt 0x0
	v_and_b32_e32 v1, 0x7fffffff, v4
	v_mov_b32_e32 v5, 0x80
	s_mov_b32 s7, exec_lo
	s_delay_alu instid0(VALU_DEP_2)
	v_cmpx_gt_u32_e32 0x43800000, v1
	s_cbranch_execz .LBB14_1608
; %bb.1603:
	v_cmp_lt_u32_e32 vcc_lo, 0x3bffffff, v1
	s_mov_b32 s8, 0
                                        ; implicit-def: $vgpr1
	s_and_saveexec_b32 s10, vcc_lo
	s_delay_alu instid0(SALU_CYCLE_1)
	s_xor_b32 s10, exec_lo, s10
	s_cbranch_execz .LBB14_2053
; %bb.1604:
	v_bfe_u32 v1, v4, 20, 1
	s_mov_b32 s8, exec_lo
	s_delay_alu instid0(VALU_DEP_1) | instskip(NEXT) | instid1(VALU_DEP_1)
	v_add3_u32 v1, v4, v1, 0x487ffff
	v_lshrrev_b32_e32 v1, 20, v1
	s_and_not1_saveexec_b32 s10, s10
	s_cbranch_execnz .LBB14_2054
.LBB14_1605:
	s_or_b32 exec_lo, exec_lo, s10
	v_mov_b32_e32 v5, 0
	s_and_saveexec_b32 s10, s8
.LBB14_1606:
	v_lshrrev_b32_e32 v5, 24, v4
	s_delay_alu instid0(VALU_DEP_1)
	v_and_or_b32 v5, 0x80, v5, v1
.LBB14_1607:
	s_or_b32 exec_lo, exec_lo, s10
.LBB14_1608:
	s_delay_alu instid0(SALU_CYCLE_1)
	s_or_b32 exec_lo, exec_lo, s7
	global_store_b8 v[2:3], v5, off
.LBB14_1609:
	s_mov_b32 s7, -1
.LBB14_1610:
	s_mov_b32 s8, 0
.LBB14_1611:
	s_delay_alu instid0(SALU_CYCLE_1)
	s_and_b32 vcc_lo, exec_lo, s8
	s_cbranch_vccz .LBB14_1651
; %bb.1612:
	s_cmp_gt_i32 s3, 22
	s_mov_b32 s6, -1
	s_cbranch_scc0 .LBB14_1644
; %bb.1613:
	s_cmp_lt_i32 s3, 24
	s_cbranch_scc1 .LBB14_1633
; %bb.1614:
	s_cmp_gt_i32 s3, 24
	s_cbranch_scc0 .LBB14_1622
; %bb.1615:
	s_wait_xcnt 0x0
	v_and_b32_e32 v1, 0x7fffffff, v4
	v_mov_b32_e32 v5, 0x80
	s_mov_b32 s6, exec_lo
	s_delay_alu instid0(VALU_DEP_2)
	v_cmpx_gt_u32_e32 0x47800000, v1
	s_cbranch_execz .LBB14_1621
; %bb.1616:
	v_cmp_lt_u32_e32 vcc_lo, 0x37ffffff, v1
	s_mov_b32 s7, 0
                                        ; implicit-def: $vgpr1
	s_and_saveexec_b32 s8, vcc_lo
	s_delay_alu instid0(SALU_CYCLE_1)
	s_xor_b32 s8, exec_lo, s8
	s_cbranch_execz .LBB14_2056
; %bb.1617:
	v_bfe_u32 v1, v4, 21, 1
	s_mov_b32 s7, exec_lo
	s_delay_alu instid0(VALU_DEP_1) | instskip(NEXT) | instid1(VALU_DEP_1)
	v_add3_u32 v1, v4, v1, 0x88fffff
	v_lshrrev_b32_e32 v1, 21, v1
	s_and_not1_saveexec_b32 s8, s8
	s_cbranch_execnz .LBB14_2057
.LBB14_1618:
	s_or_b32 exec_lo, exec_lo, s8
	v_mov_b32_e32 v5, 0
	s_and_saveexec_b32 s8, s7
.LBB14_1619:
	v_lshrrev_b32_e32 v5, 24, v4
	s_delay_alu instid0(VALU_DEP_1)
	v_and_or_b32 v5, 0x80, v5, v1
.LBB14_1620:
	s_or_b32 exec_lo, exec_lo, s8
.LBB14_1621:
	s_delay_alu instid0(SALU_CYCLE_1)
	s_or_b32 exec_lo, exec_lo, s6
	s_mov_b32 s6, 0
	global_store_b8 v[2:3], v5, off
.LBB14_1622:
	s_and_b32 vcc_lo, exec_lo, s6
	s_cbranch_vccz .LBB14_1632
; %bb.1623:
	s_wait_xcnt 0x0
	v_and_b32_e32 v5, 0x7fffffff, v4
	s_mov_b32 s6, exec_lo
                                        ; implicit-def: $vgpr1
	s_delay_alu instid0(VALU_DEP_1)
	v_cmpx_gt_u32_e32 0x43f00000, v5
	s_xor_b32 s6, exec_lo, s6
	s_cbranch_execz .LBB14_1629
; %bb.1624:
	s_mov_b32 s7, exec_lo
                                        ; implicit-def: $vgpr1
	v_cmpx_lt_u32_e32 0x3c7fffff, v5
	s_xor_b32 s7, exec_lo, s7
; %bb.1625:
	v_bfe_u32 v1, v4, 20, 1
	s_delay_alu instid0(VALU_DEP_1) | instskip(NEXT) | instid1(VALU_DEP_1)
	v_add3_u32 v1, v4, v1, 0x407ffff
	v_and_b32_e32 v5, 0xff00000, v1
	v_lshrrev_b32_e32 v1, 20, v1
	s_delay_alu instid0(VALU_DEP_2) | instskip(NEXT) | instid1(VALU_DEP_2)
	v_cmp_ne_u32_e32 vcc_lo, 0x7f00000, v5
	v_cndmask_b32_e32 v1, 0x7e, v1, vcc_lo
; %bb.1626:
	s_and_not1_saveexec_b32 s7, s7
; %bb.1627:
	v_add_f32_e64 v1, 0x46800000, |v4|
; %bb.1628:
	s_or_b32 exec_lo, exec_lo, s7
                                        ; implicit-def: $vgpr5
.LBB14_1629:
	s_and_not1_saveexec_b32 s6, s6
; %bb.1630:
	v_mov_b32_e32 v1, 0x7f
	v_cmp_lt_u32_e32 vcc_lo, 0x7f800000, v5
	s_delay_alu instid0(VALU_DEP_2)
	v_cndmask_b32_e32 v1, 0x7e, v1, vcc_lo
; %bb.1631:
	s_or_b32 exec_lo, exec_lo, s6
	v_lshrrev_b32_e32 v5, 24, v4
	s_delay_alu instid0(VALU_DEP_1)
	v_and_or_b32 v1, 0x80, v5, v1
	global_store_b8 v[2:3], v1, off
.LBB14_1632:
	s_mov_b32 s6, 0
.LBB14_1633:
	s_delay_alu instid0(SALU_CYCLE_1)
	s_and_not1_b32 vcc_lo, exec_lo, s6
	s_cbranch_vccnz .LBB14_1643
; %bb.1634:
	s_wait_xcnt 0x0
	v_and_b32_e32 v5, 0x7fffffff, v4
	s_mov_b32 s6, exec_lo
                                        ; implicit-def: $vgpr1
	s_delay_alu instid0(VALU_DEP_1)
	v_cmpx_gt_u32_e32 0x47800000, v5
	s_xor_b32 s6, exec_lo, s6
	s_cbranch_execz .LBB14_1640
; %bb.1635:
	s_mov_b32 s7, exec_lo
                                        ; implicit-def: $vgpr1
	v_cmpx_lt_u32_e32 0x387fffff, v5
	s_xor_b32 s7, exec_lo, s7
; %bb.1636:
	v_bfe_u32 v1, v4, 21, 1
	s_delay_alu instid0(VALU_DEP_1) | instskip(NEXT) | instid1(VALU_DEP_1)
	v_add3_u32 v1, v4, v1, 0x80fffff
	v_lshrrev_b32_e32 v1, 21, v1
; %bb.1637:
	s_and_not1_saveexec_b32 s7, s7
; %bb.1638:
	v_add_f32_e64 v1, 0x43000000, |v4|
; %bb.1639:
	s_or_b32 exec_lo, exec_lo, s7
                                        ; implicit-def: $vgpr5
.LBB14_1640:
	s_and_not1_saveexec_b32 s6, s6
; %bb.1641:
	v_mov_b32_e32 v1, 0x7f
	v_cmp_lt_u32_e32 vcc_lo, 0x7f800000, v5
	s_delay_alu instid0(VALU_DEP_2)
	v_cndmask_b32_e32 v1, 0x7c, v1, vcc_lo
; %bb.1642:
	s_or_b32 exec_lo, exec_lo, s6
	v_lshrrev_b32_e32 v5, 24, v4
	s_delay_alu instid0(VALU_DEP_1)
	v_and_or_b32 v1, 0x80, v5, v1
	global_store_b8 v[2:3], v1, off
.LBB14_1643:
	s_mov_b32 s6, 0
	s_mov_b32 s7, -1
.LBB14_1644:
	s_and_not1_b32 vcc_lo, exec_lo, s6
	s_mov_b32 s6, 0
	s_cbranch_vccnz .LBB14_1651
; %bb.1645:
	s_cmp_gt_i32 s3, 14
	s_mov_b32 s6, -1
	s_cbranch_scc0 .LBB14_1649
; %bb.1646:
	s_cmp_eq_u32 s3, 15
	s_mov_b32 s0, -1
	s_cbranch_scc0 .LBB14_1648
; %bb.1647:
	s_wait_xcnt 0x0
	v_bfe_u32 v1, v4, 16, 1
	v_cmp_o_f32_e32 vcc_lo, v4, v4
	s_mov_b32 s0, 0
	s_mov_b32 s7, -1
	s_delay_alu instid0(VALU_DEP_2) | instskip(NEXT) | instid1(VALU_DEP_1)
	v_add3_u32 v1, v4, v1, 0x7fff
	v_lshrrev_b32_e32 v1, 16, v1
	s_delay_alu instid0(VALU_DEP_1)
	v_cndmask_b32_e32 v1, 0x7fc0, v1, vcc_lo
	global_store_b16 v[2:3], v1, off
.LBB14_1648:
	s_mov_b32 s6, 0
.LBB14_1649:
	s_delay_alu instid0(SALU_CYCLE_1)
	s_and_b32 vcc_lo, exec_lo, s6
	s_mov_b32 s6, 0
	s_cbranch_vccz .LBB14_1651
; %bb.1650:
	s_cmp_lg_u32 s3, 11
	s_mov_b32 s6, -1
	s_cselect_b32 s0, -1, 0
.LBB14_1651:
	s_delay_alu instid0(SALU_CYCLE_1)
	s_and_b32 vcc_lo, exec_lo, s0
	s_cbranch_vccnz .LBB14_2055
; %bb.1652:
	s_and_not1_b32 vcc_lo, exec_lo, s6
	s_cbranch_vccnz .LBB14_1654
.LBB14_1653:
	v_cmp_neq_f32_e32 vcc_lo, 0, v4
	s_mov_b32 s7, -1
	s_wait_xcnt 0x0
	v_cndmask_b32_e64 v1, 0, 1, vcc_lo
	global_store_b8 v[2:3], v1, off
.LBB14_1654:
.LBB14_1655:
	s_and_not1_b32 vcc_lo, exec_lo, s7
	s_cbranch_vccz .LBB14_1695
	s_branch .LBB14_2007
.LBB14_1656:
	s_and_b32 vcc_lo, exec_lo, s0
	s_cbranch_vccz .LBB14_1655
; %bb.1657:
	s_and_b32 s0, 0xffff, s1
	s_mov_b32 s3, -1
	s_cmp_lt_i32 s0, 5
	s_cbranch_scc1 .LBB14_1678
; %bb.1658:
	s_cmp_lt_i32 s0, 8
	s_cbranch_scc1 .LBB14_1668
; %bb.1659:
	;; [unrolled: 3-line block ×3, first 2 shown]
	s_cmp_gt_i32 s0, 9
	s_cbranch_scc0 .LBB14_1662
; %bb.1661:
	v_cvt_f64_f32_e32 v[22:23], v4
	v_mov_b32_e32 v24, 0
	s_mov_b32 s3, 0
	s_delay_alu instid0(VALU_DEP_1)
	v_mov_b32_e32 v25, v24
	global_store_b128 v[2:3], v[22:25], off
.LBB14_1662:
	s_and_not1_b32 vcc_lo, exec_lo, s3
	s_cbranch_vccnz .LBB14_1664
; %bb.1663:
	s_wait_xcnt 0x0
	v_mov_b32_e32 v5, 0
	global_store_b64 v[2:3], v[4:5], off
.LBB14_1664:
	s_mov_b32 s3, 0
.LBB14_1665:
	s_delay_alu instid0(SALU_CYCLE_1)
	s_and_not1_b32 vcc_lo, exec_lo, s3
	s_cbranch_vccnz .LBB14_1667
; %bb.1666:
	s_wait_xcnt 0x0
	v_cvt_f16_f32_e32 v1, v4
	s_delay_alu instid0(VALU_DEP_1)
	v_and_b32_e32 v1, 0xffff, v1
	global_store_b32 v[2:3], v1, off
.LBB14_1667:
	s_mov_b32 s3, 0
.LBB14_1668:
	s_delay_alu instid0(SALU_CYCLE_1)
	s_and_not1_b32 vcc_lo, exec_lo, s3
	s_cbranch_vccnz .LBB14_1677
; %bb.1669:
	s_cmp_lt_i32 s0, 6
	s_mov_b32 s3, -1
	s_cbranch_scc1 .LBB14_1675
; %bb.1670:
	s_cmp_gt_i32 s0, 6
	s_cbranch_scc0 .LBB14_1672
; %bb.1671:
	s_wait_xcnt 0x0
	v_cvt_f64_f32_e32 v[10:11], v4
	s_mov_b32 s3, 0
	global_store_b64 v[2:3], v[10:11], off
.LBB14_1672:
	s_and_not1_b32 vcc_lo, exec_lo, s3
	s_cbranch_vccnz .LBB14_1674
; %bb.1673:
	global_store_b32 v[2:3], v4, off
.LBB14_1674:
	s_mov_b32 s3, 0
.LBB14_1675:
	s_delay_alu instid0(SALU_CYCLE_1)
	s_and_not1_b32 vcc_lo, exec_lo, s3
	s_cbranch_vccnz .LBB14_1677
; %bb.1676:
	s_wait_xcnt 0x0
	v_cvt_f16_f32_e32 v1, v4
	global_store_b16 v[2:3], v1, off
.LBB14_1677:
	s_mov_b32 s3, 0
.LBB14_1678:
	s_delay_alu instid0(SALU_CYCLE_1)
	s_and_not1_b32 vcc_lo, exec_lo, s3
	s_cbranch_vccnz .LBB14_1694
; %bb.1679:
	s_cmp_lt_i32 s0, 2
	s_mov_b32 s3, -1
	s_cbranch_scc1 .LBB14_1689
; %bb.1680:
	s_cmp_lt_i32 s0, 3
	s_cbranch_scc1 .LBB14_1686
; %bb.1681:
	s_cmp_gt_i32 s0, 3
	s_cbranch_scc0 .LBB14_1683
; %bb.1682:
	s_wait_xcnt 0x0
	v_trunc_f32_e32 v1, v4
	s_mov_b32 s3, 0
	s_delay_alu instid0(VALU_DEP_1) | instskip(SKIP_1) | instid1(VALU_DEP_2)
	v_mul_f32_e64 v5, 0x2f800000, |v1|
	v_ashrrev_i32_e32 v10, 31, v1
	v_floor_f32_e32 v5, v5
	s_delay_alu instid0(VALU_DEP_1) | instskip(SKIP_1) | instid1(VALU_DEP_4)
	v_fma_f32 v9, 0xcf800000, v5, |v1|
	v_cvt_u32_f32_e32 v1, v5
	v_mov_b32_e32 v11, v10
	s_delay_alu instid0(VALU_DEP_3) | instskip(NEXT) | instid1(VALU_DEP_3)
	v_cvt_u32_f32_e32 v5, v9
	v_xor_b32_e32 v23, v1, v10
	s_delay_alu instid0(VALU_DEP_2) | instskip(NEXT) | instid1(VALU_DEP_1)
	v_xor_b32_e32 v22, v5, v10
	v_sub_nc_u64_e32 v[10:11], v[22:23], v[10:11]
	global_store_b64 v[2:3], v[10:11], off
.LBB14_1683:
	s_and_not1_b32 vcc_lo, exec_lo, s3
	s_cbranch_vccnz .LBB14_1685
; %bb.1684:
	s_wait_xcnt 0x0
	v_cvt_i32_f32_e32 v1, v4
	global_store_b32 v[2:3], v1, off
.LBB14_1685:
	s_mov_b32 s3, 0
.LBB14_1686:
	s_delay_alu instid0(SALU_CYCLE_1)
	s_and_not1_b32 vcc_lo, exec_lo, s3
	s_cbranch_vccnz .LBB14_1688
; %bb.1687:
	s_wait_xcnt 0x0
	v_cvt_i32_f32_e32 v1, v4
	global_store_b16 v[2:3], v1, off
.LBB14_1688:
	s_mov_b32 s3, 0
.LBB14_1689:
	s_delay_alu instid0(SALU_CYCLE_1)
	s_and_not1_b32 vcc_lo, exec_lo, s3
	s_cbranch_vccnz .LBB14_1694
; %bb.1690:
	s_cmp_gt_i32 s0, 0
	s_mov_b32 s0, -1
	s_cbranch_scc0 .LBB14_1692
; %bb.1691:
	s_wait_xcnt 0x0
	v_cvt_i32_f32_e32 v1, v4
	s_mov_b32 s0, 0
	global_store_b8 v[2:3], v1, off
.LBB14_1692:
	s_and_not1_b32 vcc_lo, exec_lo, s0
	s_cbranch_vccnz .LBB14_1694
; %bb.1693:
	s_wait_xcnt 0x0
	v_trunc_f32_e32 v1, v4
	s_delay_alu instid0(VALU_DEP_1) | instskip(NEXT) | instid1(VALU_DEP_1)
	v_mul_f32_e64 v4, 0x2f800000, |v1|
	v_floor_f32_e32 v4, v4
	s_delay_alu instid0(VALU_DEP_1) | instskip(SKIP_1) | instid1(VALU_DEP_2)
	v_fma_f32 v4, 0xcf800000, v4, |v1|
	v_ashrrev_i32_e32 v1, 31, v1
	v_cvt_u32_f32_e32 v4, v4
	s_delay_alu instid0(VALU_DEP_1) | instskip(NEXT) | instid1(VALU_DEP_1)
	v_xor_b32_e32 v4, v4, v1
	v_sub_nc_u32_e32 v1, v4, v1
	global_store_b8 v[2:3], v1, off
.LBB14_1694:
.LBB14_1695:
	s_wait_xcnt 0x0
	v_dual_mul_f32 v1, v13, v13 :: v_dual_bitop2_b32 v4, 1, v15 bitop3:0x40
	s_mov_b32 s0, 0xb94c1982
	s_mov_b32 s3, 0x37d75334
	s_lshl_b32 s2, s2, 7
	s_delay_alu instid0(VALU_DEP_1) | instskip(SKIP_3) | instid1(VALU_DEP_3)
	v_dual_fmaak_f32 v2, s0, v1, 0x3c0881c4 :: v_dual_lshlrev_b32 v5, 30, v15
	v_cmp_eq_u32_e32 vcc_lo, 0, v4
	v_xor_b32_e32 v4, v12, v6
	s_mov_b32 s7, 0
	v_fmaak_f32 v2, v1, v2, 0xbe2aaa9d
	v_fmaak_f32 v3, s3, v1, 0xbab64f3b
	s_cmp_lt_i32 s1, 11
	s_mov_b32 s0, -1
	s_delay_alu instid0(VALU_DEP_2) | instskip(NEXT) | instid1(VALU_DEP_2)
	v_dual_add_nc_u32 v0, s2, v0 :: v_dual_mul_f32 v2, v1, v2
	v_fmaak_f32 v3, v1, v3, 0x3d2aabf7
	s_delay_alu instid0(VALU_DEP_2) | instskip(NEXT) | instid1(VALU_DEP_2)
	v_fmac_f32_e32 v13, v13, v2
	v_fmaak_f32 v3, v1, v3, 0xbf000004
	v_and_b32_e32 v2, 0x80000000, v5
	s_delay_alu instid0(VALU_DEP_2) | instskip(NEXT) | instid1(VALU_DEP_1)
	v_fma_f32 v1, v1, v3, 1.0
	v_dual_cndmask_b32 v3, v1, v13, vcc_lo :: v_dual_ashrrev_i32 v1, 31, v0
	v_cmp_class_f32_e64 vcc_lo, v6, 0x1f8
	s_delay_alu instid0(VALU_DEP_2) | instskip(NEXT) | instid1(VALU_DEP_3)
	v_xor3_b32 v4, v4, v2, v3
	v_add_nc_u64_e32 v[2:3], s[4:5], v[0:1]
	s_delay_alu instid0(VALU_DEP_2)
	v_cndmask_b32_e32 v4, 0x7fc00000, v4, vcc_lo
	s_cbranch_scc1 .LBB14_1774
; %bb.1696:
	s_and_b32 s3, 0xffff, s1
	s_mov_b32 s8, -1
	s_mov_b32 s6, 0
	s_cmp_gt_i32 s3, 25
	s_mov_b32 s0, 0
	s_cbranch_scc0 .LBB14_1729
; %bb.1697:
	s_cmp_gt_i32 s3, 28
	s_cbranch_scc0 .LBB14_1712
; %bb.1698:
	s_cmp_gt_i32 s3, 43
	;; [unrolled: 3-line block ×3, first 2 shown]
	s_cbranch_scc0 .LBB14_1702
; %bb.1700:
	s_mov_b32 s0, -1
	s_mov_b32 s8, 0
	s_cmp_eq_u32 s3, 46
	s_cbranch_scc0 .LBB14_1702
; %bb.1701:
	v_bfe_u32 v1, v4, 16, 1
	v_cmp_o_f32_e32 vcc_lo, v4, v4
	s_mov_b32 s0, 0
	s_mov_b32 s7, -1
	s_delay_alu instid0(VALU_DEP_2) | instskip(NEXT) | instid1(VALU_DEP_1)
	v_add3_u32 v1, v4, v1, 0x7fff
	v_lshrrev_b32_e32 v1, 16, v1
	s_delay_alu instid0(VALU_DEP_1)
	v_cndmask_b32_e32 v1, 0x7fc0, v1, vcc_lo
	global_store_b32 v[2:3], v1, off
.LBB14_1702:
	s_and_b32 vcc_lo, exec_lo, s8
	s_cbranch_vccz .LBB14_1707
; %bb.1703:
	s_cmp_eq_u32 s3, 44
	s_mov_b32 s0, -1
	s_cbranch_scc0 .LBB14_1707
; %bb.1704:
	v_bfe_u32 v5, v4, 23, 8
	s_wait_xcnt 0x0
	v_mov_b32_e32 v1, 0xff
	s_mov_b32 s7, exec_lo
	s_delay_alu instid0(VALU_DEP_2)
	v_cmpx_ne_u32_e32 0xff, v5
	s_cbranch_execz .LBB14_1706
; %bb.1705:
	v_and_b32_e32 v1, 0x400000, v4
	v_and_or_b32 v5, 0x3fffff, v4, v5
	s_delay_alu instid0(VALU_DEP_2) | instskip(NEXT) | instid1(VALU_DEP_2)
	v_cmp_ne_u32_e32 vcc_lo, 0, v1
	v_cmp_ne_u32_e64 s0, 0, v5
	v_lshrrev_b32_e32 v1, 23, v4
	s_and_b32 s0, vcc_lo, s0
	s_delay_alu instid0(SALU_CYCLE_1) | instskip(NEXT) | instid1(VALU_DEP_1)
	v_cndmask_b32_e64 v5, 0, 1, s0
	v_add_nc_u32_e32 v1, v1, v5
.LBB14_1706:
	s_or_b32 exec_lo, exec_lo, s7
	s_mov_b32 s0, 0
	s_mov_b32 s7, -1
	global_store_b8 v[2:3], v1, off
.LBB14_1707:
	s_mov_b32 s8, 0
.LBB14_1708:
	s_delay_alu instid0(SALU_CYCLE_1)
	s_and_b32 vcc_lo, exec_lo, s8
	s_cbranch_vccz .LBB14_1711
; %bb.1709:
	s_cmp_eq_u32 s3, 29
	s_mov_b32 s0, -1
	s_cbranch_scc0 .LBB14_1711
; %bb.1710:
	s_wait_xcnt 0x0
	v_trunc_f32_e32 v1, v4
	s_mov_b32 s0, 0
	s_mov_b32 s7, -1
	s_delay_alu instid0(VALU_DEP_1) | instskip(NEXT) | instid1(VALU_DEP_1)
	v_mul_f32_e32 v5, 0x2f800000, v1
	v_floor_f32_e32 v5, v5
	s_delay_alu instid0(VALU_DEP_1) | instskip(SKIP_1) | instid1(VALU_DEP_2)
	v_fmamk_f32 v1, v5, 0xcf800000, v1
	v_cvt_u32_f32_e32 v11, v5
	v_cvt_u32_f32_e32 v10, v1
	global_store_b64 v[2:3], v[10:11], off
.LBB14_1711:
	s_mov_b32 s8, 0
.LBB14_1712:
	s_delay_alu instid0(SALU_CYCLE_1)
	s_and_b32 vcc_lo, exec_lo, s8
	s_cbranch_vccz .LBB14_1728
; %bb.1713:
	s_cmp_lt_i32 s3, 27
	s_mov_b32 s7, -1
	s_cbranch_scc1 .LBB14_1719
; %bb.1714:
	s_wait_xcnt 0x0
	v_cvt_u32_f32_e32 v1, v4
	s_cmp_gt_i32 s3, 27
	s_cbranch_scc0 .LBB14_1716
; %bb.1715:
	s_mov_b32 s7, 0
	global_store_b32 v[2:3], v1, off
.LBB14_1716:
	s_and_not1_b32 vcc_lo, exec_lo, s7
	s_cbranch_vccnz .LBB14_1718
; %bb.1717:
	global_store_b16 v[2:3], v1, off
.LBB14_1718:
	s_mov_b32 s7, 0
.LBB14_1719:
	s_delay_alu instid0(SALU_CYCLE_1)
	s_and_not1_b32 vcc_lo, exec_lo, s7
	s_cbranch_vccnz .LBB14_1727
; %bb.1720:
	s_wait_xcnt 0x0
	v_and_b32_e32 v1, 0x7fffffff, v4
	v_mov_b32_e32 v5, 0x80
	s_mov_b32 s7, exec_lo
	s_delay_alu instid0(VALU_DEP_2)
	v_cmpx_gt_u32_e32 0x43800000, v1
	s_cbranch_execz .LBB14_1726
; %bb.1721:
	v_cmp_lt_u32_e32 vcc_lo, 0x3bffffff, v1
	s_mov_b32 s8, 0
                                        ; implicit-def: $vgpr1
	s_and_saveexec_b32 s10, vcc_lo
	s_delay_alu instid0(SALU_CYCLE_1)
	s_xor_b32 s10, exec_lo, s10
	s_cbranch_execz .LBB14_2058
; %bb.1722:
	v_bfe_u32 v1, v4, 20, 1
	s_mov_b32 s8, exec_lo
	s_delay_alu instid0(VALU_DEP_1) | instskip(NEXT) | instid1(VALU_DEP_1)
	v_add3_u32 v1, v4, v1, 0x487ffff
	v_lshrrev_b32_e32 v1, 20, v1
	s_and_not1_saveexec_b32 s10, s10
	s_cbranch_execnz .LBB14_2059
.LBB14_1723:
	s_or_b32 exec_lo, exec_lo, s10
	v_mov_b32_e32 v5, 0
	s_and_saveexec_b32 s10, s8
.LBB14_1724:
	v_lshrrev_b32_e32 v5, 24, v4
	s_delay_alu instid0(VALU_DEP_1)
	v_and_or_b32 v5, 0x80, v5, v1
.LBB14_1725:
	s_or_b32 exec_lo, exec_lo, s10
.LBB14_1726:
	s_delay_alu instid0(SALU_CYCLE_1)
	s_or_b32 exec_lo, exec_lo, s7
	global_store_b8 v[2:3], v5, off
.LBB14_1727:
	s_mov_b32 s7, -1
.LBB14_1728:
	s_mov_b32 s8, 0
.LBB14_1729:
	s_delay_alu instid0(SALU_CYCLE_1)
	s_and_b32 vcc_lo, exec_lo, s8
	s_cbranch_vccz .LBB14_1769
; %bb.1730:
	s_cmp_gt_i32 s3, 22
	s_mov_b32 s6, -1
	s_cbranch_scc0 .LBB14_1762
; %bb.1731:
	s_cmp_lt_i32 s3, 24
	s_cbranch_scc1 .LBB14_1751
; %bb.1732:
	s_cmp_gt_i32 s3, 24
	s_cbranch_scc0 .LBB14_1740
; %bb.1733:
	s_wait_xcnt 0x0
	v_and_b32_e32 v1, 0x7fffffff, v4
	v_mov_b32_e32 v5, 0x80
	s_mov_b32 s6, exec_lo
	s_delay_alu instid0(VALU_DEP_2)
	v_cmpx_gt_u32_e32 0x47800000, v1
	s_cbranch_execz .LBB14_1739
; %bb.1734:
	v_cmp_lt_u32_e32 vcc_lo, 0x37ffffff, v1
	s_mov_b32 s7, 0
                                        ; implicit-def: $vgpr1
	s_and_saveexec_b32 s8, vcc_lo
	s_delay_alu instid0(SALU_CYCLE_1)
	s_xor_b32 s8, exec_lo, s8
	s_cbranch_execz .LBB14_2061
; %bb.1735:
	v_bfe_u32 v1, v4, 21, 1
	s_mov_b32 s7, exec_lo
	s_delay_alu instid0(VALU_DEP_1) | instskip(NEXT) | instid1(VALU_DEP_1)
	v_add3_u32 v1, v4, v1, 0x88fffff
	v_lshrrev_b32_e32 v1, 21, v1
	s_and_not1_saveexec_b32 s8, s8
	s_cbranch_execnz .LBB14_2062
.LBB14_1736:
	s_or_b32 exec_lo, exec_lo, s8
	v_mov_b32_e32 v5, 0
	s_and_saveexec_b32 s8, s7
.LBB14_1737:
	v_lshrrev_b32_e32 v5, 24, v4
	s_delay_alu instid0(VALU_DEP_1)
	v_and_or_b32 v5, 0x80, v5, v1
.LBB14_1738:
	s_or_b32 exec_lo, exec_lo, s8
.LBB14_1739:
	s_delay_alu instid0(SALU_CYCLE_1)
	s_or_b32 exec_lo, exec_lo, s6
	s_mov_b32 s6, 0
	global_store_b8 v[2:3], v5, off
.LBB14_1740:
	s_and_b32 vcc_lo, exec_lo, s6
	s_cbranch_vccz .LBB14_1750
; %bb.1741:
	s_wait_xcnt 0x0
	v_and_b32_e32 v5, 0x7fffffff, v4
	s_mov_b32 s6, exec_lo
                                        ; implicit-def: $vgpr1
	s_delay_alu instid0(VALU_DEP_1)
	v_cmpx_gt_u32_e32 0x43f00000, v5
	s_xor_b32 s6, exec_lo, s6
	s_cbranch_execz .LBB14_1747
; %bb.1742:
	s_mov_b32 s7, exec_lo
                                        ; implicit-def: $vgpr1
	v_cmpx_lt_u32_e32 0x3c7fffff, v5
	s_xor_b32 s7, exec_lo, s7
; %bb.1743:
	v_bfe_u32 v1, v4, 20, 1
	s_delay_alu instid0(VALU_DEP_1) | instskip(NEXT) | instid1(VALU_DEP_1)
	v_add3_u32 v1, v4, v1, 0x407ffff
	v_and_b32_e32 v5, 0xff00000, v1
	v_lshrrev_b32_e32 v1, 20, v1
	s_delay_alu instid0(VALU_DEP_2) | instskip(NEXT) | instid1(VALU_DEP_2)
	v_cmp_ne_u32_e32 vcc_lo, 0x7f00000, v5
	v_cndmask_b32_e32 v1, 0x7e, v1, vcc_lo
; %bb.1744:
	s_and_not1_saveexec_b32 s7, s7
; %bb.1745:
	v_add_f32_e64 v1, 0x46800000, |v4|
; %bb.1746:
	s_or_b32 exec_lo, exec_lo, s7
                                        ; implicit-def: $vgpr5
.LBB14_1747:
	s_and_not1_saveexec_b32 s6, s6
; %bb.1748:
	v_mov_b32_e32 v1, 0x7f
	v_cmp_lt_u32_e32 vcc_lo, 0x7f800000, v5
	s_delay_alu instid0(VALU_DEP_2)
	v_cndmask_b32_e32 v1, 0x7e, v1, vcc_lo
; %bb.1749:
	s_or_b32 exec_lo, exec_lo, s6
	v_lshrrev_b32_e32 v5, 24, v4
	s_delay_alu instid0(VALU_DEP_1)
	v_and_or_b32 v1, 0x80, v5, v1
	global_store_b8 v[2:3], v1, off
.LBB14_1750:
	s_mov_b32 s6, 0
.LBB14_1751:
	s_delay_alu instid0(SALU_CYCLE_1)
	s_and_not1_b32 vcc_lo, exec_lo, s6
	s_cbranch_vccnz .LBB14_1761
; %bb.1752:
	s_wait_xcnt 0x0
	v_and_b32_e32 v5, 0x7fffffff, v4
	s_mov_b32 s6, exec_lo
                                        ; implicit-def: $vgpr1
	s_delay_alu instid0(VALU_DEP_1)
	v_cmpx_gt_u32_e32 0x47800000, v5
	s_xor_b32 s6, exec_lo, s6
	s_cbranch_execz .LBB14_1758
; %bb.1753:
	s_mov_b32 s7, exec_lo
                                        ; implicit-def: $vgpr1
	v_cmpx_lt_u32_e32 0x387fffff, v5
	s_xor_b32 s7, exec_lo, s7
; %bb.1754:
	v_bfe_u32 v1, v4, 21, 1
	s_delay_alu instid0(VALU_DEP_1) | instskip(NEXT) | instid1(VALU_DEP_1)
	v_add3_u32 v1, v4, v1, 0x80fffff
	v_lshrrev_b32_e32 v1, 21, v1
; %bb.1755:
	s_and_not1_saveexec_b32 s7, s7
; %bb.1756:
	v_add_f32_e64 v1, 0x43000000, |v4|
; %bb.1757:
	s_or_b32 exec_lo, exec_lo, s7
                                        ; implicit-def: $vgpr5
.LBB14_1758:
	s_and_not1_saveexec_b32 s6, s6
; %bb.1759:
	v_mov_b32_e32 v1, 0x7f
	v_cmp_lt_u32_e32 vcc_lo, 0x7f800000, v5
	s_delay_alu instid0(VALU_DEP_2)
	v_cndmask_b32_e32 v1, 0x7c, v1, vcc_lo
; %bb.1760:
	s_or_b32 exec_lo, exec_lo, s6
	v_lshrrev_b32_e32 v5, 24, v4
	s_delay_alu instid0(VALU_DEP_1)
	v_and_or_b32 v1, 0x80, v5, v1
	global_store_b8 v[2:3], v1, off
.LBB14_1761:
	s_mov_b32 s6, 0
	s_mov_b32 s7, -1
.LBB14_1762:
	s_and_not1_b32 vcc_lo, exec_lo, s6
	s_mov_b32 s6, 0
	s_cbranch_vccnz .LBB14_1769
; %bb.1763:
	s_cmp_gt_i32 s3, 14
	s_mov_b32 s6, -1
	s_cbranch_scc0 .LBB14_1767
; %bb.1764:
	s_cmp_eq_u32 s3, 15
	s_mov_b32 s0, -1
	s_cbranch_scc0 .LBB14_1766
; %bb.1765:
	s_wait_xcnt 0x0
	v_bfe_u32 v1, v4, 16, 1
	v_cmp_o_f32_e32 vcc_lo, v4, v4
	s_mov_b32 s0, 0
	s_mov_b32 s7, -1
	s_delay_alu instid0(VALU_DEP_2) | instskip(NEXT) | instid1(VALU_DEP_1)
	v_add3_u32 v1, v4, v1, 0x7fff
	v_lshrrev_b32_e32 v1, 16, v1
	s_delay_alu instid0(VALU_DEP_1)
	v_cndmask_b32_e32 v1, 0x7fc0, v1, vcc_lo
	global_store_b16 v[2:3], v1, off
.LBB14_1766:
	s_mov_b32 s6, 0
.LBB14_1767:
	s_delay_alu instid0(SALU_CYCLE_1)
	s_and_b32 vcc_lo, exec_lo, s6
	s_mov_b32 s6, 0
	s_cbranch_vccz .LBB14_1769
; %bb.1768:
	s_cmp_lg_u32 s3, 11
	s_mov_b32 s6, -1
	s_cselect_b32 s0, -1, 0
.LBB14_1769:
	s_delay_alu instid0(SALU_CYCLE_1)
	s_and_b32 vcc_lo, exec_lo, s0
	s_cbranch_vccnz .LBB14_2060
; %bb.1770:
	s_and_not1_b32 vcc_lo, exec_lo, s6
	s_cbranch_vccnz .LBB14_1772
.LBB14_1771:
	v_cmp_neq_f32_e32 vcc_lo, 0, v4
	s_mov_b32 s7, -1
	s_wait_xcnt 0x0
	v_cndmask_b32_e64 v1, 0, 1, vcc_lo
	global_store_b8 v[2:3], v1, off
.LBB14_1772:
.LBB14_1773:
	s_and_not1_b32 vcc_lo, exec_lo, s7
	s_cbranch_vccz .LBB14_1813
	s_branch .LBB14_2007
.LBB14_1774:
	s_and_b32 vcc_lo, exec_lo, s0
	s_cbranch_vccz .LBB14_1773
; %bb.1775:
	s_and_b32 s0, 0xffff, s1
	s_mov_b32 s3, -1
	s_cmp_lt_i32 s0, 5
	s_cbranch_scc1 .LBB14_1796
; %bb.1776:
	s_cmp_lt_i32 s0, 8
	s_cbranch_scc1 .LBB14_1786
; %bb.1777:
	;; [unrolled: 3-line block ×3, first 2 shown]
	s_cmp_gt_i32 s0, 9
	s_cbranch_scc0 .LBB14_1780
; %bb.1779:
	s_wait_xcnt 0x0
	v_cvt_f64_f32_e32 v[10:11], v4
	v_mov_b32_e32 v12, 0
	s_mov_b32 s3, 0
	s_delay_alu instid0(VALU_DEP_1)
	v_mov_b32_e32 v13, v12
	global_store_b128 v[2:3], v[10:13], off
.LBB14_1780:
	s_and_not1_b32 vcc_lo, exec_lo, s3
	s_cbranch_vccnz .LBB14_1782
; %bb.1781:
	s_wait_xcnt 0x0
	v_mov_b32_e32 v5, 0
	global_store_b64 v[2:3], v[4:5], off
.LBB14_1782:
	s_mov_b32 s3, 0
.LBB14_1783:
	s_delay_alu instid0(SALU_CYCLE_1)
	s_and_not1_b32 vcc_lo, exec_lo, s3
	s_cbranch_vccnz .LBB14_1785
; %bb.1784:
	s_wait_xcnt 0x0
	v_cvt_f16_f32_e32 v1, v4
	s_delay_alu instid0(VALU_DEP_1)
	v_and_b32_e32 v1, 0xffff, v1
	global_store_b32 v[2:3], v1, off
.LBB14_1785:
	s_mov_b32 s3, 0
.LBB14_1786:
	s_delay_alu instid0(SALU_CYCLE_1)
	s_and_not1_b32 vcc_lo, exec_lo, s3
	s_cbranch_vccnz .LBB14_1795
; %bb.1787:
	s_cmp_lt_i32 s0, 6
	s_mov_b32 s3, -1
	s_cbranch_scc1 .LBB14_1793
; %bb.1788:
	s_cmp_gt_i32 s0, 6
	s_cbranch_scc0 .LBB14_1790
; %bb.1789:
	s_wait_xcnt 0x0
	v_cvt_f64_f32_e32 v[10:11], v4
	s_mov_b32 s3, 0
	global_store_b64 v[2:3], v[10:11], off
.LBB14_1790:
	s_and_not1_b32 vcc_lo, exec_lo, s3
	s_cbranch_vccnz .LBB14_1792
; %bb.1791:
	global_store_b32 v[2:3], v4, off
.LBB14_1792:
	s_mov_b32 s3, 0
.LBB14_1793:
	s_delay_alu instid0(SALU_CYCLE_1)
	s_and_not1_b32 vcc_lo, exec_lo, s3
	s_cbranch_vccnz .LBB14_1795
; %bb.1794:
	s_wait_xcnt 0x0
	v_cvt_f16_f32_e32 v1, v4
	global_store_b16 v[2:3], v1, off
.LBB14_1795:
	s_mov_b32 s3, 0
.LBB14_1796:
	s_delay_alu instid0(SALU_CYCLE_1)
	s_and_not1_b32 vcc_lo, exec_lo, s3
	s_cbranch_vccnz .LBB14_1812
; %bb.1797:
	s_cmp_lt_i32 s0, 2
	s_mov_b32 s3, -1
	s_cbranch_scc1 .LBB14_1807
; %bb.1798:
	s_cmp_lt_i32 s0, 3
	s_cbranch_scc1 .LBB14_1804
; %bb.1799:
	s_cmp_gt_i32 s0, 3
	s_cbranch_scc0 .LBB14_1801
; %bb.1800:
	s_wait_xcnt 0x0
	v_trunc_f32_e32 v1, v4
	s_mov_b32 s3, 0
	s_delay_alu instid0(VALU_DEP_1) | instskip(SKIP_1) | instid1(VALU_DEP_2)
	v_mul_f32_e64 v5, 0x2f800000, |v1|
	v_ashrrev_i32_e32 v10, 31, v1
	v_floor_f32_e32 v5, v5
	s_delay_alu instid0(VALU_DEP_1) | instskip(SKIP_1) | instid1(VALU_DEP_4)
	v_fma_f32 v6, 0xcf800000, v5, |v1|
	v_cvt_u32_f32_e32 v1, v5
	v_mov_b32_e32 v11, v10
	s_delay_alu instid0(VALU_DEP_3) | instskip(NEXT) | instid1(VALU_DEP_3)
	v_cvt_u32_f32_e32 v5, v6
	v_xor_b32_e32 v13, v1, v10
	s_delay_alu instid0(VALU_DEP_2) | instskip(NEXT) | instid1(VALU_DEP_1)
	v_xor_b32_e32 v12, v5, v10
	v_sub_nc_u64_e32 v[10:11], v[12:13], v[10:11]
	global_store_b64 v[2:3], v[10:11], off
.LBB14_1801:
	s_and_not1_b32 vcc_lo, exec_lo, s3
	s_cbranch_vccnz .LBB14_1803
; %bb.1802:
	s_wait_xcnt 0x0
	v_cvt_i32_f32_e32 v1, v4
	global_store_b32 v[2:3], v1, off
.LBB14_1803:
	s_mov_b32 s3, 0
.LBB14_1804:
	s_delay_alu instid0(SALU_CYCLE_1)
	s_and_not1_b32 vcc_lo, exec_lo, s3
	s_cbranch_vccnz .LBB14_1806
; %bb.1805:
	s_wait_xcnt 0x0
	v_cvt_i32_f32_e32 v1, v4
	global_store_b16 v[2:3], v1, off
.LBB14_1806:
	s_mov_b32 s3, 0
.LBB14_1807:
	s_delay_alu instid0(SALU_CYCLE_1)
	s_and_not1_b32 vcc_lo, exec_lo, s3
	s_cbranch_vccnz .LBB14_1812
; %bb.1808:
	s_cmp_gt_i32 s0, 0
	s_mov_b32 s0, -1
	s_cbranch_scc0 .LBB14_1810
; %bb.1809:
	s_wait_xcnt 0x0
	v_cvt_i32_f32_e32 v1, v4
	s_mov_b32 s0, 0
	global_store_b8 v[2:3], v1, off
.LBB14_1810:
	s_and_not1_b32 vcc_lo, exec_lo, s0
	s_cbranch_vccnz .LBB14_1812
; %bb.1811:
	s_wait_xcnt 0x0
	v_trunc_f32_e32 v1, v4
	s_delay_alu instid0(VALU_DEP_1) | instskip(NEXT) | instid1(VALU_DEP_1)
	v_mul_f32_e64 v4, 0x2f800000, |v1|
	v_floor_f32_e32 v4, v4
	s_delay_alu instid0(VALU_DEP_1) | instskip(SKIP_1) | instid1(VALU_DEP_2)
	v_fma_f32 v4, 0xcf800000, v4, |v1|
	v_ashrrev_i32_e32 v1, 31, v1
	v_cvt_u32_f32_e32 v4, v4
	s_delay_alu instid0(VALU_DEP_1) | instskip(NEXT) | instid1(VALU_DEP_1)
	v_xor_b32_e32 v4, v4, v1
	v_sub_nc_u32_e32 v1, v4, v1
	global_store_b8 v[2:3], v1, off
.LBB14_1812:
.LBB14_1813:
	s_wait_xcnt 0x0
	v_dual_mul_f32 v1, v16, v16 :: v_dual_bitop2_b32 v4, 1, v18 bitop3:0x40
	s_mov_b32 s0, 0xb94c1982
	s_mov_b32 s3, 0x37d75334
	;; [unrolled: 1-line block ×3, first 2 shown]
	s_delay_alu instid0(VALU_DEP_1) | instskip(SKIP_3) | instid1(VALU_DEP_2)
	v_dual_fmaak_f32 v2, s0, v1, 0x3c0881c4 :: v_dual_lshlrev_b32 v5, 30, v18
	v_cmp_eq_u32_e32 vcc_lo, 0, v4
	s_cmp_lt_i32 s1, 11
	s_mov_b32 s0, -1
	v_fmaak_f32 v2, v1, v2, 0xbe2aaa9d
	v_fmaak_f32 v3, s3, v1, 0xbab64f3b
	v_dual_add_nc_u32 v0, s2, v0 :: v_dual_bitop2_b32 v4, v14, v7 bitop3:0x14
	s_delay_alu instid0(VALU_DEP_2) | instskip(NEXT) | instid1(VALU_DEP_1)
	v_dual_mul_f32 v2, v1, v2 :: v_dual_fmaak_f32 v3, v1, v3, 0x3d2aabf7
	v_dual_fmac_f32 v16, v16, v2 :: v_dual_fmaak_f32 v3, v1, v3, 0xbf000004
	v_and_b32_e32 v2, 0x80000000, v5
	s_delay_alu instid0(VALU_DEP_2) | instskip(NEXT) | instid1(VALU_DEP_1)
	v_fma_f32 v1, v1, v3, 1.0
	v_cndmask_b32_e32 v3, v1, v16, vcc_lo
	v_ashrrev_i32_e32 v1, 31, v0
	v_cmp_class_f32_e64 vcc_lo, v7, 0x1f8
	s_delay_alu instid0(VALU_DEP_3) | instskip(NEXT) | instid1(VALU_DEP_3)
	v_xor3_b32 v4, v4, v2, v3
	v_add_nc_u64_e32 v[2:3], s[4:5], v[0:1]
	s_delay_alu instid0(VALU_DEP_2)
	v_cndmask_b32_e32 v4, 0x7fc00000, v4, vcc_lo
	s_cbranch_scc1 .LBB14_1968
; %bb.1814:
	s_and_b32 s3, 0xffff, s1
	s_mov_b32 s8, -1
	s_mov_b32 s6, 0
	s_cmp_gt_i32 s3, 25
	s_mov_b32 s0, 0
	s_cbranch_scc0 .LBB14_1847
; %bb.1815:
	s_cmp_gt_i32 s3, 28
	s_cbranch_scc0 .LBB14_1830
; %bb.1816:
	s_cmp_gt_i32 s3, 43
	;; [unrolled: 3-line block ×3, first 2 shown]
	s_cbranch_scc0 .LBB14_1820
; %bb.1818:
	s_mov_b32 s0, -1
	s_mov_b32 s8, 0
	s_cmp_eq_u32 s3, 46
	s_cbranch_scc0 .LBB14_1820
; %bb.1819:
	v_bfe_u32 v1, v4, 16, 1
	v_cmp_o_f32_e32 vcc_lo, v4, v4
	s_mov_b32 s0, 0
	s_mov_b32 s7, -1
	s_delay_alu instid0(VALU_DEP_2) | instskip(NEXT) | instid1(VALU_DEP_1)
	v_add3_u32 v1, v4, v1, 0x7fff
	v_lshrrev_b32_e32 v1, 16, v1
	s_delay_alu instid0(VALU_DEP_1)
	v_cndmask_b32_e32 v1, 0x7fc0, v1, vcc_lo
	global_store_b32 v[2:3], v1, off
.LBB14_1820:
	s_and_b32 vcc_lo, exec_lo, s8
	s_cbranch_vccz .LBB14_1825
; %bb.1821:
	s_cmp_eq_u32 s3, 44
	s_mov_b32 s0, -1
	s_cbranch_scc0 .LBB14_1825
; %bb.1822:
	v_bfe_u32 v5, v4, 23, 8
	s_wait_xcnt 0x0
	v_mov_b32_e32 v1, 0xff
	s_mov_b32 s7, exec_lo
	s_delay_alu instid0(VALU_DEP_2)
	v_cmpx_ne_u32_e32 0xff, v5
	s_cbranch_execz .LBB14_1824
; %bb.1823:
	v_and_b32_e32 v1, 0x400000, v4
	v_and_or_b32 v5, 0x3fffff, v4, v5
	s_delay_alu instid0(VALU_DEP_2) | instskip(NEXT) | instid1(VALU_DEP_2)
	v_cmp_ne_u32_e32 vcc_lo, 0, v1
	v_cmp_ne_u32_e64 s0, 0, v5
	v_lshrrev_b32_e32 v1, 23, v4
	s_and_b32 s0, vcc_lo, s0
	s_delay_alu instid0(SALU_CYCLE_1) | instskip(NEXT) | instid1(VALU_DEP_1)
	v_cndmask_b32_e64 v5, 0, 1, s0
	v_add_nc_u32_e32 v1, v1, v5
.LBB14_1824:
	s_or_b32 exec_lo, exec_lo, s7
	s_mov_b32 s0, 0
	s_mov_b32 s7, -1
	global_store_b8 v[2:3], v1, off
.LBB14_1825:
	s_mov_b32 s8, 0
.LBB14_1826:
	s_delay_alu instid0(SALU_CYCLE_1)
	s_and_b32 vcc_lo, exec_lo, s8
	s_cbranch_vccz .LBB14_1829
; %bb.1827:
	s_cmp_eq_u32 s3, 29
	s_mov_b32 s0, -1
	s_cbranch_scc0 .LBB14_1829
; %bb.1828:
	s_wait_xcnt 0x0
	v_trunc_f32_e32 v1, v4
	s_mov_b32 s0, 0
	s_mov_b32 s7, -1
	s_delay_alu instid0(VALU_DEP_1) | instskip(NEXT) | instid1(VALU_DEP_1)
	v_mul_f32_e32 v5, 0x2f800000, v1
	v_floor_f32_e32 v5, v5
	s_delay_alu instid0(VALU_DEP_1) | instskip(SKIP_1) | instid1(VALU_DEP_2)
	v_fmamk_f32 v1, v5, 0xcf800000, v1
	v_cvt_u32_f32_e32 v7, v5
	v_cvt_u32_f32_e32 v6, v1
	global_store_b64 v[2:3], v[6:7], off
.LBB14_1829:
	s_mov_b32 s8, 0
.LBB14_1830:
	s_delay_alu instid0(SALU_CYCLE_1)
	s_and_b32 vcc_lo, exec_lo, s8
	s_cbranch_vccz .LBB14_1846
; %bb.1831:
	s_cmp_lt_i32 s3, 27
	s_mov_b32 s7, -1
	s_cbranch_scc1 .LBB14_1837
; %bb.1832:
	s_wait_xcnt 0x0
	v_cvt_u32_f32_e32 v1, v4
	s_cmp_gt_i32 s3, 27
	s_cbranch_scc0 .LBB14_1834
; %bb.1833:
	s_mov_b32 s7, 0
	global_store_b32 v[2:3], v1, off
.LBB14_1834:
	s_and_not1_b32 vcc_lo, exec_lo, s7
	s_cbranch_vccnz .LBB14_1836
; %bb.1835:
	global_store_b16 v[2:3], v1, off
.LBB14_1836:
	s_mov_b32 s7, 0
.LBB14_1837:
	s_delay_alu instid0(SALU_CYCLE_1)
	s_and_not1_b32 vcc_lo, exec_lo, s7
	s_cbranch_vccnz .LBB14_1845
; %bb.1838:
	s_wait_xcnt 0x0
	v_and_b32_e32 v1, 0x7fffffff, v4
	v_mov_b32_e32 v5, 0x80
	s_mov_b32 s7, exec_lo
	s_delay_alu instid0(VALU_DEP_2)
	v_cmpx_gt_u32_e32 0x43800000, v1
	s_cbranch_execz .LBB14_1844
; %bb.1839:
	v_cmp_lt_u32_e32 vcc_lo, 0x3bffffff, v1
	s_mov_b32 s8, 0
                                        ; implicit-def: $vgpr1
	s_and_saveexec_b32 s10, vcc_lo
	s_delay_alu instid0(SALU_CYCLE_1)
	s_xor_b32 s10, exec_lo, s10
	s_cbranch_execz .LBB14_2063
; %bb.1840:
	v_bfe_u32 v1, v4, 20, 1
	s_mov_b32 s8, exec_lo
	s_delay_alu instid0(VALU_DEP_1) | instskip(NEXT) | instid1(VALU_DEP_1)
	v_add3_u32 v1, v4, v1, 0x487ffff
	v_lshrrev_b32_e32 v1, 20, v1
	s_and_not1_saveexec_b32 s10, s10
	s_cbranch_execnz .LBB14_2064
.LBB14_1841:
	s_or_b32 exec_lo, exec_lo, s10
	v_mov_b32_e32 v5, 0
	s_and_saveexec_b32 s10, s8
.LBB14_1842:
	v_lshrrev_b32_e32 v5, 24, v4
	s_delay_alu instid0(VALU_DEP_1)
	v_and_or_b32 v5, 0x80, v5, v1
.LBB14_1843:
	s_or_b32 exec_lo, exec_lo, s10
.LBB14_1844:
	s_delay_alu instid0(SALU_CYCLE_1)
	s_or_b32 exec_lo, exec_lo, s7
	global_store_b8 v[2:3], v5, off
.LBB14_1845:
	s_mov_b32 s7, -1
.LBB14_1846:
	s_mov_b32 s8, 0
.LBB14_1847:
	s_delay_alu instid0(SALU_CYCLE_1)
	s_and_b32 vcc_lo, exec_lo, s8
	s_cbranch_vccz .LBB14_1887
; %bb.1848:
	s_cmp_gt_i32 s3, 22
	s_mov_b32 s6, -1
	s_cbranch_scc0 .LBB14_1880
; %bb.1849:
	s_cmp_lt_i32 s3, 24
	s_cbranch_scc1 .LBB14_1869
; %bb.1850:
	s_cmp_gt_i32 s3, 24
	s_cbranch_scc0 .LBB14_1858
; %bb.1851:
	s_wait_xcnt 0x0
	v_and_b32_e32 v1, 0x7fffffff, v4
	v_mov_b32_e32 v5, 0x80
	s_mov_b32 s6, exec_lo
	s_delay_alu instid0(VALU_DEP_2)
	v_cmpx_gt_u32_e32 0x47800000, v1
	s_cbranch_execz .LBB14_1857
; %bb.1852:
	v_cmp_lt_u32_e32 vcc_lo, 0x37ffffff, v1
	s_mov_b32 s7, 0
                                        ; implicit-def: $vgpr1
	s_and_saveexec_b32 s8, vcc_lo
	s_delay_alu instid0(SALU_CYCLE_1)
	s_xor_b32 s8, exec_lo, s8
	s_cbranch_execz .LBB14_2066
; %bb.1853:
	v_bfe_u32 v1, v4, 21, 1
	s_mov_b32 s7, exec_lo
	s_delay_alu instid0(VALU_DEP_1) | instskip(NEXT) | instid1(VALU_DEP_1)
	v_add3_u32 v1, v4, v1, 0x88fffff
	v_lshrrev_b32_e32 v1, 21, v1
	s_and_not1_saveexec_b32 s8, s8
	s_cbranch_execnz .LBB14_2067
.LBB14_1854:
	s_or_b32 exec_lo, exec_lo, s8
	v_mov_b32_e32 v5, 0
	s_and_saveexec_b32 s8, s7
.LBB14_1855:
	v_lshrrev_b32_e32 v5, 24, v4
	s_delay_alu instid0(VALU_DEP_1)
	v_and_or_b32 v5, 0x80, v5, v1
.LBB14_1856:
	s_or_b32 exec_lo, exec_lo, s8
.LBB14_1857:
	s_delay_alu instid0(SALU_CYCLE_1)
	s_or_b32 exec_lo, exec_lo, s6
	s_mov_b32 s6, 0
	global_store_b8 v[2:3], v5, off
.LBB14_1858:
	s_and_b32 vcc_lo, exec_lo, s6
	s_cbranch_vccz .LBB14_1868
; %bb.1859:
	s_wait_xcnt 0x0
	v_and_b32_e32 v5, 0x7fffffff, v4
	s_mov_b32 s6, exec_lo
                                        ; implicit-def: $vgpr1
	s_delay_alu instid0(VALU_DEP_1)
	v_cmpx_gt_u32_e32 0x43f00000, v5
	s_xor_b32 s6, exec_lo, s6
	s_cbranch_execz .LBB14_1865
; %bb.1860:
	s_mov_b32 s7, exec_lo
                                        ; implicit-def: $vgpr1
	v_cmpx_lt_u32_e32 0x3c7fffff, v5
	s_xor_b32 s7, exec_lo, s7
; %bb.1861:
	v_bfe_u32 v1, v4, 20, 1
	s_delay_alu instid0(VALU_DEP_1) | instskip(NEXT) | instid1(VALU_DEP_1)
	v_add3_u32 v1, v4, v1, 0x407ffff
	v_and_b32_e32 v5, 0xff00000, v1
	v_lshrrev_b32_e32 v1, 20, v1
	s_delay_alu instid0(VALU_DEP_2) | instskip(NEXT) | instid1(VALU_DEP_2)
	v_cmp_ne_u32_e32 vcc_lo, 0x7f00000, v5
	v_cndmask_b32_e32 v1, 0x7e, v1, vcc_lo
; %bb.1862:
	s_and_not1_saveexec_b32 s7, s7
; %bb.1863:
	v_add_f32_e64 v1, 0x46800000, |v4|
; %bb.1864:
	s_or_b32 exec_lo, exec_lo, s7
                                        ; implicit-def: $vgpr5
.LBB14_1865:
	s_and_not1_saveexec_b32 s6, s6
; %bb.1866:
	v_mov_b32_e32 v1, 0x7f
	v_cmp_lt_u32_e32 vcc_lo, 0x7f800000, v5
	s_delay_alu instid0(VALU_DEP_2)
	v_cndmask_b32_e32 v1, 0x7e, v1, vcc_lo
; %bb.1867:
	s_or_b32 exec_lo, exec_lo, s6
	v_lshrrev_b32_e32 v5, 24, v4
	s_delay_alu instid0(VALU_DEP_1)
	v_and_or_b32 v1, 0x80, v5, v1
	global_store_b8 v[2:3], v1, off
.LBB14_1868:
	s_mov_b32 s6, 0
.LBB14_1869:
	s_delay_alu instid0(SALU_CYCLE_1)
	s_and_not1_b32 vcc_lo, exec_lo, s6
	s_cbranch_vccnz .LBB14_1879
; %bb.1870:
	s_wait_xcnt 0x0
	v_and_b32_e32 v5, 0x7fffffff, v4
	s_mov_b32 s6, exec_lo
                                        ; implicit-def: $vgpr1
	s_delay_alu instid0(VALU_DEP_1)
	v_cmpx_gt_u32_e32 0x47800000, v5
	s_xor_b32 s6, exec_lo, s6
	s_cbranch_execz .LBB14_1876
; %bb.1871:
	s_mov_b32 s7, exec_lo
                                        ; implicit-def: $vgpr1
	v_cmpx_lt_u32_e32 0x387fffff, v5
	s_xor_b32 s7, exec_lo, s7
; %bb.1872:
	v_bfe_u32 v1, v4, 21, 1
	s_delay_alu instid0(VALU_DEP_1) | instskip(NEXT) | instid1(VALU_DEP_1)
	v_add3_u32 v1, v4, v1, 0x80fffff
	v_lshrrev_b32_e32 v1, 21, v1
; %bb.1873:
	s_and_not1_saveexec_b32 s7, s7
; %bb.1874:
	v_add_f32_e64 v1, 0x43000000, |v4|
; %bb.1875:
	s_or_b32 exec_lo, exec_lo, s7
                                        ; implicit-def: $vgpr5
.LBB14_1876:
	s_and_not1_saveexec_b32 s6, s6
; %bb.1877:
	v_mov_b32_e32 v1, 0x7f
	v_cmp_lt_u32_e32 vcc_lo, 0x7f800000, v5
	s_delay_alu instid0(VALU_DEP_2)
	v_cndmask_b32_e32 v1, 0x7c, v1, vcc_lo
; %bb.1878:
	s_or_b32 exec_lo, exec_lo, s6
	v_lshrrev_b32_e32 v5, 24, v4
	s_delay_alu instid0(VALU_DEP_1)
	v_and_or_b32 v1, 0x80, v5, v1
	global_store_b8 v[2:3], v1, off
.LBB14_1879:
	s_mov_b32 s6, 0
	s_mov_b32 s7, -1
.LBB14_1880:
	s_and_not1_b32 vcc_lo, exec_lo, s6
	s_mov_b32 s6, 0
	s_cbranch_vccnz .LBB14_1887
; %bb.1881:
	s_cmp_gt_i32 s3, 14
	s_mov_b32 s6, -1
	s_cbranch_scc0 .LBB14_1885
; %bb.1882:
	s_cmp_eq_u32 s3, 15
	s_mov_b32 s0, -1
	s_cbranch_scc0 .LBB14_1884
; %bb.1883:
	s_wait_xcnt 0x0
	v_bfe_u32 v1, v4, 16, 1
	v_cmp_o_f32_e32 vcc_lo, v4, v4
	s_mov_b32 s0, 0
	s_mov_b32 s7, -1
	s_delay_alu instid0(VALU_DEP_2) | instskip(NEXT) | instid1(VALU_DEP_1)
	v_add3_u32 v1, v4, v1, 0x7fff
	v_lshrrev_b32_e32 v1, 16, v1
	s_delay_alu instid0(VALU_DEP_1)
	v_cndmask_b32_e32 v1, 0x7fc0, v1, vcc_lo
	global_store_b16 v[2:3], v1, off
.LBB14_1884:
	s_mov_b32 s6, 0
.LBB14_1885:
	s_delay_alu instid0(SALU_CYCLE_1)
	s_and_b32 vcc_lo, exec_lo, s6
	s_mov_b32 s6, 0
	s_cbranch_vccz .LBB14_1887
; %bb.1886:
	s_cmp_lg_u32 s3, 11
	s_mov_b32 s6, -1
	s_cselect_b32 s0, -1, 0
.LBB14_1887:
	s_delay_alu instid0(SALU_CYCLE_1)
	s_and_b32 vcc_lo, exec_lo, s0
	s_cbranch_vccnz .LBB14_2065
; %bb.1888:
	s_and_not1_b32 vcc_lo, exec_lo, s6
	s_cbranch_vccnz .LBB14_1890
.LBB14_1889:
	v_cmp_neq_f32_e32 vcc_lo, 0, v4
	s_mov_b32 s7, -1
	s_wait_xcnt 0x0
	v_cndmask_b32_e64 v1, 0, 1, vcc_lo
	global_store_b8 v[2:3], v1, off
.LBB14_1890:
.LBB14_1891:
	s_and_not1_b32 vcc_lo, exec_lo, s7
	s_cbranch_vccnz .LBB14_2007
.LBB14_1892:
	s_wait_xcnt 0x0
	v_dual_mul_f32 v1, v19, v19 :: v_dual_bitop2_b32 v4, 1, v20 bitop3:0x40
	s_mov_b32 s0, 0xb94c1982
	s_mov_b32 s3, 0x37d75334
	s_cmp_lt_i32 s1, 11
	s_delay_alu instid0(VALU_DEP_1) | instskip(SKIP_3) | instid1(VALU_DEP_3)
	v_dual_fmaak_f32 v2, s0, v1, 0x3c0881c4 :: v_dual_lshlrev_b32 v5, 30, v20
	v_cmp_eq_u32_e32 vcc_lo, 0, v4
	s_mov_b32 s0, -1
	v_add_nc_u32_e32 v0, s2, v0
	v_fmaak_f32 v2, v1, v2, 0xbe2aaa9d
	v_fmaak_f32 v3, s3, v1, 0xbab64f3b
	s_mov_b32 s3, 0
	v_xor_b32_e32 v4, v17, v8
	s_delay_alu instid0(VALU_DEP_2) | instskip(NEXT) | instid1(VALU_DEP_1)
	v_dual_mul_f32 v2, v1, v2 :: v_dual_fmaak_f32 v3, v1, v3, 0x3d2aabf7
	v_fmac_f32_e32 v19, v19, v2
	s_delay_alu instid0(VALU_DEP_2) | instskip(SKIP_1) | instid1(VALU_DEP_2)
	v_fmaak_f32 v3, v1, v3, 0xbf000004
	v_and_b32_e32 v2, 0x80000000, v5
	v_fma_f32 v1, v1, v3, 1.0
	s_delay_alu instid0(VALU_DEP_1) | instskip(SKIP_1) | instid1(VALU_DEP_2)
	v_cndmask_b32_e32 v3, v1, v19, vcc_lo
	v_cmp_class_f32_e64 vcc_lo, v8, 0x1f8
	v_xor3_b32 v2, v4, v2, v3
	s_delay_alu instid0(VALU_DEP_1) | instskip(NEXT) | instid1(VALU_DEP_1)
	v_dual_cndmask_b32 v2, 0x7fc00000, v2 :: v_dual_ashrrev_i32 v1, 31, v0
	v_add_nc_u64_e32 v[0:1], s[4:5], v[0:1]
	s_cbranch_scc1 .LBB14_2008
; %bb.1893:
	s_and_b32 s2, 0xffff, s1
	s_mov_b32 s4, -1
	s_cmp_gt_i32 s2, 25
	s_mov_b32 s0, 0
	s_cbranch_scc0 .LBB14_1926
; %bb.1894:
	s_cmp_gt_i32 s2, 28
	s_cbranch_scc0 .LBB14_1910
; %bb.1895:
	s_cmp_gt_i32 s2, 43
	;; [unrolled: 3-line block ×3, first 2 shown]
	s_cbranch_scc0 .LBB14_1900
; %bb.1897:
	s_cmp_eq_u32 s2, 46
	s_mov_b32 s0, -1
	s_cbranch_scc0 .LBB14_1899
; %bb.1898:
	v_bfe_u32 v3, v2, 16, 1
	v_cmp_o_f32_e32 vcc_lo, v2, v2
	s_mov_b32 s0, 0
	s_delay_alu instid0(VALU_DEP_2) | instskip(NEXT) | instid1(VALU_DEP_1)
	v_add3_u32 v3, v2, v3, 0x7fff
	v_lshrrev_b32_e32 v3, 16, v3
	s_delay_alu instid0(VALU_DEP_1)
	v_cndmask_b32_e32 v3, 0x7fc0, v3, vcc_lo
	global_store_b32 v[0:1], v3, off
.LBB14_1899:
	s_mov_b32 s4, 0
.LBB14_1900:
	s_delay_alu instid0(SALU_CYCLE_1)
	s_and_b32 vcc_lo, exec_lo, s4
	s_cbranch_vccz .LBB14_1905
; %bb.1901:
	s_cmp_eq_u32 s2, 44
	s_mov_b32 s0, -1
	s_cbranch_scc0 .LBB14_1905
; %bb.1902:
	v_bfe_u32 v4, v2, 23, 8
	s_wait_xcnt 0x0
	v_mov_b32_e32 v3, 0xff
	s_mov_b32 s4, exec_lo
	s_delay_alu instid0(VALU_DEP_2)
	v_cmpx_ne_u32_e32 0xff, v4
	s_cbranch_execz .LBB14_1904
; %bb.1903:
	v_and_b32_e32 v3, 0x400000, v2
	v_and_or_b32 v4, 0x3fffff, v2, v4
	s_delay_alu instid0(VALU_DEP_2) | instskip(NEXT) | instid1(VALU_DEP_2)
	v_cmp_ne_u32_e32 vcc_lo, 0, v3
	v_cmp_ne_u32_e64 s0, 0, v4
	v_lshrrev_b32_e32 v3, 23, v2
	s_and_b32 s0, vcc_lo, s0
	s_delay_alu instid0(SALU_CYCLE_1) | instskip(NEXT) | instid1(VALU_DEP_1)
	v_cndmask_b32_e64 v4, 0, 1, s0
	v_add_nc_u32_e32 v3, v3, v4
.LBB14_1904:
	s_or_b32 exec_lo, exec_lo, s4
	s_mov_b32 s0, 0
	global_store_b8 v[0:1], v3, off
.LBB14_1905:
	s_mov_b32 s4, 0
.LBB14_1906:
	s_delay_alu instid0(SALU_CYCLE_1)
	s_and_b32 vcc_lo, exec_lo, s4
	s_cbranch_vccz .LBB14_1909
; %bb.1907:
	s_cmp_eq_u32 s2, 29
	s_mov_b32 s0, -1
	s_cbranch_scc0 .LBB14_1909
; %bb.1908:
	s_wait_xcnt 0x0
	v_trunc_f32_e32 v3, v2
	s_mov_b32 s0, 0
	s_delay_alu instid0(VALU_DEP_1) | instskip(NEXT) | instid1(VALU_DEP_1)
	v_mul_f32_e32 v4, 0x2f800000, v3
	v_floor_f32_e32 v4, v4
	s_delay_alu instid0(VALU_DEP_1) | instskip(SKIP_1) | instid1(VALU_DEP_2)
	v_fmamk_f32 v3, v4, 0xcf800000, v3
	v_cvt_u32_f32_e32 v5, v4
	v_cvt_u32_f32_e32 v4, v3
	global_store_b64 v[0:1], v[4:5], off
.LBB14_1909:
	s_mov_b32 s4, 0
.LBB14_1910:
	s_delay_alu instid0(SALU_CYCLE_1)
	s_and_b32 vcc_lo, exec_lo, s4
	s_cbranch_vccz .LBB14_1925
; %bb.1911:
	s_cmp_lt_i32 s2, 27
	s_mov_b32 s4, -1
	s_cbranch_scc1 .LBB14_1917
; %bb.1912:
	s_wait_xcnt 0x0
	v_cvt_u32_f32_e32 v3, v2
	s_cmp_gt_i32 s2, 27
	s_cbranch_scc0 .LBB14_1914
; %bb.1913:
	s_mov_b32 s4, 0
	global_store_b32 v[0:1], v3, off
.LBB14_1914:
	s_and_not1_b32 vcc_lo, exec_lo, s4
	s_cbranch_vccnz .LBB14_1916
; %bb.1915:
	global_store_b16 v[0:1], v3, off
.LBB14_1916:
	s_mov_b32 s4, 0
.LBB14_1917:
	s_delay_alu instid0(SALU_CYCLE_1)
	s_and_not1_b32 vcc_lo, exec_lo, s4
	s_cbranch_vccnz .LBB14_1925
; %bb.1918:
	s_wait_xcnt 0x0
	v_and_b32_e32 v3, 0x7fffffff, v2
	v_mov_b32_e32 v4, 0x80
	s_mov_b32 s4, exec_lo
	s_delay_alu instid0(VALU_DEP_2)
	v_cmpx_gt_u32_e32 0x43800000, v3
	s_cbranch_execz .LBB14_1924
; %bb.1919:
	v_cmp_lt_u32_e32 vcc_lo, 0x3bffffff, v3
	s_mov_b32 s5, 0
                                        ; implicit-def: $vgpr3
	s_and_saveexec_b32 s6, vcc_lo
	s_delay_alu instid0(SALU_CYCLE_1)
	s_xor_b32 s6, exec_lo, s6
	s_cbranch_execz .LBB14_2068
; %bb.1920:
	v_bfe_u32 v3, v2, 20, 1
	s_mov_b32 s5, exec_lo
	s_delay_alu instid0(VALU_DEP_1) | instskip(NEXT) | instid1(VALU_DEP_1)
	v_add3_u32 v3, v2, v3, 0x487ffff
	v_lshrrev_b32_e32 v3, 20, v3
	s_and_not1_saveexec_b32 s6, s6
	s_cbranch_execnz .LBB14_2069
.LBB14_1921:
	s_or_b32 exec_lo, exec_lo, s6
	v_mov_b32_e32 v4, 0
	s_and_saveexec_b32 s6, s5
.LBB14_1922:
	v_lshrrev_b32_e32 v4, 24, v2
	s_delay_alu instid0(VALU_DEP_1)
	v_and_or_b32 v4, 0x80, v4, v3
.LBB14_1923:
	s_or_b32 exec_lo, exec_lo, s6
.LBB14_1924:
	s_delay_alu instid0(SALU_CYCLE_1)
	s_or_b32 exec_lo, exec_lo, s4
	global_store_b8 v[0:1], v4, off
.LBB14_1925:
	s_mov_b32 s4, 0
.LBB14_1926:
	s_delay_alu instid0(SALU_CYCLE_1)
	s_and_b32 vcc_lo, exec_lo, s4
	s_cbranch_vccz .LBB14_1966
; %bb.1927:
	s_cmp_gt_i32 s2, 22
	s_mov_b32 s3, -1
	s_cbranch_scc0 .LBB14_1959
; %bb.1928:
	s_cmp_lt_i32 s2, 24
	s_cbranch_scc1 .LBB14_1948
; %bb.1929:
	s_cmp_gt_i32 s2, 24
	s_cbranch_scc0 .LBB14_1937
; %bb.1930:
	s_wait_xcnt 0x0
	v_and_b32_e32 v3, 0x7fffffff, v2
	v_mov_b32_e32 v4, 0x80
	s_mov_b32 s3, exec_lo
	s_delay_alu instid0(VALU_DEP_2)
	v_cmpx_gt_u32_e32 0x47800000, v3
	s_cbranch_execz .LBB14_1936
; %bb.1931:
	v_cmp_lt_u32_e32 vcc_lo, 0x37ffffff, v3
	s_mov_b32 s4, 0
                                        ; implicit-def: $vgpr3
	s_and_saveexec_b32 s5, vcc_lo
	s_delay_alu instid0(SALU_CYCLE_1)
	s_xor_b32 s5, exec_lo, s5
	s_cbranch_execz .LBB14_2071
; %bb.1932:
	v_bfe_u32 v3, v2, 21, 1
	s_mov_b32 s4, exec_lo
	s_delay_alu instid0(VALU_DEP_1) | instskip(NEXT) | instid1(VALU_DEP_1)
	v_add3_u32 v3, v2, v3, 0x88fffff
	v_lshrrev_b32_e32 v3, 21, v3
	s_and_not1_saveexec_b32 s5, s5
	s_cbranch_execnz .LBB14_2072
.LBB14_1933:
	s_or_b32 exec_lo, exec_lo, s5
	v_mov_b32_e32 v4, 0
	s_and_saveexec_b32 s5, s4
.LBB14_1934:
	v_lshrrev_b32_e32 v4, 24, v2
	s_delay_alu instid0(VALU_DEP_1)
	v_and_or_b32 v4, 0x80, v4, v3
.LBB14_1935:
	s_or_b32 exec_lo, exec_lo, s5
.LBB14_1936:
	s_delay_alu instid0(SALU_CYCLE_1)
	s_or_b32 exec_lo, exec_lo, s3
	s_mov_b32 s3, 0
	global_store_b8 v[0:1], v4, off
.LBB14_1937:
	s_and_b32 vcc_lo, exec_lo, s3
	s_cbranch_vccz .LBB14_1947
; %bb.1938:
	s_wait_xcnt 0x0
	v_and_b32_e32 v4, 0x7fffffff, v2
	s_mov_b32 s3, exec_lo
                                        ; implicit-def: $vgpr3
	s_delay_alu instid0(VALU_DEP_1)
	v_cmpx_gt_u32_e32 0x43f00000, v4
	s_xor_b32 s3, exec_lo, s3
	s_cbranch_execz .LBB14_1944
; %bb.1939:
	s_mov_b32 s4, exec_lo
                                        ; implicit-def: $vgpr3
	v_cmpx_lt_u32_e32 0x3c7fffff, v4
	s_xor_b32 s4, exec_lo, s4
; %bb.1940:
	v_bfe_u32 v3, v2, 20, 1
	s_delay_alu instid0(VALU_DEP_1) | instskip(NEXT) | instid1(VALU_DEP_1)
	v_add3_u32 v3, v2, v3, 0x407ffff
	v_and_b32_e32 v4, 0xff00000, v3
	v_lshrrev_b32_e32 v3, 20, v3
	s_delay_alu instid0(VALU_DEP_2) | instskip(NEXT) | instid1(VALU_DEP_2)
	v_cmp_ne_u32_e32 vcc_lo, 0x7f00000, v4
	v_cndmask_b32_e32 v3, 0x7e, v3, vcc_lo
; %bb.1941:
	s_and_not1_saveexec_b32 s4, s4
; %bb.1942:
	v_add_f32_e64 v3, 0x46800000, |v2|
; %bb.1943:
	s_or_b32 exec_lo, exec_lo, s4
                                        ; implicit-def: $vgpr4
.LBB14_1944:
	s_and_not1_saveexec_b32 s3, s3
; %bb.1945:
	v_mov_b32_e32 v3, 0x7f
	v_cmp_lt_u32_e32 vcc_lo, 0x7f800000, v4
	s_delay_alu instid0(VALU_DEP_2)
	v_cndmask_b32_e32 v3, 0x7e, v3, vcc_lo
; %bb.1946:
	s_or_b32 exec_lo, exec_lo, s3
	v_lshrrev_b32_e32 v4, 24, v2
	s_delay_alu instid0(VALU_DEP_1)
	v_and_or_b32 v3, 0x80, v4, v3
	global_store_b8 v[0:1], v3, off
.LBB14_1947:
	s_mov_b32 s3, 0
.LBB14_1948:
	s_delay_alu instid0(SALU_CYCLE_1)
	s_and_not1_b32 vcc_lo, exec_lo, s3
	s_cbranch_vccnz .LBB14_1958
; %bb.1949:
	s_wait_xcnt 0x0
	v_and_b32_e32 v4, 0x7fffffff, v2
	s_mov_b32 s3, exec_lo
                                        ; implicit-def: $vgpr3
	s_delay_alu instid0(VALU_DEP_1)
	v_cmpx_gt_u32_e32 0x47800000, v4
	s_xor_b32 s3, exec_lo, s3
	s_cbranch_execz .LBB14_1955
; %bb.1950:
	s_mov_b32 s4, exec_lo
                                        ; implicit-def: $vgpr3
	v_cmpx_lt_u32_e32 0x387fffff, v4
	s_xor_b32 s4, exec_lo, s4
; %bb.1951:
	v_bfe_u32 v3, v2, 21, 1
	s_delay_alu instid0(VALU_DEP_1) | instskip(NEXT) | instid1(VALU_DEP_1)
	v_add3_u32 v3, v2, v3, 0x80fffff
	v_lshrrev_b32_e32 v3, 21, v3
; %bb.1952:
	s_and_not1_saveexec_b32 s4, s4
; %bb.1953:
	v_add_f32_e64 v3, 0x43000000, |v2|
; %bb.1954:
	s_or_b32 exec_lo, exec_lo, s4
                                        ; implicit-def: $vgpr4
.LBB14_1955:
	s_and_not1_saveexec_b32 s3, s3
; %bb.1956:
	v_mov_b32_e32 v3, 0x7f
	v_cmp_lt_u32_e32 vcc_lo, 0x7f800000, v4
	s_delay_alu instid0(VALU_DEP_2)
	v_cndmask_b32_e32 v3, 0x7c, v3, vcc_lo
; %bb.1957:
	s_or_b32 exec_lo, exec_lo, s3
	v_lshrrev_b32_e32 v4, 24, v2
	s_delay_alu instid0(VALU_DEP_1)
	v_and_or_b32 v3, 0x80, v4, v3
	global_store_b8 v[0:1], v3, off
.LBB14_1958:
	s_mov_b32 s3, 0
.LBB14_1959:
	s_delay_alu instid0(SALU_CYCLE_1)
	s_and_not1_b32 vcc_lo, exec_lo, s3
	s_mov_b32 s3, 0
	s_cbranch_vccnz .LBB14_1966
; %bb.1960:
	s_cmp_gt_i32 s2, 14
	s_mov_b32 s3, -1
	s_cbranch_scc0 .LBB14_1964
; %bb.1961:
	s_cmp_eq_u32 s2, 15
	s_mov_b32 s0, -1
	s_cbranch_scc0 .LBB14_1963
; %bb.1962:
	s_wait_xcnt 0x0
	v_bfe_u32 v3, v2, 16, 1
	v_cmp_o_f32_e32 vcc_lo, v2, v2
	s_mov_b32 s0, 0
	s_delay_alu instid0(VALU_DEP_2) | instskip(NEXT) | instid1(VALU_DEP_1)
	v_add3_u32 v3, v2, v3, 0x7fff
	v_lshrrev_b32_e32 v3, 16, v3
	s_delay_alu instid0(VALU_DEP_1)
	v_cndmask_b32_e32 v3, 0x7fc0, v3, vcc_lo
	global_store_b16 v[0:1], v3, off
.LBB14_1963:
	s_mov_b32 s3, 0
.LBB14_1964:
	s_delay_alu instid0(SALU_CYCLE_1)
	s_and_b32 vcc_lo, exec_lo, s3
	s_mov_b32 s3, 0
	s_cbranch_vccz .LBB14_1966
; %bb.1965:
	s_cmp_lg_u32 s2, 11
	s_mov_b32 s3, -1
	s_cselect_b32 s0, -1, 0
.LBB14_1966:
	s_delay_alu instid0(SALU_CYCLE_1)
	s_and_b32 vcc_lo, exec_lo, s0
	s_cbranch_vccnz .LBB14_2070
.LBB14_1967:
	s_mov_b32 s0, 0
	s_branch .LBB14_2008
.LBB14_1968:
	s_and_b32 vcc_lo, exec_lo, s0
	s_cbranch_vccz .LBB14_1891
; %bb.1969:
	s_and_b32 s0, 0xffff, s1
	s_mov_b32 s3, -1
	s_cmp_lt_i32 s0, 5
	s_cbranch_scc1 .LBB14_1990
; %bb.1970:
	s_cmp_lt_i32 s0, 8
	s_cbranch_scc1 .LBB14_1980
; %bb.1971:
	;; [unrolled: 3-line block ×3, first 2 shown]
	s_cmp_gt_i32 s0, 9
	s_cbranch_scc0 .LBB14_1974
; %bb.1973:
	v_cvt_f64_f32_e32 v[10:11], v4
	v_mov_b32_e32 v12, 0
	s_mov_b32 s3, 0
	s_delay_alu instid0(VALU_DEP_1)
	v_mov_b32_e32 v13, v12
	global_store_b128 v[2:3], v[10:13], off
.LBB14_1974:
	s_and_not1_b32 vcc_lo, exec_lo, s3
	s_cbranch_vccnz .LBB14_1976
; %bb.1975:
	s_wait_xcnt 0x0
	v_mov_b32_e32 v5, 0
	global_store_b64 v[2:3], v[4:5], off
.LBB14_1976:
	s_mov_b32 s3, 0
.LBB14_1977:
	s_delay_alu instid0(SALU_CYCLE_1)
	s_and_not1_b32 vcc_lo, exec_lo, s3
	s_cbranch_vccnz .LBB14_1979
; %bb.1978:
	s_wait_xcnt 0x0
	v_cvt_f16_f32_e32 v1, v4
	s_delay_alu instid0(VALU_DEP_1)
	v_and_b32_e32 v1, 0xffff, v1
	global_store_b32 v[2:3], v1, off
.LBB14_1979:
	s_mov_b32 s3, 0
.LBB14_1980:
	s_delay_alu instid0(SALU_CYCLE_1)
	s_and_not1_b32 vcc_lo, exec_lo, s3
	s_cbranch_vccnz .LBB14_1989
; %bb.1981:
	s_cmp_lt_i32 s0, 6
	s_mov_b32 s3, -1
	s_cbranch_scc1 .LBB14_1987
; %bb.1982:
	s_cmp_gt_i32 s0, 6
	s_cbranch_scc0 .LBB14_1984
; %bb.1983:
	s_wait_xcnt 0x0
	v_cvt_f64_f32_e32 v[6:7], v4
	s_mov_b32 s3, 0
	global_store_b64 v[2:3], v[6:7], off
.LBB14_1984:
	s_and_not1_b32 vcc_lo, exec_lo, s3
	s_cbranch_vccnz .LBB14_1986
; %bb.1985:
	global_store_b32 v[2:3], v4, off
.LBB14_1986:
	s_mov_b32 s3, 0
.LBB14_1987:
	s_delay_alu instid0(SALU_CYCLE_1)
	s_and_not1_b32 vcc_lo, exec_lo, s3
	s_cbranch_vccnz .LBB14_1989
; %bb.1988:
	s_wait_xcnt 0x0
	v_cvt_f16_f32_e32 v1, v4
	global_store_b16 v[2:3], v1, off
.LBB14_1989:
	s_mov_b32 s3, 0
.LBB14_1990:
	s_delay_alu instid0(SALU_CYCLE_1)
	s_and_not1_b32 vcc_lo, exec_lo, s3
	s_cbranch_vccnz .LBB14_2006
; %bb.1991:
	s_cmp_lt_i32 s0, 2
	s_mov_b32 s3, -1
	s_cbranch_scc1 .LBB14_2001
; %bb.1992:
	s_cmp_lt_i32 s0, 3
	s_cbranch_scc1 .LBB14_1998
; %bb.1993:
	s_cmp_gt_i32 s0, 3
	s_cbranch_scc0 .LBB14_1995
; %bb.1994:
	s_wait_xcnt 0x0
	v_trunc_f32_e32 v1, v4
	s_mov_b32 s3, 0
	s_delay_alu instid0(VALU_DEP_1) | instskip(SKIP_1) | instid1(VALU_DEP_2)
	v_mul_f32_e64 v5, 0x2f800000, |v1|
	v_ashrrev_i32_e32 v6, 31, v1
	v_floor_f32_e32 v5, v5
	s_delay_alu instid0(VALU_DEP_1) | instskip(SKIP_1) | instid1(VALU_DEP_2)
	v_fma_f32 v7, 0xcf800000, v5, |v1|
	v_cvt_u32_f32_e32 v1, v5
	v_cvt_u32_f32_e32 v5, v7
	s_delay_alu instid0(VALU_DEP_2) | instskip(NEXT) | instid1(VALU_DEP_2)
	v_dual_mov_b32 v7, v6 :: v_dual_bitop2_b32 v11, v1, v6 bitop3:0x14
	v_xor_b32_e32 v10, v5, v6
	s_delay_alu instid0(VALU_DEP_1)
	v_sub_nc_u64_e32 v[6:7], v[10:11], v[6:7]
	global_store_b64 v[2:3], v[6:7], off
.LBB14_1995:
	s_and_not1_b32 vcc_lo, exec_lo, s3
	s_cbranch_vccnz .LBB14_1997
; %bb.1996:
	s_wait_xcnt 0x0
	v_cvt_i32_f32_e32 v1, v4
	global_store_b32 v[2:3], v1, off
.LBB14_1997:
	s_mov_b32 s3, 0
.LBB14_1998:
	s_delay_alu instid0(SALU_CYCLE_1)
	s_and_not1_b32 vcc_lo, exec_lo, s3
	s_cbranch_vccnz .LBB14_2000
; %bb.1999:
	s_wait_xcnt 0x0
	v_cvt_i32_f32_e32 v1, v4
	global_store_b16 v[2:3], v1, off
.LBB14_2000:
	s_mov_b32 s3, 0
.LBB14_2001:
	s_delay_alu instid0(SALU_CYCLE_1)
	s_and_not1_b32 vcc_lo, exec_lo, s3
	s_cbranch_vccnz .LBB14_2006
; %bb.2002:
	s_cmp_gt_i32 s0, 0
	s_mov_b32 s0, -1
	s_cbranch_scc0 .LBB14_2004
; %bb.2003:
	s_wait_xcnt 0x0
	v_cvt_i32_f32_e32 v1, v4
	s_mov_b32 s0, 0
	global_store_b8 v[2:3], v1, off
.LBB14_2004:
	s_and_not1_b32 vcc_lo, exec_lo, s0
	s_cbranch_vccnz .LBB14_2006
; %bb.2005:
	s_wait_xcnt 0x0
	v_trunc_f32_e32 v1, v4
	s_delay_alu instid0(VALU_DEP_1) | instskip(NEXT) | instid1(VALU_DEP_1)
	v_mul_f32_e64 v4, 0x2f800000, |v1|
	v_floor_f32_e32 v4, v4
	s_delay_alu instid0(VALU_DEP_1) | instskip(SKIP_1) | instid1(VALU_DEP_2)
	v_fma_f32 v4, 0xcf800000, v4, |v1|
	v_ashrrev_i32_e32 v1, 31, v1
	v_cvt_u32_f32_e32 v4, v4
	s_delay_alu instid0(VALU_DEP_1) | instskip(NEXT) | instid1(VALU_DEP_1)
	v_xor_b32_e32 v4, v4, v1
	v_sub_nc_u32_e32 v1, v4, v1
	global_store_b8 v[2:3], v1, off
.LBB14_2006:
	s_branch .LBB14_1892
.LBB14_2007:
	s_mov_b32 s0, 0
	s_mov_b32 s3, 0
                                        ; implicit-def: $sgpr1
                                        ; implicit-def: $vgpr0_vgpr1
                                        ; implicit-def: $vgpr2
.LBB14_2008:
	s_and_not1_b32 s2, s12, exec_lo
	s_and_b32 s4, s9, exec_lo
	s_and_b32 s0, s0, exec_lo
	s_and_b32 s9, s3, exec_lo
	s_or_b32 s12, s2, s4
.LBB14_2009:
	s_wait_xcnt 0x0
	s_or_b32 exec_lo, exec_lo, s11
	s_and_saveexec_b32 s2, s12
	s_cbranch_execz .LBB14_2012
; %bb.2010:
	; divergent unreachable
	s_or_b32 exec_lo, exec_lo, s2
	s_and_saveexec_b32 s2, s9
	s_delay_alu instid0(SALU_CYCLE_1)
	s_xor_b32 s2, exec_lo, s2
	s_cbranch_execnz .LBB14_2013
.LBB14_2011:
	s_or_b32 exec_lo, exec_lo, s2
	s_and_saveexec_b32 s2, s0
	s_cbranch_execnz .LBB14_2014
	s_branch .LBB14_2051
.LBB14_2012:
	s_or_b32 exec_lo, exec_lo, s2
	s_and_saveexec_b32 s2, s9
	s_delay_alu instid0(SALU_CYCLE_1)
	s_xor_b32 s2, exec_lo, s2
	s_cbranch_execz .LBB14_2011
.LBB14_2013:
	s_wait_loadcnt 0x0
	v_cmp_neq_f32_e32 vcc_lo, 0, v2
	v_cndmask_b32_e64 v3, 0, 1, vcc_lo
	global_store_b8 v[0:1], v3, off
	s_wait_xcnt 0x0
	s_or_b32 exec_lo, exec_lo, s2
	s_and_saveexec_b32 s2, s0
	s_cbranch_execz .LBB14_2051
.LBB14_2014:
	s_sext_i32_i16 s2, s1
	s_mov_b32 s0, -1
	s_cmp_lt_i32 s2, 5
	s_cbranch_scc1 .LBB14_2035
; %bb.2015:
	s_cmp_lt_i32 s2, 8
	s_cbranch_scc1 .LBB14_2025
; %bb.2016:
	;; [unrolled: 3-line block ×3, first 2 shown]
	s_cmp_gt_i32 s2, 9
	s_cbranch_scc0 .LBB14_2019
; %bb.2018:
	s_wait_loadcnt 0x0
	v_cvt_f64_f32_e32 v[4:5], v2
	v_mov_b32_e32 v6, 0
	s_mov_b32 s0, 0
	s_delay_alu instid0(VALU_DEP_1)
	v_mov_b32_e32 v7, v6
	global_store_b128 v[0:1], v[4:7], off
.LBB14_2019:
	s_and_not1_b32 vcc_lo, exec_lo, s0
	s_cbranch_vccnz .LBB14_2021
; %bb.2020:
	s_wait_loadcnt 0x0
	v_mov_b32_e32 v3, 0
	global_store_b64 v[0:1], v[2:3], off
.LBB14_2021:
	s_mov_b32 s0, 0
.LBB14_2022:
	s_delay_alu instid0(SALU_CYCLE_1)
	s_and_not1_b32 vcc_lo, exec_lo, s0
	s_cbranch_vccnz .LBB14_2024
; %bb.2023:
	s_wait_loadcnt 0x0
	v_cvt_f16_f32_e32 v3, v2
	s_delay_alu instid0(VALU_DEP_1)
	v_and_b32_e32 v3, 0xffff, v3
	global_store_b32 v[0:1], v3, off
.LBB14_2024:
	s_mov_b32 s0, 0
.LBB14_2025:
	s_delay_alu instid0(SALU_CYCLE_1)
	s_and_not1_b32 vcc_lo, exec_lo, s0
	s_cbranch_vccnz .LBB14_2034
; %bb.2026:
	s_sext_i32_i16 s2, s1
	s_mov_b32 s0, -1
	s_cmp_lt_i32 s2, 6
	s_cbranch_scc1 .LBB14_2032
; %bb.2027:
	s_cmp_gt_i32 s2, 6
	s_cbranch_scc0 .LBB14_2029
; %bb.2028:
	s_wait_loadcnt 0x0
	v_cvt_f64_f32_e32 v[4:5], v2
	s_mov_b32 s0, 0
	global_store_b64 v[0:1], v[4:5], off
.LBB14_2029:
	s_and_not1_b32 vcc_lo, exec_lo, s0
	s_cbranch_vccnz .LBB14_2031
; %bb.2030:
	s_wait_loadcnt 0x0
	global_store_b32 v[0:1], v2, off
.LBB14_2031:
	s_mov_b32 s0, 0
.LBB14_2032:
	s_delay_alu instid0(SALU_CYCLE_1)
	s_and_not1_b32 vcc_lo, exec_lo, s0
	s_cbranch_vccnz .LBB14_2034
; %bb.2033:
	s_wait_loadcnt 0x0
	v_cvt_f16_f32_e32 v3, v2
	global_store_b16 v[0:1], v3, off
.LBB14_2034:
	s_mov_b32 s0, 0
.LBB14_2035:
	s_delay_alu instid0(SALU_CYCLE_1)
	s_and_not1_b32 vcc_lo, exec_lo, s0
	s_cbranch_vccnz .LBB14_2051
; %bb.2036:
	s_sext_i32_i16 s2, s1
	s_mov_b32 s0, -1
	s_cmp_lt_i32 s2, 2
	s_cbranch_scc1 .LBB14_2046
; %bb.2037:
	s_cmp_lt_i32 s2, 3
	s_cbranch_scc1 .LBB14_2043
; %bb.2038:
	s_cmp_gt_i32 s2, 3
	s_cbranch_scc0 .LBB14_2040
; %bb.2039:
	s_wait_loadcnt 0x0
	v_trunc_f32_e32 v3, v2
	s_mov_b32 s0, 0
	s_delay_alu instid0(VALU_DEP_1) | instskip(NEXT) | instid1(VALU_DEP_1)
	v_mul_f32_e64 v4, 0x2f800000, |v3|
	v_floor_f32_e32 v5, v4
	v_ashrrev_i32_e32 v4, 31, v3
	s_delay_alu instid0(VALU_DEP_2) | instskip(SKIP_1) | instid1(VALU_DEP_3)
	v_fma_f32 v6, 0xcf800000, v5, |v3|
	v_cvt_u32_f32_e32 v3, v5
	v_mov_b32_e32 v5, v4
	s_delay_alu instid0(VALU_DEP_3) | instskip(NEXT) | instid1(VALU_DEP_3)
	v_cvt_u32_f32_e32 v6, v6
	v_xor_b32_e32 v7, v3, v4
	s_delay_alu instid0(VALU_DEP_2) | instskip(NEXT) | instid1(VALU_DEP_1)
	v_xor_b32_e32 v6, v6, v4
	v_sub_nc_u64_e32 v[4:5], v[6:7], v[4:5]
	global_store_b64 v[0:1], v[4:5], off
.LBB14_2040:
	s_and_not1_b32 vcc_lo, exec_lo, s0
	s_cbranch_vccnz .LBB14_2042
; %bb.2041:
	s_wait_loadcnt 0x0
	v_cvt_i32_f32_e32 v3, v2
	global_store_b32 v[0:1], v3, off
.LBB14_2042:
	s_mov_b32 s0, 0
.LBB14_2043:
	s_delay_alu instid0(SALU_CYCLE_1)
	s_and_not1_b32 vcc_lo, exec_lo, s0
	s_cbranch_vccnz .LBB14_2045
; %bb.2044:
	s_wait_loadcnt 0x0
	v_cvt_i32_f32_e32 v3, v2
	global_store_b16 v[0:1], v3, off
.LBB14_2045:
	s_mov_b32 s0, 0
.LBB14_2046:
	s_delay_alu instid0(SALU_CYCLE_1)
	s_and_not1_b32 vcc_lo, exec_lo, s0
	s_cbranch_vccnz .LBB14_2051
; %bb.2047:
	s_sext_i32_i16 s0, s1
	s_delay_alu instid0(SALU_CYCLE_1)
	s_cmp_gt_i32 s0, 0
	s_mov_b32 s0, -1
	s_cbranch_scc0 .LBB14_2049
; %bb.2048:
	s_wait_loadcnt 0x0
	v_cvt_i32_f32_e32 v3, v2
	s_mov_b32 s0, 0
	global_store_b8 v[0:1], v3, off
.LBB14_2049:
	s_and_not1_b32 vcc_lo, exec_lo, s0
	s_cbranch_vccnz .LBB14_2051
; %bb.2050:
	s_wait_loadcnt 0x0
	v_trunc_f32_e32 v2, v2
	s_delay_alu instid0(VALU_DEP_1) | instskip(NEXT) | instid1(VALU_DEP_1)
	v_mul_f32_e64 v3, 0x2f800000, |v2|
	v_floor_f32_e32 v3, v3
	s_delay_alu instid0(VALU_DEP_1) | instskip(SKIP_1) | instid1(VALU_DEP_2)
	v_fma_f32 v3, 0xcf800000, v3, |v2|
	v_ashrrev_i32_e32 v2, 31, v2
	v_cvt_u32_f32_e32 v3, v3
	s_delay_alu instid0(VALU_DEP_1) | instskip(NEXT) | instid1(VALU_DEP_1)
	v_xor_b32_e32 v3, v3, v2
	v_sub_nc_u32_e32 v2, v3, v2
	global_store_b8 v[0:1], v2, off
	s_endpgm
.LBB14_2051:
	s_endpgm
.LBB14_2052:
	s_or_b32 s9, s9, exec_lo
	s_trap 2
	s_cbranch_execz .LBB14_1521
	s_branch .LBB14_1522
.LBB14_2053:
	s_and_not1_saveexec_b32 s10, s10
	s_cbranch_execz .LBB14_1605
.LBB14_2054:
	v_add_f32_e64 v1, 0x46000000, |v4|
	s_and_not1_b32 s8, s8, exec_lo
	s_delay_alu instid0(VALU_DEP_1) | instskip(NEXT) | instid1(VALU_DEP_1)
	v_and_b32_e32 v1, 0xff, v1
	v_cmp_ne_u32_e32 vcc_lo, 0, v1
	s_and_b32 s13, vcc_lo, exec_lo
	s_delay_alu instid0(SALU_CYCLE_1)
	s_or_b32 s8, s8, s13
	s_or_b32 exec_lo, exec_lo, s10
	v_mov_b32_e32 v5, 0
	s_and_saveexec_b32 s10, s8
	s_cbranch_execnz .LBB14_1606
	s_branch .LBB14_1607
.LBB14_2055:
	s_or_b32 s9, s9, exec_lo
	s_trap 2
	s_cbranch_execz .LBB14_1653
	s_branch .LBB14_1654
.LBB14_2056:
	s_and_not1_saveexec_b32 s8, s8
	s_cbranch_execz .LBB14_1618
.LBB14_2057:
	v_add_f32_e64 v1, 0x42800000, |v4|
	s_and_not1_b32 s7, s7, exec_lo
	s_delay_alu instid0(VALU_DEP_1) | instskip(NEXT) | instid1(VALU_DEP_1)
	v_and_b32_e32 v1, 0xff, v1
	v_cmp_ne_u32_e32 vcc_lo, 0, v1
	s_and_b32 s10, vcc_lo, exec_lo
	s_delay_alu instid0(SALU_CYCLE_1)
	s_or_b32 s7, s7, s10
	s_or_b32 exec_lo, exec_lo, s8
	v_mov_b32_e32 v5, 0
	s_and_saveexec_b32 s8, s7
	s_cbranch_execnz .LBB14_1619
	s_branch .LBB14_1620
.LBB14_2058:
	s_and_not1_saveexec_b32 s10, s10
	s_cbranch_execz .LBB14_1723
.LBB14_2059:
	v_add_f32_e64 v1, 0x46000000, |v4|
	s_and_not1_b32 s8, s8, exec_lo
	s_delay_alu instid0(VALU_DEP_1) | instskip(NEXT) | instid1(VALU_DEP_1)
	v_and_b32_e32 v1, 0xff, v1
	v_cmp_ne_u32_e32 vcc_lo, 0, v1
	s_and_b32 s13, vcc_lo, exec_lo
	s_delay_alu instid0(SALU_CYCLE_1)
	s_or_b32 s8, s8, s13
	s_or_b32 exec_lo, exec_lo, s10
	v_mov_b32_e32 v5, 0
	s_and_saveexec_b32 s10, s8
	s_cbranch_execnz .LBB14_1724
	s_branch .LBB14_1725
.LBB14_2060:
	s_or_b32 s9, s9, exec_lo
	s_trap 2
	s_cbranch_execz .LBB14_1771
	s_branch .LBB14_1772
.LBB14_2061:
	s_and_not1_saveexec_b32 s8, s8
	s_cbranch_execz .LBB14_1736
.LBB14_2062:
	v_add_f32_e64 v1, 0x42800000, |v4|
	s_and_not1_b32 s7, s7, exec_lo
	s_delay_alu instid0(VALU_DEP_1) | instskip(NEXT) | instid1(VALU_DEP_1)
	v_and_b32_e32 v1, 0xff, v1
	v_cmp_ne_u32_e32 vcc_lo, 0, v1
	s_and_b32 s10, vcc_lo, exec_lo
	s_delay_alu instid0(SALU_CYCLE_1)
	s_or_b32 s7, s7, s10
	s_or_b32 exec_lo, exec_lo, s8
	v_mov_b32_e32 v5, 0
	s_and_saveexec_b32 s8, s7
	s_cbranch_execnz .LBB14_1737
	s_branch .LBB14_1738
.LBB14_2063:
	s_and_not1_saveexec_b32 s10, s10
	s_cbranch_execz .LBB14_1841
.LBB14_2064:
	v_add_f32_e64 v1, 0x46000000, |v4|
	s_and_not1_b32 s8, s8, exec_lo
	s_delay_alu instid0(VALU_DEP_1) | instskip(NEXT) | instid1(VALU_DEP_1)
	v_and_b32_e32 v1, 0xff, v1
	v_cmp_ne_u32_e32 vcc_lo, 0, v1
	s_and_b32 s13, vcc_lo, exec_lo
	s_delay_alu instid0(SALU_CYCLE_1)
	s_or_b32 s8, s8, s13
	s_or_b32 exec_lo, exec_lo, s10
	v_mov_b32_e32 v5, 0
	s_and_saveexec_b32 s10, s8
	s_cbranch_execnz .LBB14_1842
	s_branch .LBB14_1843
.LBB14_2065:
	s_or_b32 s9, s9, exec_lo
	s_trap 2
	s_cbranch_execz .LBB14_1889
	s_branch .LBB14_1890
.LBB14_2066:
	s_and_not1_saveexec_b32 s8, s8
	s_cbranch_execz .LBB14_1854
.LBB14_2067:
	v_add_f32_e64 v1, 0x42800000, |v4|
	s_and_not1_b32 s7, s7, exec_lo
	s_delay_alu instid0(VALU_DEP_1) | instskip(NEXT) | instid1(VALU_DEP_1)
	v_and_b32_e32 v1, 0xff, v1
	v_cmp_ne_u32_e32 vcc_lo, 0, v1
	s_and_b32 s10, vcc_lo, exec_lo
	s_delay_alu instid0(SALU_CYCLE_1)
	s_or_b32 s7, s7, s10
	s_or_b32 exec_lo, exec_lo, s8
	v_mov_b32_e32 v5, 0
	s_and_saveexec_b32 s8, s7
	s_cbranch_execnz .LBB14_1855
	s_branch .LBB14_1856
.LBB14_2068:
	s_and_not1_saveexec_b32 s6, s6
	s_cbranch_execz .LBB14_1921
.LBB14_2069:
	v_add_f32_e64 v3, 0x46000000, |v2|
	s_and_not1_b32 s5, s5, exec_lo
	s_delay_alu instid0(VALU_DEP_1) | instskip(NEXT) | instid1(VALU_DEP_1)
	v_and_b32_e32 v3, 0xff, v3
	v_cmp_ne_u32_e32 vcc_lo, 0, v3
	s_and_b32 s7, vcc_lo, exec_lo
	s_delay_alu instid0(SALU_CYCLE_1)
	s_or_b32 s5, s5, s7
	s_or_b32 exec_lo, exec_lo, s6
	v_mov_b32_e32 v4, 0
	s_and_saveexec_b32 s6, s5
	s_cbranch_execnz .LBB14_1922
	s_branch .LBB14_1923
.LBB14_2070:
	s_mov_b32 s3, 0
	s_or_b32 s9, s9, exec_lo
	s_trap 2
	s_branch .LBB14_1967
.LBB14_2071:
	s_and_not1_saveexec_b32 s5, s5
	s_cbranch_execz .LBB14_1933
.LBB14_2072:
	v_add_f32_e64 v3, 0x42800000, |v2|
	s_and_not1_b32 s4, s4, exec_lo
	s_delay_alu instid0(VALU_DEP_1) | instskip(NEXT) | instid1(VALU_DEP_1)
	v_and_b32_e32 v3, 0xff, v3
	v_cmp_ne_u32_e32 vcc_lo, 0, v3
	s_and_b32 s6, vcc_lo, exec_lo
	s_delay_alu instid0(SALU_CYCLE_1)
	s_or_b32 s4, s4, s6
	s_or_b32 exec_lo, exec_lo, s5
	v_mov_b32_e32 v4, 0
	s_and_saveexec_b32 s5, s4
	s_cbranch_execnz .LBB14_1934
	s_branch .LBB14_1935
	.section	.rodata,"a",@progbits
	.p2align	6, 0x0
	.amdhsa_kernel _ZN2at6native32elementwise_kernel_manual_unrollILi128ELi4EZNS0_15gpu_kernel_implIZZZNS0_15sin_kernel_cudaERNS_18TensorIteratorBaseEENKUlvE0_clEvENKUlvE0_clEvEUlfE_EEvS4_RKT_EUlibE_EEviT1_
		.amdhsa_group_segment_fixed_size 0
		.amdhsa_private_segment_fixed_size 0
		.amdhsa_kernarg_size 40
		.amdhsa_user_sgpr_count 2
		.amdhsa_user_sgpr_dispatch_ptr 0
		.amdhsa_user_sgpr_queue_ptr 0
		.amdhsa_user_sgpr_kernarg_segment_ptr 1
		.amdhsa_user_sgpr_dispatch_id 0
		.amdhsa_user_sgpr_kernarg_preload_length 0
		.amdhsa_user_sgpr_kernarg_preload_offset 0
		.amdhsa_user_sgpr_private_segment_size 0
		.amdhsa_wavefront_size32 1
		.amdhsa_uses_dynamic_stack 0
		.amdhsa_enable_private_segment 0
		.amdhsa_system_sgpr_workgroup_id_x 1
		.amdhsa_system_sgpr_workgroup_id_y 0
		.amdhsa_system_sgpr_workgroup_id_z 0
		.amdhsa_system_sgpr_workgroup_info 0
		.amdhsa_system_vgpr_workitem_id 0
		.amdhsa_next_free_vgpr 32
		.amdhsa_next_free_sgpr 26
		.amdhsa_named_barrier_count 0
		.amdhsa_reserve_vcc 1
		.amdhsa_float_round_mode_32 0
		.amdhsa_float_round_mode_16_64 0
		.amdhsa_float_denorm_mode_32 3
		.amdhsa_float_denorm_mode_16_64 3
		.amdhsa_fp16_overflow 0
		.amdhsa_memory_ordered 1
		.amdhsa_forward_progress 1
		.amdhsa_inst_pref_size 255
		.amdhsa_round_robin_scheduling 0
		.amdhsa_exception_fp_ieee_invalid_op 0
		.amdhsa_exception_fp_denorm_src 0
		.amdhsa_exception_fp_ieee_div_zero 0
		.amdhsa_exception_fp_ieee_overflow 0
		.amdhsa_exception_fp_ieee_underflow 0
		.amdhsa_exception_fp_ieee_inexact 0
		.amdhsa_exception_int_div_zero 0
	.end_amdhsa_kernel
	.section	.text._ZN2at6native32elementwise_kernel_manual_unrollILi128ELi4EZNS0_15gpu_kernel_implIZZZNS0_15sin_kernel_cudaERNS_18TensorIteratorBaseEENKUlvE0_clEvENKUlvE0_clEvEUlfE_EEvS4_RKT_EUlibE_EEviT1_,"axG",@progbits,_ZN2at6native32elementwise_kernel_manual_unrollILi128ELi4EZNS0_15gpu_kernel_implIZZZNS0_15sin_kernel_cudaERNS_18TensorIteratorBaseEENKUlvE0_clEvENKUlvE0_clEvEUlfE_EEvS4_RKT_EUlibE_EEviT1_,comdat
.Lfunc_end14:
	.size	_ZN2at6native32elementwise_kernel_manual_unrollILi128ELi4EZNS0_15gpu_kernel_implIZZZNS0_15sin_kernel_cudaERNS_18TensorIteratorBaseEENKUlvE0_clEvENKUlvE0_clEvEUlfE_EEvS4_RKT_EUlibE_EEviT1_, .Lfunc_end14-_ZN2at6native32elementwise_kernel_manual_unrollILi128ELi4EZNS0_15gpu_kernel_implIZZZNS0_15sin_kernel_cudaERNS_18TensorIteratorBaseEENKUlvE0_clEvENKUlvE0_clEvEUlfE_EEvS4_RKT_EUlibE_EEviT1_
                                        ; -- End function
	.set _ZN2at6native32elementwise_kernel_manual_unrollILi128ELi4EZNS0_15gpu_kernel_implIZZZNS0_15sin_kernel_cudaERNS_18TensorIteratorBaseEENKUlvE0_clEvENKUlvE0_clEvEUlfE_EEvS4_RKT_EUlibE_EEviT1_.num_vgpr, 32
	.set _ZN2at6native32elementwise_kernel_manual_unrollILi128ELi4EZNS0_15gpu_kernel_implIZZZNS0_15sin_kernel_cudaERNS_18TensorIteratorBaseEENKUlvE0_clEvENKUlvE0_clEvEUlfE_EEvS4_RKT_EUlibE_EEviT1_.num_agpr, 0
	.set _ZN2at6native32elementwise_kernel_manual_unrollILi128ELi4EZNS0_15gpu_kernel_implIZZZNS0_15sin_kernel_cudaERNS_18TensorIteratorBaseEENKUlvE0_clEvENKUlvE0_clEvEUlfE_EEvS4_RKT_EUlibE_EEviT1_.numbered_sgpr, 26
	.set _ZN2at6native32elementwise_kernel_manual_unrollILi128ELi4EZNS0_15gpu_kernel_implIZZZNS0_15sin_kernel_cudaERNS_18TensorIteratorBaseEENKUlvE0_clEvENKUlvE0_clEvEUlfE_EEvS4_RKT_EUlibE_EEviT1_.num_named_barrier, 0
	.set _ZN2at6native32elementwise_kernel_manual_unrollILi128ELi4EZNS0_15gpu_kernel_implIZZZNS0_15sin_kernel_cudaERNS_18TensorIteratorBaseEENKUlvE0_clEvENKUlvE0_clEvEUlfE_EEvS4_RKT_EUlibE_EEviT1_.private_seg_size, 0
	.set _ZN2at6native32elementwise_kernel_manual_unrollILi128ELi4EZNS0_15gpu_kernel_implIZZZNS0_15sin_kernel_cudaERNS_18TensorIteratorBaseEENKUlvE0_clEvENKUlvE0_clEvEUlfE_EEvS4_RKT_EUlibE_EEviT1_.uses_vcc, 1
	.set _ZN2at6native32elementwise_kernel_manual_unrollILi128ELi4EZNS0_15gpu_kernel_implIZZZNS0_15sin_kernel_cudaERNS_18TensorIteratorBaseEENKUlvE0_clEvENKUlvE0_clEvEUlfE_EEvS4_RKT_EUlibE_EEviT1_.uses_flat_scratch, 0
	.set _ZN2at6native32elementwise_kernel_manual_unrollILi128ELi4EZNS0_15gpu_kernel_implIZZZNS0_15sin_kernel_cudaERNS_18TensorIteratorBaseEENKUlvE0_clEvENKUlvE0_clEvEUlfE_EEvS4_RKT_EUlibE_EEviT1_.has_dyn_sized_stack, 0
	.set _ZN2at6native32elementwise_kernel_manual_unrollILi128ELi4EZNS0_15gpu_kernel_implIZZZNS0_15sin_kernel_cudaERNS_18TensorIteratorBaseEENKUlvE0_clEvENKUlvE0_clEvEUlfE_EEvS4_RKT_EUlibE_EEviT1_.has_recursion, 0
	.set _ZN2at6native32elementwise_kernel_manual_unrollILi128ELi4EZNS0_15gpu_kernel_implIZZZNS0_15sin_kernel_cudaERNS_18TensorIteratorBaseEENKUlvE0_clEvENKUlvE0_clEvEUlfE_EEvS4_RKT_EUlibE_EEviT1_.has_indirect_call, 0
	.section	.AMDGPU.csdata,"",@progbits
; Kernel info:
; codeLenInByte = 44836
; TotalNumSgprs: 28
; NumVgprs: 32
; ScratchSize: 0
; MemoryBound: 1
; FloatMode: 240
; IeeeMode: 1
; LDSByteSize: 0 bytes/workgroup (compile time only)
; SGPRBlocks: 0
; VGPRBlocks: 1
; NumSGPRsForWavesPerEU: 28
; NumVGPRsForWavesPerEU: 32
; NamedBarCnt: 0
; Occupancy: 16
; WaveLimiterHint : 0
; COMPUTE_PGM_RSRC2:SCRATCH_EN: 0
; COMPUTE_PGM_RSRC2:USER_SGPR: 2
; COMPUTE_PGM_RSRC2:TRAP_HANDLER: 0
; COMPUTE_PGM_RSRC2:TGID_X_EN: 1
; COMPUTE_PGM_RSRC2:TGID_Y_EN: 0
; COMPUTE_PGM_RSRC2:TGID_Z_EN: 0
; COMPUTE_PGM_RSRC2:TIDIG_COMP_CNT: 0
	.section	.text._ZN2at6native32elementwise_kernel_manual_unrollILi128ELi4EZNS0_15gpu_kernel_implIZZZNS0_15sin_kernel_cudaERNS_18TensorIteratorBaseEENKUlvE0_clEvENKUlvE0_clEvEUlfE_EEvS4_RKT_EUlibE0_EEviT1_,"axG",@progbits,_ZN2at6native32elementwise_kernel_manual_unrollILi128ELi4EZNS0_15gpu_kernel_implIZZZNS0_15sin_kernel_cudaERNS_18TensorIteratorBaseEENKUlvE0_clEvENKUlvE0_clEvEUlfE_EEvS4_RKT_EUlibE0_EEviT1_,comdat
	.globl	_ZN2at6native32elementwise_kernel_manual_unrollILi128ELi4EZNS0_15gpu_kernel_implIZZZNS0_15sin_kernel_cudaERNS_18TensorIteratorBaseEENKUlvE0_clEvENKUlvE0_clEvEUlfE_EEvS4_RKT_EUlibE0_EEviT1_ ; -- Begin function _ZN2at6native32elementwise_kernel_manual_unrollILi128ELi4EZNS0_15gpu_kernel_implIZZZNS0_15sin_kernel_cudaERNS_18TensorIteratorBaseEENKUlvE0_clEvENKUlvE0_clEvEUlfE_EEvS4_RKT_EUlibE0_EEviT1_
	.p2align	8
	.type	_ZN2at6native32elementwise_kernel_manual_unrollILi128ELi4EZNS0_15gpu_kernel_implIZZZNS0_15sin_kernel_cudaERNS_18TensorIteratorBaseEENKUlvE0_clEvENKUlvE0_clEvEUlfE_EEvS4_RKT_EUlibE0_EEviT1_,@function
_ZN2at6native32elementwise_kernel_manual_unrollILi128ELi4EZNS0_15gpu_kernel_implIZZZNS0_15sin_kernel_cudaERNS_18TensorIteratorBaseEENKUlvE0_clEvENKUlvE0_clEvEUlfE_EEvS4_RKT_EUlibE0_EEviT1_: ; @_ZN2at6native32elementwise_kernel_manual_unrollILi128ELi4EZNS0_15gpu_kernel_implIZZZNS0_15sin_kernel_cudaERNS_18TensorIteratorBaseEENKUlvE0_clEvENKUlvE0_clEvEUlfE_EEvS4_RKT_EUlibE0_EEviT1_
; %bb.0:
	s_clause 0x1
	s_load_b32 s28, s[0:1], 0x8
	s_load_b32 s36, s[0:1], 0x0
	s_bfe_u32 s2, ttmp6, 0x4000c
	s_and_b32 s3, ttmp6, 15
	s_add_co_i32 s2, s2, 1
	s_getreg_b32 s4, hwreg(HW_REG_IB_STS2, 6, 4)
	s_mul_i32 s2, ttmp9, s2
	s_mov_b32 s30, 0
	s_add_co_i32 s3, s3, s2
	s_cmp_eq_u32 s4, 0
	s_mov_b32 s24, -1
	s_cselect_b32 s2, ttmp9, s3
	s_mov_b32 s8, 0
	v_lshl_or_b32 v0, s2, 9, v0
	s_add_nc_u64 s[2:3], s[0:1], 8
	s_wait_xcnt 0x0
	s_mov_b32 s0, exec_lo
	s_delay_alu instid0(VALU_DEP_1) | instskip(SKIP_2) | instid1(SALU_CYCLE_1)
	v_or_b32_e32 v9, 0x180, v0
	s_wait_kmcnt 0x0
	s_add_co_i32 s29, s28, -1
	s_cmp_gt_u32 s29, 1
	s_cselect_b32 s31, -1, 0
	v_cmpx_le_i32_e64 s36, v9
	s_xor_b32 s33, exec_lo, s0
	s_cbranch_execz .LBB15_1109
; %bb.1:
	v_mov_b32_e32 v1, 0
	s_clause 0x3
	s_load_b128 s[12:15], s[2:3], 0x4
	s_load_b64 s[18:19], s[2:3], 0x14
	s_load_b128 s[8:11], s[2:3], 0xc4
	s_load_b128 s[4:7], s[2:3], 0x148
	s_cmp_lg_u32 s28, 0
	s_mov_b32 s17, 0
	s_cselect_b32 s38, -1, 0
	global_load_u16 v1, v1, s[2:3] offset:345
	s_min_u32 s37, s29, 15
	s_cmp_gt_u32 s28, 1
	s_add_nc_u64 s[22:23], s[2:3], 0xc4
	s_cselect_b32 s35, -1, 0
	s_mov_b32 s21, s17
	s_mov_b32 s39, s17
	s_mov_b32 s40, exec_lo
	s_wait_kmcnt 0x0
	s_mov_b32 s16, s13
	s_mov_b32 s20, s18
	;; [unrolled: 1-line block ×3, first 2 shown]
	s_wait_loadcnt 0x0
	v_readfirstlane_b32 s34, v1
	s_and_b32 s0, 0xffff, s34
	s_delay_alu instid0(SALU_CYCLE_1)
	s_lshr_b32 s13, s0, 8
	v_cmpx_gt_i32_e64 s36, v0
	s_cbranch_execz .LBB15_271
; %bb.2:
	s_and_not1_b32 vcc_lo, exec_lo, s31
	s_cbranch_vccnz .LBB15_8
; %bb.3:
	s_and_not1_b32 vcc_lo, exec_lo, s38
	s_cbranch_vccnz .LBB15_9
; %bb.4:
	s_add_co_i32 s1, s37, 1
	s_cmp_eq_u32 s29, 2
	s_cbranch_scc1 .LBB15_10
; %bb.5:
	v_dual_mov_b32 v2, 0 :: v_dual_mov_b32 v4, 0
	v_mov_b32_e32 v1, v0
	s_and_b32 s0, s1, 28
	s_mov_b32 s18, 0
	s_mov_b64 s[24:25], s[2:3]
	s_mov_b64 s[26:27], s[22:23]
.LBB15_6:                               ; =>This Inner Loop Header: Depth=1
	s_clause 0x1
	s_load_b256 s[44:51], s[24:25], 0x4
	s_load_b128 s[60:63], s[24:25], 0x24
	s_load_b256 s[52:59], s[26:27], 0x0
	s_add_co_i32 s18, s18, 4
	s_wait_xcnt 0x0
	s_add_nc_u64 s[24:25], s[24:25], 48
	s_cmp_lg_u32 s0, s18
	s_add_nc_u64 s[26:27], s[26:27], 32
	s_wait_kmcnt 0x0
	v_mul_hi_u32 v3, s45, v1
	s_delay_alu instid0(VALU_DEP_1) | instskip(NEXT) | instid1(VALU_DEP_1)
	v_add_nc_u32_e32 v3, v1, v3
	v_lshrrev_b32_e32 v3, s46, v3
	s_delay_alu instid0(VALU_DEP_1) | instskip(NEXT) | instid1(VALU_DEP_1)
	v_mul_hi_u32 v5, s48, v3
	v_add_nc_u32_e32 v5, v3, v5
	s_delay_alu instid0(VALU_DEP_1) | instskip(NEXT) | instid1(VALU_DEP_1)
	v_lshrrev_b32_e32 v5, s49, v5
	v_mul_hi_u32 v6, s51, v5
	s_delay_alu instid0(VALU_DEP_1) | instskip(SKIP_1) | instid1(VALU_DEP_1)
	v_add_nc_u32_e32 v6, v5, v6
	v_mul_lo_u32 v7, v3, s44
	v_sub_nc_u32_e32 v1, v1, v7
	v_mul_lo_u32 v7, v5, s47
	s_delay_alu instid0(VALU_DEP_4) | instskip(NEXT) | instid1(VALU_DEP_3)
	v_lshrrev_b32_e32 v6, s60, v6
	v_mad_u32 v4, v1, s53, v4
	v_mad_u32 v1, v1, s52, v2
	s_delay_alu instid0(VALU_DEP_4) | instskip(NEXT) | instid1(VALU_DEP_4)
	v_sub_nc_u32_e32 v2, v3, v7
	v_mul_hi_u32 v8, s62, v6
	v_mul_lo_u32 v3, v6, s50
	s_delay_alu instid0(VALU_DEP_3) | instskip(SKIP_1) | instid1(VALU_DEP_3)
	v_mad_u32 v4, v2, s55, v4
	v_mad_u32 v2, v2, s54, v1
	v_dual_add_nc_u32 v7, v6, v8 :: v_dual_sub_nc_u32 v3, v5, v3
	s_delay_alu instid0(VALU_DEP_1) | instskip(NEXT) | instid1(VALU_DEP_2)
	v_lshrrev_b32_e32 v1, s63, v7
	v_mad_u32 v4, v3, s57, v4
	s_delay_alu instid0(VALU_DEP_4) | instskip(NEXT) | instid1(VALU_DEP_3)
	v_mad_u32 v2, v3, s56, v2
	v_mul_lo_u32 v5, v1, s61
	s_delay_alu instid0(VALU_DEP_1) | instskip(NEXT) | instid1(VALU_DEP_1)
	v_sub_nc_u32_e32 v3, v6, v5
	v_mad_u32 v4, v3, s59, v4
	s_delay_alu instid0(VALU_DEP_4)
	v_mad_u32 v2, v3, s58, v2
	s_cbranch_scc1 .LBB15_6
; %bb.7:
	s_delay_alu instid0(VALU_DEP_2)
	v_mov_b32_e32 v3, v4
	s_and_b32 s18, s1, 3
	s_mov_b32 s1, 0
	s_cmp_eq_u32 s18, 0
	s_cbranch_scc0 .LBB15_11
	s_branch .LBB15_14
.LBB15_8:
                                        ; implicit-def: $vgpr4
                                        ; implicit-def: $vgpr2
	s_branch .LBB15_15
.LBB15_9:
	v_dual_mov_b32 v4, 0 :: v_dual_mov_b32 v2, 0
	s_branch .LBB15_14
.LBB15_10:
	v_mov_b64_e32 v[2:3], 0
	v_mov_b32_e32 v1, v0
	s_mov_b32 s0, 0
                                        ; implicit-def: $vgpr4
	s_and_b32 s18, s1, 3
	s_mov_b32 s1, 0
	s_cmp_eq_u32 s18, 0
	s_cbranch_scc1 .LBB15_14
.LBB15_11:
	s_lshl_b32 s24, s0, 3
	s_mov_b32 s25, s1
	s_mul_u64 s[26:27], s[0:1], 12
	s_add_nc_u64 s[24:25], s[2:3], s[24:25]
	s_delay_alu instid0(SALU_CYCLE_1)
	s_add_nc_u64 s[0:1], s[24:25], 0xc4
	s_add_nc_u64 s[24:25], s[2:3], s[26:27]
.LBB15_12:                              ; =>This Inner Loop Header: Depth=1
	s_load_b96 s[44:46], s[24:25], 0x4
	s_load_b64 s[26:27], s[0:1], 0x0
	s_add_co_i32 s18, s18, -1
	s_wait_xcnt 0x0
	s_add_nc_u64 s[24:25], s[24:25], 12
	s_cmp_lg_u32 s18, 0
	s_add_nc_u64 s[0:1], s[0:1], 8
	s_wait_kmcnt 0x0
	v_mul_hi_u32 v4, s45, v1
	s_delay_alu instid0(VALU_DEP_1) | instskip(NEXT) | instid1(VALU_DEP_1)
	v_add_nc_u32_e32 v4, v1, v4
	v_lshrrev_b32_e32 v4, s46, v4
	s_delay_alu instid0(VALU_DEP_1) | instskip(NEXT) | instid1(VALU_DEP_1)
	v_mul_lo_u32 v5, v4, s44
	v_sub_nc_u32_e32 v1, v1, v5
	s_delay_alu instid0(VALU_DEP_1)
	v_mad_u32 v3, v1, s27, v3
	v_mad_u32 v2, v1, s26, v2
	v_mov_b32_e32 v1, v4
	s_cbranch_scc1 .LBB15_12
; %bb.13:
	s_delay_alu instid0(VALU_DEP_3)
	v_mov_b32_e32 v4, v3
.LBB15_14:
	s_cbranch_execnz .LBB15_17
.LBB15_15:
	v_mov_b32_e32 v1, 0
	s_and_not1_b32 vcc_lo, exec_lo, s35
	s_delay_alu instid0(VALU_DEP_1) | instskip(NEXT) | instid1(VALU_DEP_1)
	v_mul_u64_e32 v[2:3], s[16:17], v[0:1]
	v_add_nc_u32_e32 v2, v0, v3
	s_delay_alu instid0(VALU_DEP_1) | instskip(NEXT) | instid1(VALU_DEP_1)
	v_lshrrev_b32_e32 v6, s14, v2
	v_mul_lo_u32 v2, v6, s12
	s_delay_alu instid0(VALU_DEP_1) | instskip(NEXT) | instid1(VALU_DEP_1)
	v_sub_nc_u32_e32 v2, v0, v2
	v_mul_lo_u32 v4, v2, s9
	v_mul_lo_u32 v2, v2, s8
	s_cbranch_vccnz .LBB15_17
; %bb.16:
	v_mov_b32_e32 v7, v1
	s_delay_alu instid0(VALU_DEP_1) | instskip(NEXT) | instid1(VALU_DEP_1)
	v_mul_u64_e32 v[8:9], s[20:21], v[6:7]
	v_add_nc_u32_e32 v1, v6, v9
	s_delay_alu instid0(VALU_DEP_1) | instskip(NEXT) | instid1(VALU_DEP_1)
	v_lshrrev_b32_e32 v1, s19, v1
	v_mul_lo_u32 v1, v1, s15
	s_delay_alu instid0(VALU_DEP_1) | instskip(NEXT) | instid1(VALU_DEP_1)
	v_sub_nc_u32_e32 v1, v6, v1
	v_mad_u32 v2, v1, s10, v2
	v_mad_u32 v4, v1, s11, v4
.LBB15_17:
	v_mov_b32_e32 v5, 0
	s_and_b32 s0, 0xffff, s13
	s_delay_alu instid0(SALU_CYCLE_1) | instskip(NEXT) | instid1(VALU_DEP_1)
	s_cmp_lt_i32 s0, 11
	v_add_nc_u64_e32 v[4:5], s[6:7], v[4:5]
	s_cbranch_scc1 .LBB15_24
; %bb.18:
	s_cmp_gt_i32 s0, 25
	s_cbranch_scc0 .LBB15_76
; %bb.19:
	s_cmp_gt_i32 s0, 28
	s_cbranch_scc0 .LBB15_77
	;; [unrolled: 3-line block ×4, first 2 shown]
; %bb.22:
	s_cmp_eq_u32 s0, 46
	s_mov_b32 s18, 0
	s_cbranch_scc0 .LBB15_83
; %bb.23:
	global_load_b32 v1, v[4:5], off
	s_mov_b32 s1, -1
	s_mov_b32 s24, 0
	s_wait_loadcnt 0x0
	v_lshlrev_b32_e32 v1, 16, v1
	s_branch .LBB15_85
.LBB15_24:
	s_mov_b32 s24, 0
	s_mov_b32 s1, 0
                                        ; implicit-def: $vgpr1
	s_cbranch_execnz .LBB15_221
.LBB15_25:
	s_and_not1_b32 vcc_lo, exec_lo, s1
	s_cbranch_vccnz .LBB15_268
.LBB15_26:
	s_wait_loadcnt 0x0
	s_delay_alu instid0(VALU_DEP_1)
	v_and_b32_e32 v3, 0x7fffffff, v1
                                        ; implicit-def: $vgpr5
                                        ; implicit-def: $vgpr4
	s_mov_b32 s1, exec_lo
	v_cmpx_ngt_f32_e64 0x48000000, |v1|
	s_xor_b32 s18, exec_lo, s1
	s_cbranch_execz .LBB15_28
; %bb.27:
	s_mov_b32 s0, 0x7fffff
	v_mov_b32_e32 v5, 0
	v_and_or_b32 v4, v3, s0, 0x800000
	s_mov_b64 s[0:1], 0xfe5163ab
	s_delay_alu instid0(VALU_DEP_1) | instid1(SALU_CYCLE_1)
	v_mul_u64_e32 v[6:7], s[0:1], v[4:5]
	s_delay_alu instid0(VALU_DEP_1) | instskip(SKIP_2) | instid1(VALU_DEP_3)
	v_dual_mov_b32 v8, v7 :: v_dual_mov_b32 v9, v5
	v_dual_mov_b32 v11, v5 :: v_dual_mov_b32 v13, v5
	v_dual_mov_b32 v15, v5 :: v_dual_lshrrev_b32 v7, 23, v3
	v_mad_nc_u64_u32 v[8:9], 0x3c439041, v4, v[8:9]
	s_delay_alu instid0(VALU_DEP_1) | instskip(NEXT) | instid1(VALU_DEP_1)
	v_mov_b32_e32 v10, v9
	v_mad_nc_u64_u32 v[10:11], 0xdb629599, v4, v[10:11]
	s_delay_alu instid0(VALU_DEP_1) | instskip(NEXT) | instid1(VALU_DEP_1)
	v_mov_b32_e32 v12, v11
	;; [unrolled: 3-line block ×3, first 2 shown]
	v_mad_nc_u64_u32 v[14:15], 0xfc2757d1, v4, v[14:15]
	s_delay_alu instid0(VALU_DEP_1) | instskip(NEXT) | instid1(VALU_DEP_1)
	v_dual_mov_b32 v17, v5 :: v_dual_mov_b32 v16, v15
	v_mad_nc_u64_u32 v[16:17], 0x4e441529, v4, v[16:17]
	s_delay_alu instid0(VALU_DEP_1) | instskip(NEXT) | instid1(VALU_DEP_1)
	v_dual_mov_b32 v18, v17 :: v_dual_add_nc_u32 v7, 0xffffff88, v7
	v_cmp_lt_u32_e32 vcc_lo, 63, v7
	v_mov_b32_e32 v19, v5
	v_cndmask_b32_e64 v9, 0, 0xffffffc0, vcc_lo
	s_delay_alu instid0(VALU_DEP_2) | instskip(SKIP_1) | instid1(VALU_DEP_3)
	v_mad_nc_u64_u32 v[4:5], 0xa2f9836e, v4, v[18:19]
	v_dual_cndmask_b32 v11, v16, v12, vcc_lo :: v_dual_cndmask_b32 v13, v14, v10, vcc_lo
	v_dual_cndmask_b32 v8, v12, v8 :: v_dual_add_nc_u32 v7, v9, v7
	v_cndmask_b32_e32 v6, v10, v6, vcc_lo
	s_delay_alu instid0(VALU_DEP_2) | instskip(SKIP_1) | instid1(VALU_DEP_2)
	v_cmp_lt_u32_e64 s0, 31, v7
	v_dual_cndmask_b32 v4, v4, v14 :: v_dual_cndmask_b32 v5, v5, v16
	v_cndmask_b32_e64 v9, 0, 0xffffffe0, s0
	s_delay_alu instid0(VALU_DEP_4) | instskip(NEXT) | instid1(VALU_DEP_2)
	v_dual_cndmask_b32 v12, v13, v8, s0 :: v_dual_cndmask_b32 v6, v8, v6, s0
	v_add_nc_u32_e32 v7, v9, v7
	s_delay_alu instid0(VALU_DEP_1) | instskip(NEXT) | instid1(VALU_DEP_1)
	v_cmp_lt_u32_e64 s1, 31, v7
	v_cndmask_b32_e64 v9, 0, 0xffffffe0, s1
	s_delay_alu instid0(VALU_DEP_1) | instskip(SKIP_1) | instid1(VALU_DEP_2)
	v_dual_cndmask_b32 v6, v12, v6, s1 :: v_dual_add_nc_u32 v7, v9, v7
	v_dual_cndmask_b32 v9, v4, v11, s0 :: v_dual_cndmask_b32 v4, v5, v4, s0
	v_dual_cndmask_b32 v5, v11, v13, s0 :: v_dual_sub_nc_u32 v11, 32, v7
	v_cmp_eq_u32_e32 vcc_lo, 0, v7
	s_delay_alu instid0(VALU_DEP_3) | instskip(NEXT) | instid1(VALU_DEP_3)
	v_cndmask_b32_e64 v4, v4, v9, s1
	v_cndmask_b32_e64 v9, v9, v5, s1
	;; [unrolled: 1-line block ×3, first 2 shown]
	s_delay_alu instid0(VALU_DEP_2) | instskip(NEXT) | instid1(VALU_DEP_2)
	v_alignbit_b32 v13, v4, v9, v11
	v_alignbit_b32 v10, v9, v5, v11
	v_alignbit_b32 v11, v5, v6, v11
	s_delay_alu instid0(VALU_DEP_2) | instskip(NEXT) | instid1(VALU_DEP_2)
	v_dual_cndmask_b32 v4, v13, v4 :: v_dual_cndmask_b32 v7, v10, v9
	v_cndmask_b32_e32 v5, v11, v5, vcc_lo
	s_delay_alu instid0(VALU_DEP_2) | instskip(NEXT) | instid1(VALU_DEP_3)
	v_bfe_u32 v8, v4, 29, 1
	v_alignbit_b32 v9, v4, v7, 30
	s_delay_alu instid0(VALU_DEP_3) | instskip(SKIP_1) | instid1(VALU_DEP_4)
	v_alignbit_b32 v7, v7, v5, 30
	v_alignbit_b32 v5, v5, v6, 30
	v_sub_nc_u32_e32 v10, 0, v8
	s_delay_alu instid0(VALU_DEP_1) | instskip(NEXT) | instid1(VALU_DEP_4)
	v_xor_b32_e32 v9, v9, v10
	v_xor_b32_e32 v6, v7, v10
	s_delay_alu instid0(VALU_DEP_4) | instskip(NEXT) | instid1(VALU_DEP_3)
	v_dual_lshrrev_b32 v10, 29, v4 :: v_dual_bitop2_b32 v5, v5, v10 bitop3:0x14
	v_clz_i32_u32_e32 v11, v9
	s_delay_alu instid0(VALU_DEP_1) | instskip(NEXT) | instid1(VALU_DEP_1)
	v_min_u32_e32 v11, 32, v11
	v_dual_sub_nc_u32 v7, 31, v11 :: v_dual_lshlrev_b32 v12, 23, v11
	s_delay_alu instid0(VALU_DEP_1) | instskip(SKIP_2) | instid1(VALU_DEP_2)
	v_alignbit_b32 v9, v9, v6, v7
	v_alignbit_b32 v5, v6, v5, v7
	v_lshlrev_b32_e32 v6, 31, v10
	v_alignbit_b32 v7, v9, v5, 9
	s_delay_alu instid0(VALU_DEP_2) | instskip(SKIP_1) | instid1(VALU_DEP_3)
	v_dual_lshrrev_b32 v9, 9, v9 :: v_dual_bitop2_b32 v10, 0.5, v6 bitop3:0x54
	v_or_b32_e32 v6, 0x33000000, v6
	v_clz_i32_u32_e32 v13, v7
	s_delay_alu instid0(VALU_DEP_3) | instskip(NEXT) | instid1(VALU_DEP_2)
	v_sub_nc_u32_e32 v10, v10, v12
	v_min_u32_e32 v12, 32, v13
	s_delay_alu instid0(VALU_DEP_1) | instskip(NEXT) | instid1(VALU_DEP_3)
	v_add_lshl_u32 v11, v12, v11, 23
	v_or_b32_e32 v9, v9, v10
	v_not_b32_e32 v10, v12
	s_delay_alu instid0(VALU_DEP_2) | instskip(NEXT) | instid1(VALU_DEP_2)
	v_dual_mul_f32 v13, 0x3fc90fda, v9 :: v_dual_sub_nc_u32 v6, v6, v11
	v_alignbit_b32 v5, v7, v5, v10
	s_delay_alu instid0(VALU_DEP_2) | instskip(NEXT) | instid1(VALU_DEP_2)
	v_fma_f32 v7, 0x3fc90fda, v9, -v13
	v_lshrrev_b32_e32 v5, 9, v5
	s_delay_alu instid0(VALU_DEP_2) | instskip(NEXT) | instid1(VALU_DEP_2)
	v_fmamk_f32 v7, v9, 0x33a22168, v7
	v_or_b32_e32 v5, v6, v5
	s_delay_alu instid0(VALU_DEP_1) | instskip(NEXT) | instid1(VALU_DEP_1)
	v_fmac_f32_e32 v7, 0x3fc90fda, v5
	v_dual_add_f32 v4, v13, v7 :: v_dual_lshrrev_b32 v5, 30, v4
	s_delay_alu instid0(VALU_DEP_1)
	v_add_nc_u32_e32 v5, v8, v5
.LBB15_28:
	s_and_not1_saveexec_b32 s0, s18
; %bb.29:
	v_mul_f32_e64 v4, 0x3f22f983, |v1|
	s_delay_alu instid0(VALU_DEP_1) | instskip(NEXT) | instid1(VALU_DEP_1)
	v_rndne_f32_e32 v5, v4
	v_fma_f32 v4, 0xbfc90fda, v5, |v1|
	s_delay_alu instid0(VALU_DEP_1) | instskip(NEXT) | instid1(VALU_DEP_1)
	v_fmamk_f32 v4, v5, 0xb3a22168, v4
	v_fmamk_f32 v4, v5, 0xa7c234c4, v4
	v_cvt_i32_f32_e32 v5, v5
; %bb.30:
	s_or_b32 exec_lo, exec_lo, s0
	s_delay_alu instid0(VALU_DEP_1) | instskip(SKIP_3) | instid1(VALU_DEP_1)
	v_dual_mul_f32 v6, v4, v4 :: v_dual_bitop2_b32 v9, 1, v5 bitop3:0x40
	s_mov_b32 s0, 0xb94c1982
	s_mov_b32 s1, 0x37d75334
	s_mov_b32 s18, -1
	v_fmaak_f32 v7, s0, v6, 0x3c0881c4
	v_cmp_eq_u32_e32 vcc_lo, 0, v9
	s_mov_b32 s0, 0
	s_mov_b32 s25, 0
	v_lshlrev_b32_e32 v5, 30, v5
	v_fmaak_f32 v7, v6, v7, 0xbe2aaa9d
	v_fmaak_f32 v8, s1, v6, 0xbab64f3b
	s_and_b32 s1, s34, 0xff
	s_delay_alu instid0(SALU_CYCLE_1) | instskip(NEXT) | instid1(VALU_DEP_1)
	s_cmp_lt_i32 s1, 11
	v_dual_mul_f32 v7, v6, v7 :: v_dual_fmaak_f32 v8, v6, v8, 0x3d2aabf7
	v_and_b32_e32 v5, 0x80000000, v5
	s_delay_alu instid0(VALU_DEP_2) | instskip(NEXT) | instid1(VALU_DEP_3)
	v_dual_fmac_f32 v4, v4, v7 :: v_dual_bitop2_b32 v7, v3, v1 bitop3:0x14
	v_dual_fmaak_f32 v8, v6, v8, 0xbf000004 :: v_dual_mov_b32 v3, 0
	s_delay_alu instid0(VALU_DEP_1) | instskip(NEXT) | instid1(VALU_DEP_2)
	v_fma_f32 v6, v6, v8, 1.0
	v_add_nc_u64_e32 v[2:3], s[4:5], v[2:3]
	s_delay_alu instid0(VALU_DEP_2) | instskip(SKIP_1) | instid1(VALU_DEP_2)
	v_cndmask_b32_e32 v4, v6, v4, vcc_lo
	v_cmp_class_f32_e64 vcc_lo, v1, 0x1f8
	v_xor3_b32 v4, v7, v5, v4
	s_delay_alu instid0(VALU_DEP_1)
	v_cndmask_b32_e32 v4, 0x7fc00000, v4, vcc_lo
	s_cbranch_scc1 .LBB15_37
; %bb.31:
	s_and_b32 s18, 0xffff, s1
	s_delay_alu instid0(SALU_CYCLE_1)
	s_cmp_gt_i32 s18, 25
	s_cbranch_scc0 .LBB15_78
; %bb.32:
	s_cmp_gt_i32 s18, 28
	s_cbranch_scc0 .LBB15_80
; %bb.33:
	;; [unrolled: 3-line block ×4, first 2 shown]
	s_mov_b32 s26, 0
	s_mov_b32 s0, -1
	s_cmp_eq_u32 s18, 46
	s_cbranch_scc0 .LBB15_89
; %bb.36:
	v_bfe_u32 v1, v4, 16, 1
	v_cmp_o_f32_e32 vcc_lo, v4, v4
	s_mov_b32 s25, -1
	s_mov_b32 s0, 0
	s_delay_alu instid0(VALU_DEP_2) | instskip(NEXT) | instid1(VALU_DEP_1)
	v_add3_u32 v1, v4, v1, 0x7fff
	v_lshrrev_b32_e32 v1, 16, v1
	s_delay_alu instid0(VALU_DEP_1)
	v_cndmask_b32_e32 v1, 0x7fc0, v1, vcc_lo
	global_store_b32 v[2:3], v1, off
	s_branch .LBB15_89
.LBB15_37:
	s_and_b32 vcc_lo, exec_lo, s18
	s_cbranch_vccz .LBB15_158
; %bb.38:
	s_and_b32 s1, 0xffff, s1
	s_mov_b32 s18, -1
	s_cmp_lt_i32 s1, 5
	s_cbranch_scc1 .LBB15_59
; %bb.39:
	s_cmp_lt_i32 s1, 8
	s_cbranch_scc1 .LBB15_49
; %bb.40:
	;; [unrolled: 3-line block ×3, first 2 shown]
	s_cmp_gt_i32 s1, 9
	s_cbranch_scc0 .LBB15_43
; %bb.42:
	s_wait_xcnt 0x0
	v_cvt_f64_f32_e32 v[6:7], v4
	v_mov_b32_e32 v8, 0
	s_mov_b32 s18, 0
	s_delay_alu instid0(VALU_DEP_1)
	v_mov_b32_e32 v9, v8
	global_store_b128 v[2:3], v[6:9], off
.LBB15_43:
	s_and_not1_b32 vcc_lo, exec_lo, s18
	s_cbranch_vccnz .LBB15_45
; %bb.44:
	s_wait_xcnt 0x0
	v_mov_b32_e32 v5, 0
	global_store_b64 v[2:3], v[4:5], off
.LBB15_45:
	s_mov_b32 s18, 0
.LBB15_46:
	s_delay_alu instid0(SALU_CYCLE_1)
	s_and_not1_b32 vcc_lo, exec_lo, s18
	s_cbranch_vccnz .LBB15_48
; %bb.47:
	s_wait_xcnt 0x0
	v_cvt_f16_f32_e32 v1, v4
	s_delay_alu instid0(VALU_DEP_1)
	v_and_b32_e32 v1, 0xffff, v1
	global_store_b32 v[2:3], v1, off
.LBB15_48:
	s_mov_b32 s18, 0
.LBB15_49:
	s_delay_alu instid0(SALU_CYCLE_1)
	s_and_not1_b32 vcc_lo, exec_lo, s18
	s_cbranch_vccnz .LBB15_58
; %bb.50:
	s_cmp_lt_i32 s1, 6
	s_mov_b32 s18, -1
	s_cbranch_scc1 .LBB15_56
; %bb.51:
	s_cmp_gt_i32 s1, 6
	s_cbranch_scc0 .LBB15_53
; %bb.52:
	s_wait_xcnt 0x0
	v_cvt_f64_f32_e32 v[6:7], v4
	s_mov_b32 s18, 0
	global_store_b64 v[2:3], v[6:7], off
.LBB15_53:
	s_and_not1_b32 vcc_lo, exec_lo, s18
	s_cbranch_vccnz .LBB15_55
; %bb.54:
	global_store_b32 v[2:3], v4, off
.LBB15_55:
	s_mov_b32 s18, 0
.LBB15_56:
	s_delay_alu instid0(SALU_CYCLE_1)
	s_and_not1_b32 vcc_lo, exec_lo, s18
	s_cbranch_vccnz .LBB15_58
; %bb.57:
	s_wait_xcnt 0x0
	v_cvt_f16_f32_e32 v1, v4
	global_store_b16 v[2:3], v1, off
.LBB15_58:
	s_mov_b32 s18, 0
.LBB15_59:
	s_delay_alu instid0(SALU_CYCLE_1)
	s_and_not1_b32 vcc_lo, exec_lo, s18
	s_cbranch_vccnz .LBB15_75
; %bb.60:
	s_cmp_lt_i32 s1, 2
	s_mov_b32 s18, -1
	s_cbranch_scc1 .LBB15_70
; %bb.61:
	s_cmp_lt_i32 s1, 3
	s_cbranch_scc1 .LBB15_67
; %bb.62:
	s_cmp_gt_i32 s1, 3
	s_cbranch_scc0 .LBB15_64
; %bb.63:
	s_wait_xcnt 0x0
	v_trunc_f32_e32 v1, v4
	s_mov_b32 s18, 0
	s_delay_alu instid0(VALU_DEP_1) | instskip(SKIP_1) | instid1(VALU_DEP_2)
	v_mul_f32_e64 v5, 0x2f800000, |v1|
	v_ashrrev_i32_e32 v6, 31, v1
	v_floor_f32_e32 v5, v5
	s_delay_alu instid0(VALU_DEP_1) | instskip(SKIP_1) | instid1(VALU_DEP_2)
	v_fma_f32 v7, 0xcf800000, v5, |v1|
	v_cvt_u32_f32_e32 v1, v5
	v_cvt_u32_f32_e32 v5, v7
	s_delay_alu instid0(VALU_DEP_2) | instskip(NEXT) | instid1(VALU_DEP_2)
	v_dual_mov_b32 v7, v6 :: v_dual_bitop2_b32 v9, v1, v6 bitop3:0x14
	v_xor_b32_e32 v8, v5, v6
	s_delay_alu instid0(VALU_DEP_1)
	v_sub_nc_u64_e32 v[6:7], v[8:9], v[6:7]
	global_store_b64 v[2:3], v[6:7], off
.LBB15_64:
	s_and_not1_b32 vcc_lo, exec_lo, s18
	s_cbranch_vccnz .LBB15_66
; %bb.65:
	s_wait_xcnt 0x0
	v_cvt_i32_f32_e32 v1, v4
	global_store_b32 v[2:3], v1, off
.LBB15_66:
	s_mov_b32 s18, 0
.LBB15_67:
	s_delay_alu instid0(SALU_CYCLE_1)
	s_and_not1_b32 vcc_lo, exec_lo, s18
	s_cbranch_vccnz .LBB15_69
; %bb.68:
	s_wait_xcnt 0x0
	v_cvt_i32_f32_e32 v1, v4
	global_store_b16 v[2:3], v1, off
.LBB15_69:
	s_mov_b32 s18, 0
.LBB15_70:
	s_delay_alu instid0(SALU_CYCLE_1)
	s_and_not1_b32 vcc_lo, exec_lo, s18
	s_cbranch_vccnz .LBB15_75
; %bb.71:
	s_cmp_gt_i32 s1, 0
	s_mov_b32 s1, -1
	s_cbranch_scc0 .LBB15_73
; %bb.72:
	s_wait_xcnt 0x0
	v_cvt_i32_f32_e32 v1, v4
	s_mov_b32 s1, 0
	global_store_b8 v[2:3], v1, off
.LBB15_73:
	s_and_not1_b32 vcc_lo, exec_lo, s1
	s_cbranch_vccnz .LBB15_75
; %bb.74:
	s_wait_xcnt 0x0
	v_trunc_f32_e32 v1, v4
	s_delay_alu instid0(VALU_DEP_1) | instskip(NEXT) | instid1(VALU_DEP_1)
	v_mul_f32_e64 v4, 0x2f800000, |v1|
	v_floor_f32_e32 v4, v4
	s_delay_alu instid0(VALU_DEP_1) | instskip(SKIP_1) | instid1(VALU_DEP_2)
	v_fma_f32 v4, 0xcf800000, v4, |v1|
	v_ashrrev_i32_e32 v1, 31, v1
	v_cvt_u32_f32_e32 v4, v4
	s_delay_alu instid0(VALU_DEP_1) | instskip(NEXT) | instid1(VALU_DEP_1)
	v_xor_b32_e32 v4, v4, v1
	v_sub_nc_u32_e32 v1, v4, v1
	global_store_b8 v[2:3], v1, off
.LBB15_75:
	s_branch .LBB15_159
.LBB15_76:
	s_mov_b32 s24, 0
	s_mov_b32 s1, 0
                                        ; implicit-def: $vgpr1
	s_cbranch_execnz .LBB15_186
	s_branch .LBB15_220
.LBB15_77:
	s_mov_b32 s18, -1
	s_mov_b32 s24, 0
	s_mov_b32 s1, 0
                                        ; implicit-def: $vgpr1
	s_branch .LBB15_167
.LBB15_78:
	s_mov_b32 s26, -1
	s_branch .LBB15_116
.LBB15_79:
	s_mov_b32 s18, -1
	s_mov_b32 s24, 0
	s_mov_b32 s1, 0
                                        ; implicit-def: $vgpr1
	s_branch .LBB15_162
.LBB15_80:
	s_mov_b32 s26, -1
	s_branch .LBB15_99
.LBB15_81:
	s_mov_b32 s18, -1
	s_mov_b32 s24, 0
	s_branch .LBB15_84
.LBB15_82:
	s_mov_b32 s26, -1
	s_branch .LBB15_95
.LBB15_83:
	s_mov_b32 s24, -1
.LBB15_84:
	s_mov_b32 s1, 0
                                        ; implicit-def: $vgpr1
.LBB15_85:
	s_and_b32 vcc_lo, exec_lo, s18
	s_cbranch_vccz .LBB15_161
; %bb.86:
	s_cmp_eq_u32 s0, 44
	s_cbranch_scc0 .LBB15_160
; %bb.87:
	global_load_u8 v1, v[4:5], off
	s_mov_b32 s24, 0
	s_mov_b32 s1, -1
	s_wait_loadcnt 0x0
	v_lshlrev_b32_e32 v3, 23, v1
	v_cmp_ne_u32_e32 vcc_lo, 0xff, v1
	s_delay_alu instid0(VALU_DEP_2) | instskip(SKIP_1) | instid1(VALU_DEP_2)
	v_cndmask_b32_e32 v3, 0x7f800001, v3, vcc_lo
	v_cmp_ne_u32_e32 vcc_lo, 0, v1
	v_cndmask_b32_e32 v1, 0x400000, v3, vcc_lo
	s_branch .LBB15_161
.LBB15_88:
	s_mov_b32 s26, -1
.LBB15_89:
	s_delay_alu instid0(SALU_CYCLE_1)
	s_and_b32 vcc_lo, exec_lo, s26
	s_cbranch_vccz .LBB15_94
; %bb.90:
	s_cmp_eq_u32 s18, 44
	s_mov_b32 s0, -1
	s_cbranch_scc0 .LBB15_94
; %bb.91:
	v_bfe_u32 v5, v4, 23, 8
	s_wait_xcnt 0x0
	v_mov_b32_e32 v1, 0xff
	s_mov_b32 s25, exec_lo
	s_delay_alu instid0(VALU_DEP_2)
	v_cmpx_ne_u32_e32 0xff, v5
	s_cbranch_execz .LBB15_93
; %bb.92:
	v_and_b32_e32 v1, 0x400000, v4
	v_and_or_b32 v5, 0x3fffff, v4, v5
	s_delay_alu instid0(VALU_DEP_2) | instskip(NEXT) | instid1(VALU_DEP_2)
	v_cmp_ne_u32_e32 vcc_lo, 0, v1
	v_cmp_ne_u32_e64 s0, 0, v5
	v_lshrrev_b32_e32 v1, 23, v4
	s_and_b32 s0, vcc_lo, s0
	s_delay_alu instid0(SALU_CYCLE_1) | instskip(NEXT) | instid1(VALU_DEP_1)
	v_cndmask_b32_e64 v5, 0, 1, s0
	v_add_nc_u32_e32 v1, v1, v5
.LBB15_93:
	s_or_b32 exec_lo, exec_lo, s25
	s_mov_b32 s25, -1
	s_mov_b32 s0, 0
	global_store_b8 v[2:3], v1, off
.LBB15_94:
	s_mov_b32 s26, 0
.LBB15_95:
	s_delay_alu instid0(SALU_CYCLE_1)
	s_and_b32 vcc_lo, exec_lo, s26
	s_cbranch_vccz .LBB15_98
; %bb.96:
	s_cmp_eq_u32 s18, 29
	s_mov_b32 s0, -1
	s_cbranch_scc0 .LBB15_98
; %bb.97:
	s_wait_xcnt 0x0
	v_trunc_f32_e32 v1, v4
	s_mov_b32 s25, -1
	s_mov_b32 s0, 0
	s_mov_b32 s26, 0
	s_delay_alu instid0(VALU_DEP_1) | instskip(NEXT) | instid1(VALU_DEP_1)
	v_mul_f32_e32 v5, 0x2f800000, v1
	v_floor_f32_e32 v5, v5
	s_delay_alu instid0(VALU_DEP_1) | instskip(SKIP_1) | instid1(VALU_DEP_2)
	v_fmamk_f32 v1, v5, 0xcf800000, v1
	v_cvt_u32_f32_e32 v7, v5
	v_cvt_u32_f32_e32 v6, v1
	global_store_b64 v[2:3], v[6:7], off
	s_branch .LBB15_99
.LBB15_98:
	s_mov_b32 s26, 0
.LBB15_99:
	s_delay_alu instid0(SALU_CYCLE_1)
	s_and_b32 vcc_lo, exec_lo, s26
	s_cbranch_vccz .LBB15_115
; %bb.100:
	s_cmp_lt_i32 s18, 27
	s_mov_b32 s25, -1
	s_cbranch_scc1 .LBB15_106
; %bb.101:
	s_wait_xcnt 0x0
	v_cvt_u32_f32_e32 v1, v4
	s_cmp_gt_i32 s18, 27
	s_cbranch_scc0 .LBB15_103
; %bb.102:
	s_mov_b32 s25, 0
	global_store_b32 v[2:3], v1, off
.LBB15_103:
	s_and_not1_b32 vcc_lo, exec_lo, s25
	s_cbranch_vccnz .LBB15_105
; %bb.104:
	global_store_b16 v[2:3], v1, off
.LBB15_105:
	s_mov_b32 s25, 0
.LBB15_106:
	s_delay_alu instid0(SALU_CYCLE_1)
	s_and_not1_b32 vcc_lo, exec_lo, s25
	s_cbranch_vccnz .LBB15_114
; %bb.107:
	s_wait_xcnt 0x0
	v_and_b32_e32 v1, 0x7fffffff, v4
	v_mov_b32_e32 v5, 0x80
	s_mov_b32 s25, exec_lo
	s_delay_alu instid0(VALU_DEP_2)
	v_cmpx_gt_u32_e32 0x43800000, v1
	s_cbranch_execz .LBB15_113
; %bb.108:
	v_cmp_lt_u32_e32 vcc_lo, 0x3bffffff, v1
	s_mov_b32 s26, 0
                                        ; implicit-def: $vgpr1
	s_and_saveexec_b32 s27, vcc_lo
	s_delay_alu instid0(SALU_CYCLE_1)
	s_xor_b32 s27, exec_lo, s27
	s_cbranch_execz .LBB15_357
; %bb.109:
	v_bfe_u32 v1, v4, 20, 1
	s_mov_b32 s26, exec_lo
	s_delay_alu instid0(VALU_DEP_1) | instskip(NEXT) | instid1(VALU_DEP_1)
	v_add3_u32 v1, v4, v1, 0x487ffff
	v_lshrrev_b32_e32 v1, 20, v1
	s_and_not1_saveexec_b32 s27, s27
	s_cbranch_execnz .LBB15_358
.LBB15_110:
	s_or_b32 exec_lo, exec_lo, s27
	v_mov_b32_e32 v5, 0
	s_and_saveexec_b32 s27, s26
.LBB15_111:
	v_lshrrev_b32_e32 v5, 24, v4
	s_delay_alu instid0(VALU_DEP_1)
	v_and_or_b32 v5, 0x80, v5, v1
.LBB15_112:
	s_or_b32 exec_lo, exec_lo, s27
.LBB15_113:
	s_delay_alu instid0(SALU_CYCLE_1)
	s_or_b32 exec_lo, exec_lo, s25
	global_store_b8 v[2:3], v5, off
.LBB15_114:
	s_mov_b32 s25, -1
.LBB15_115:
	s_mov_b32 s26, 0
.LBB15_116:
	s_delay_alu instid0(SALU_CYCLE_1)
	s_and_b32 vcc_lo, exec_lo, s26
	s_cbranch_vccz .LBB15_157
; %bb.117:
	s_cmp_gt_i32 s18, 22
	s_mov_b32 s26, -1
	s_cbranch_scc0 .LBB15_149
; %bb.118:
	s_cmp_lt_i32 s18, 24
	s_mov_b32 s25, -1
	s_cbranch_scc1 .LBB15_138
; %bb.119:
	s_cmp_gt_i32 s18, 24
	s_cbranch_scc0 .LBB15_127
; %bb.120:
	s_wait_xcnt 0x0
	v_and_b32_e32 v1, 0x7fffffff, v4
	v_mov_b32_e32 v5, 0x80
	s_mov_b32 s25, exec_lo
	s_delay_alu instid0(VALU_DEP_2)
	v_cmpx_gt_u32_e32 0x47800000, v1
	s_cbranch_execz .LBB15_126
; %bb.121:
	v_cmp_lt_u32_e32 vcc_lo, 0x37ffffff, v1
	s_mov_b32 s26, 0
                                        ; implicit-def: $vgpr1
	s_and_saveexec_b32 s27, vcc_lo
	s_delay_alu instid0(SALU_CYCLE_1)
	s_xor_b32 s27, exec_lo, s27
	s_cbranch_execz .LBB15_361
; %bb.122:
	v_bfe_u32 v1, v4, 21, 1
	s_mov_b32 s26, exec_lo
	s_delay_alu instid0(VALU_DEP_1) | instskip(NEXT) | instid1(VALU_DEP_1)
	v_add3_u32 v1, v4, v1, 0x88fffff
	v_lshrrev_b32_e32 v1, 21, v1
	s_and_not1_saveexec_b32 s27, s27
	s_cbranch_execnz .LBB15_362
.LBB15_123:
	s_or_b32 exec_lo, exec_lo, s27
	v_mov_b32_e32 v5, 0
	s_and_saveexec_b32 s27, s26
.LBB15_124:
	v_lshrrev_b32_e32 v5, 24, v4
	s_delay_alu instid0(VALU_DEP_1)
	v_and_or_b32 v5, 0x80, v5, v1
.LBB15_125:
	s_or_b32 exec_lo, exec_lo, s27
.LBB15_126:
	s_delay_alu instid0(SALU_CYCLE_1)
	s_or_b32 exec_lo, exec_lo, s25
	s_mov_b32 s25, 0
	global_store_b8 v[2:3], v5, off
.LBB15_127:
	s_and_b32 vcc_lo, exec_lo, s25
	s_cbranch_vccz .LBB15_137
; %bb.128:
	s_wait_xcnt 0x0
	v_and_b32_e32 v5, 0x7fffffff, v4
	s_mov_b32 s25, exec_lo
                                        ; implicit-def: $vgpr1
	s_delay_alu instid0(VALU_DEP_1)
	v_cmpx_gt_u32_e32 0x43f00000, v5
	s_xor_b32 s25, exec_lo, s25
	s_cbranch_execz .LBB15_134
; %bb.129:
	s_mov_b32 s26, exec_lo
                                        ; implicit-def: $vgpr1
	v_cmpx_lt_u32_e32 0x3c7fffff, v5
	s_xor_b32 s26, exec_lo, s26
; %bb.130:
	v_bfe_u32 v1, v4, 20, 1
	s_delay_alu instid0(VALU_DEP_1) | instskip(NEXT) | instid1(VALU_DEP_1)
	v_add3_u32 v1, v4, v1, 0x407ffff
	v_and_b32_e32 v5, 0xff00000, v1
	v_lshrrev_b32_e32 v1, 20, v1
	s_delay_alu instid0(VALU_DEP_2) | instskip(NEXT) | instid1(VALU_DEP_2)
	v_cmp_ne_u32_e32 vcc_lo, 0x7f00000, v5
	v_cndmask_b32_e32 v1, 0x7e, v1, vcc_lo
; %bb.131:
	s_and_not1_saveexec_b32 s26, s26
; %bb.132:
	v_add_f32_e64 v1, 0x46800000, |v4|
; %bb.133:
	s_or_b32 exec_lo, exec_lo, s26
                                        ; implicit-def: $vgpr5
.LBB15_134:
	s_and_not1_saveexec_b32 s25, s25
; %bb.135:
	v_mov_b32_e32 v1, 0x7f
	v_cmp_lt_u32_e32 vcc_lo, 0x7f800000, v5
	s_delay_alu instid0(VALU_DEP_2)
	v_cndmask_b32_e32 v1, 0x7e, v1, vcc_lo
; %bb.136:
	s_or_b32 exec_lo, exec_lo, s25
	v_lshrrev_b32_e32 v5, 24, v4
	s_delay_alu instid0(VALU_DEP_1)
	v_and_or_b32 v1, 0x80, v5, v1
	global_store_b8 v[2:3], v1, off
.LBB15_137:
	s_mov_b32 s25, 0
.LBB15_138:
	s_delay_alu instid0(SALU_CYCLE_1)
	s_and_not1_b32 vcc_lo, exec_lo, s25
	s_cbranch_vccnz .LBB15_148
; %bb.139:
	s_wait_xcnt 0x0
	v_and_b32_e32 v5, 0x7fffffff, v4
	s_mov_b32 s25, exec_lo
                                        ; implicit-def: $vgpr1
	s_delay_alu instid0(VALU_DEP_1)
	v_cmpx_gt_u32_e32 0x47800000, v5
	s_xor_b32 s25, exec_lo, s25
	s_cbranch_execz .LBB15_145
; %bb.140:
	s_mov_b32 s26, exec_lo
                                        ; implicit-def: $vgpr1
	v_cmpx_lt_u32_e32 0x387fffff, v5
	s_xor_b32 s26, exec_lo, s26
; %bb.141:
	v_bfe_u32 v1, v4, 21, 1
	s_delay_alu instid0(VALU_DEP_1) | instskip(NEXT) | instid1(VALU_DEP_1)
	v_add3_u32 v1, v4, v1, 0x80fffff
	v_lshrrev_b32_e32 v1, 21, v1
; %bb.142:
	s_and_not1_saveexec_b32 s26, s26
; %bb.143:
	v_add_f32_e64 v1, 0x43000000, |v4|
; %bb.144:
	s_or_b32 exec_lo, exec_lo, s26
                                        ; implicit-def: $vgpr5
.LBB15_145:
	s_and_not1_saveexec_b32 s25, s25
; %bb.146:
	v_mov_b32_e32 v1, 0x7f
	v_cmp_lt_u32_e32 vcc_lo, 0x7f800000, v5
	s_delay_alu instid0(VALU_DEP_2)
	v_cndmask_b32_e32 v1, 0x7c, v1, vcc_lo
; %bb.147:
	s_or_b32 exec_lo, exec_lo, s25
	v_lshrrev_b32_e32 v5, 24, v4
	s_delay_alu instid0(VALU_DEP_1)
	v_and_or_b32 v1, 0x80, v5, v1
	global_store_b8 v[2:3], v1, off
.LBB15_148:
	s_mov_b32 s26, 0
	s_mov_b32 s25, -1
.LBB15_149:
	s_and_not1_b32 vcc_lo, exec_lo, s26
	s_cbranch_vccnz .LBB15_157
; %bb.150:
	s_cmp_gt_i32 s18, 14
	s_mov_b32 s26, -1
	s_cbranch_scc0 .LBB15_154
; %bb.151:
	s_cmp_eq_u32 s18, 15
	s_mov_b32 s0, -1
	s_cbranch_scc0 .LBB15_153
; %bb.152:
	s_wait_xcnt 0x0
	v_bfe_u32 v1, v4, 16, 1
	v_cmp_o_f32_e32 vcc_lo, v4, v4
	s_mov_b32 s25, -1
	s_mov_b32 s0, 0
	s_delay_alu instid0(VALU_DEP_2) | instskip(NEXT) | instid1(VALU_DEP_1)
	v_add3_u32 v1, v4, v1, 0x7fff
	v_lshrrev_b32_e32 v1, 16, v1
	s_delay_alu instid0(VALU_DEP_1)
	v_cndmask_b32_e32 v1, 0x7fc0, v1, vcc_lo
	global_store_b16 v[2:3], v1, off
.LBB15_153:
	s_mov_b32 s26, 0
.LBB15_154:
	s_delay_alu instid0(SALU_CYCLE_1)
	s_and_b32 vcc_lo, exec_lo, s26
	s_cbranch_vccz .LBB15_157
; %bb.155:
	s_cmp_eq_u32 s18, 11
	s_mov_b32 s0, -1
	s_cbranch_scc0 .LBB15_157
; %bb.156:
	v_cmp_neq_f32_e32 vcc_lo, 0, v4
	s_mov_b32 s0, 0
	s_mov_b32 s25, -1
	s_wait_xcnt 0x0
	v_cndmask_b32_e64 v1, 0, 1, vcc_lo
	global_store_b8 v[2:3], v1, off
.LBB15_157:
.LBB15_158:
	s_and_not1_b32 vcc_lo, exec_lo, s25
	s_cbranch_vccnz .LBB15_269
.LBB15_159:
	v_add_nc_u32_e32 v0, 0x80, v0
	s_mov_b32 s1, -1
	s_branch .LBB15_270
.LBB15_160:
	s_mov_b32 s24, -1
                                        ; implicit-def: $vgpr1
.LBB15_161:
	s_mov_b32 s18, 0
.LBB15_162:
	s_delay_alu instid0(SALU_CYCLE_1)
	s_and_b32 vcc_lo, exec_lo, s18
	s_cbranch_vccz .LBB15_166
; %bb.163:
	s_cmp_eq_u32 s0, 29
	s_cbranch_scc0 .LBB15_165
; %bb.164:
	global_load_b64 v[6:7], v[4:5], off
	s_mov_b32 s1, -1
	s_mov_b32 s24, 0
	s_mov_b32 s18, 0
	s_wait_loadcnt 0x0
	v_clz_i32_u32_e32 v1, v7
	s_delay_alu instid0(VALU_DEP_1) | instskip(NEXT) | instid1(VALU_DEP_1)
	v_min_u32_e32 v1, 32, v1
	v_lshlrev_b64_e32 v[6:7], v1, v[6:7]
	v_sub_nc_u32_e32 v1, 32, v1
	s_delay_alu instid0(VALU_DEP_2) | instskip(NEXT) | instid1(VALU_DEP_1)
	v_min_u32_e32 v3, 1, v6
	v_or_b32_e32 v3, v7, v3
	s_delay_alu instid0(VALU_DEP_1) | instskip(NEXT) | instid1(VALU_DEP_1)
	v_cvt_f32_u32_e32 v3, v3
	v_ldexp_f32 v1, v3, v1
	s_branch .LBB15_167
.LBB15_165:
	s_mov_b32 s24, -1
                                        ; implicit-def: $vgpr1
.LBB15_166:
	s_mov_b32 s18, 0
.LBB15_167:
	s_delay_alu instid0(SALU_CYCLE_1)
	s_and_b32 vcc_lo, exec_lo, s18
	s_cbranch_vccz .LBB15_185
; %bb.168:
	s_cmp_lt_i32 s0, 27
	s_cbranch_scc1 .LBB15_171
; %bb.169:
	s_cmp_gt_i32 s0, 27
	s_cbranch_scc0 .LBB15_172
; %bb.170:
	global_load_b32 v1, v[4:5], off
	s_mov_b32 s1, 0
	s_wait_loadcnt 0x0
	v_cvt_f32_u32_e32 v1, v1
	s_branch .LBB15_173
.LBB15_171:
	s_mov_b32 s1, -1
                                        ; implicit-def: $vgpr1
	s_branch .LBB15_176
.LBB15_172:
	s_mov_b32 s1, -1
                                        ; implicit-def: $vgpr1
.LBB15_173:
	s_delay_alu instid0(SALU_CYCLE_1)
	s_and_not1_b32 vcc_lo, exec_lo, s1
	s_cbranch_vccnz .LBB15_175
; %bb.174:
	global_load_u16 v1, v[4:5], off
	s_wait_loadcnt 0x0
	v_cvt_f32_u32_e32 v1, v1
.LBB15_175:
	s_mov_b32 s1, 0
.LBB15_176:
	s_delay_alu instid0(SALU_CYCLE_1)
	s_and_not1_b32 vcc_lo, exec_lo, s1
	s_cbranch_vccnz .LBB15_184
; %bb.177:
	global_load_u8 v3, v[4:5], off
	s_mov_b32 s1, 0
	s_mov_b32 s18, exec_lo
	s_wait_loadcnt 0x0
	v_cmpx_lt_i16_e32 0x7f, v3
	s_xor_b32 s18, exec_lo, s18
	s_cbranch_execz .LBB15_197
; %bb.178:
	s_mov_b32 s1, -1
	s_mov_b32 s25, exec_lo
	v_cmpx_eq_u16_e32 0x80, v3
; %bb.179:
	s_xor_b32 s1, exec_lo, -1
; %bb.180:
	s_or_b32 exec_lo, exec_lo, s25
	s_delay_alu instid0(SALU_CYCLE_1)
	s_and_b32 s1, s1, exec_lo
	s_or_saveexec_b32 s18, s18
	v_mov_b32_e32 v1, 0x7f800001
	s_xor_b32 exec_lo, exec_lo, s18
	s_cbranch_execnz .LBB15_198
.LBB15_181:
	s_or_b32 exec_lo, exec_lo, s18
	s_and_saveexec_b32 s18, s1
	s_cbranch_execz .LBB15_183
.LBB15_182:
	v_and_b32_e32 v1, 0xffff, v3
	s_delay_alu instid0(VALU_DEP_1) | instskip(SKIP_1) | instid1(VALU_DEP_2)
	v_and_b32_e32 v6, 7, v1
	v_bfe_u32 v9, v1, 3, 4
	v_clz_i32_u32_e32 v7, v6
	s_delay_alu instid0(VALU_DEP_2) | instskip(NEXT) | instid1(VALU_DEP_2)
	v_cmp_eq_u32_e32 vcc_lo, 0, v9
	v_min_u32_e32 v7, 32, v7
	s_delay_alu instid0(VALU_DEP_1) | instskip(NEXT) | instid1(VALU_DEP_1)
	v_subrev_nc_u32_e32 v8, 28, v7
	v_dual_lshlrev_b32 v1, v8, v1 :: v_dual_sub_nc_u32 v7, 29, v7
	s_delay_alu instid0(VALU_DEP_1) | instskip(NEXT) | instid1(VALU_DEP_1)
	v_dual_lshlrev_b32 v3, 24, v3 :: v_dual_bitop2_b32 v1, 7, v1 bitop3:0x40
	v_dual_cndmask_b32 v1, v6, v1, vcc_lo :: v_dual_cndmask_b32 v7, v9, v7, vcc_lo
	s_delay_alu instid0(VALU_DEP_2) | instskip(NEXT) | instid1(VALU_DEP_2)
	v_and_b32_e32 v3, 0x80000000, v3
	v_lshlrev_b32_e32 v1, 20, v1
	s_delay_alu instid0(VALU_DEP_3) | instskip(NEXT) | instid1(VALU_DEP_1)
	v_lshl_add_u32 v6, v7, 23, 0x3b800000
	v_or3_b32 v1, v3, v6, v1
.LBB15_183:
	s_or_b32 exec_lo, exec_lo, s18
.LBB15_184:
	s_mov_b32 s1, -1
.LBB15_185:
	s_branch .LBB15_220
.LBB15_186:
	s_cmp_gt_i32 s0, 22
	s_cbranch_scc0 .LBB15_196
; %bb.187:
	s_cmp_lt_i32 s0, 24
	s_cbranch_scc1 .LBB15_199
; %bb.188:
	s_cmp_gt_i32 s0, 24
	s_cbranch_scc0 .LBB15_200
; %bb.189:
	global_load_u8 v3, v[4:5], off
	s_mov_b32 s1, 0
	s_mov_b32 s18, exec_lo
	s_wait_loadcnt 0x0
	v_cmpx_lt_i16_e32 0x7f, v3
	s_xor_b32 s18, exec_lo, s18
	s_cbranch_execz .LBB15_212
; %bb.190:
	s_mov_b32 s1, -1
	s_mov_b32 s25, exec_lo
	v_cmpx_eq_u16_e32 0x80, v3
; %bb.191:
	s_xor_b32 s1, exec_lo, -1
; %bb.192:
	s_or_b32 exec_lo, exec_lo, s25
	s_delay_alu instid0(SALU_CYCLE_1)
	s_and_b32 s1, s1, exec_lo
	s_or_saveexec_b32 s18, s18
	v_mov_b32_e32 v1, 0x7f800001
	s_xor_b32 exec_lo, exec_lo, s18
	s_cbranch_execnz .LBB15_213
.LBB15_193:
	s_or_b32 exec_lo, exec_lo, s18
	s_and_saveexec_b32 s18, s1
	s_cbranch_execz .LBB15_195
.LBB15_194:
	v_and_b32_e32 v1, 0xffff, v3
	s_delay_alu instid0(VALU_DEP_1) | instskip(SKIP_1) | instid1(VALU_DEP_2)
	v_and_b32_e32 v6, 3, v1
	v_bfe_u32 v9, v1, 2, 5
	v_clz_i32_u32_e32 v7, v6
	s_delay_alu instid0(VALU_DEP_2) | instskip(NEXT) | instid1(VALU_DEP_2)
	v_cmp_eq_u32_e32 vcc_lo, 0, v9
	v_min_u32_e32 v7, 32, v7
	s_delay_alu instid0(VALU_DEP_1) | instskip(NEXT) | instid1(VALU_DEP_1)
	v_subrev_nc_u32_e32 v8, 29, v7
	v_dual_lshlrev_b32 v1, v8, v1 :: v_dual_sub_nc_u32 v7, 30, v7
	s_delay_alu instid0(VALU_DEP_1) | instskip(NEXT) | instid1(VALU_DEP_1)
	v_dual_lshlrev_b32 v3, 24, v3 :: v_dual_bitop2_b32 v1, 3, v1 bitop3:0x40
	v_dual_cndmask_b32 v1, v6, v1, vcc_lo :: v_dual_cndmask_b32 v7, v9, v7, vcc_lo
	s_delay_alu instid0(VALU_DEP_2) | instskip(NEXT) | instid1(VALU_DEP_2)
	v_and_b32_e32 v3, 0x80000000, v3
	v_lshlrev_b32_e32 v1, 21, v1
	s_delay_alu instid0(VALU_DEP_3) | instskip(NEXT) | instid1(VALU_DEP_1)
	v_lshl_add_u32 v6, v7, 23, 0x37800000
	v_or3_b32 v1, v3, v6, v1
.LBB15_195:
	s_or_b32 exec_lo, exec_lo, s18
	s_mov_b32 s1, 0
	s_branch .LBB15_201
.LBB15_196:
	s_mov_b32 s18, -1
                                        ; implicit-def: $vgpr1
	s_branch .LBB15_207
.LBB15_197:
	s_or_saveexec_b32 s18, s18
	v_mov_b32_e32 v1, 0x7f800001
	s_xor_b32 exec_lo, exec_lo, s18
	s_cbranch_execz .LBB15_181
.LBB15_198:
	v_cmp_ne_u16_e32 vcc_lo, 0, v3
	v_mov_b32_e32 v1, 0
	s_and_not1_b32 s1, s1, exec_lo
	s_and_b32 s25, vcc_lo, exec_lo
	s_delay_alu instid0(SALU_CYCLE_1)
	s_or_b32 s1, s1, s25
	s_or_b32 exec_lo, exec_lo, s18
	s_and_saveexec_b32 s18, s1
	s_cbranch_execnz .LBB15_182
	s_branch .LBB15_183
.LBB15_199:
	s_mov_b32 s1, -1
                                        ; implicit-def: $vgpr1
	s_branch .LBB15_204
.LBB15_200:
	s_mov_b32 s1, -1
                                        ; implicit-def: $vgpr1
.LBB15_201:
	s_delay_alu instid0(SALU_CYCLE_1)
	s_and_b32 vcc_lo, exec_lo, s1
	s_cbranch_vccz .LBB15_203
; %bb.202:
	global_load_u8 v1, v[4:5], off
	s_wait_loadcnt 0x0
	v_lshlrev_b32_e32 v1, 24, v1
	s_delay_alu instid0(VALU_DEP_1) | instskip(NEXT) | instid1(VALU_DEP_1)
	v_and_b32_e32 v3, 0x7f000000, v1
	v_clz_i32_u32_e32 v6, v3
	v_cmp_ne_u32_e32 vcc_lo, 0, v3
	v_add_nc_u32_e32 v8, 0x1000000, v3
	s_delay_alu instid0(VALU_DEP_3) | instskip(NEXT) | instid1(VALU_DEP_1)
	v_min_u32_e32 v6, 32, v6
	v_sub_nc_u32_e64 v6, v6, 4 clamp
	s_delay_alu instid0(VALU_DEP_1) | instskip(NEXT) | instid1(VALU_DEP_1)
	v_dual_lshlrev_b32 v7, v6, v3 :: v_dual_lshlrev_b32 v6, 23, v6
	v_lshrrev_b32_e32 v7, 4, v7
	s_delay_alu instid0(VALU_DEP_1) | instskip(NEXT) | instid1(VALU_DEP_1)
	v_dual_sub_nc_u32 v6, v7, v6 :: v_dual_ashrrev_i32 v7, 8, v8
	v_add_nc_u32_e32 v6, 0x3c000000, v6
	s_delay_alu instid0(VALU_DEP_1) | instskip(NEXT) | instid1(VALU_DEP_1)
	v_and_or_b32 v6, 0x7f800000, v7, v6
	v_cndmask_b32_e32 v3, 0, v6, vcc_lo
	s_delay_alu instid0(VALU_DEP_1)
	v_and_or_b32 v1, 0x80000000, v1, v3
.LBB15_203:
	s_mov_b32 s1, 0
.LBB15_204:
	s_delay_alu instid0(SALU_CYCLE_1)
	s_and_not1_b32 vcc_lo, exec_lo, s1
	s_cbranch_vccnz .LBB15_206
; %bb.205:
	global_load_u8 v1, v[4:5], off
	s_wait_loadcnt 0x0
	v_lshlrev_b32_e32 v3, 25, v1
	v_lshlrev_b16 v1, 8, v1
	s_delay_alu instid0(VALU_DEP_1) | instskip(SKIP_1) | instid1(VALU_DEP_2)
	v_and_or_b32 v7, 0x7f00, v1, 0.5
	v_bfe_i32 v1, v1, 0, 16
	v_add_f32_e32 v7, -0.5, v7
	v_lshrrev_b32_e32 v6, 4, v3
	v_cmp_gt_u32_e32 vcc_lo, 0x8000000, v3
	s_delay_alu instid0(VALU_DEP_2) | instskip(NEXT) | instid1(VALU_DEP_1)
	v_or_b32_e32 v6, 0x70000000, v6
	v_mul_f32_e32 v6, 0x7800000, v6
	s_delay_alu instid0(VALU_DEP_1) | instskip(NEXT) | instid1(VALU_DEP_1)
	v_cndmask_b32_e32 v3, v6, v7, vcc_lo
	v_and_or_b32 v1, 0x80000000, v1, v3
.LBB15_206:
	s_mov_b32 s18, 0
	s_mov_b32 s1, -1
.LBB15_207:
	s_and_not1_b32 vcc_lo, exec_lo, s18
	s_cbranch_vccnz .LBB15_220
; %bb.208:
	s_cmp_gt_i32 s0, 14
	s_cbranch_scc0 .LBB15_211
; %bb.209:
	s_cmp_eq_u32 s0, 15
	s_cbranch_scc0 .LBB15_214
; %bb.210:
	global_load_u16 v1, v[4:5], off
	s_mov_b32 s1, -1
	s_mov_b32 s24, 0
	s_wait_loadcnt 0x0
	v_lshlrev_b32_e32 v1, 16, v1
	s_branch .LBB15_215
.LBB15_211:
	s_mov_b32 s18, -1
                                        ; implicit-def: $vgpr1
	s_branch .LBB15_216
.LBB15_212:
	s_or_saveexec_b32 s18, s18
	v_mov_b32_e32 v1, 0x7f800001
	s_xor_b32 exec_lo, exec_lo, s18
	s_cbranch_execz .LBB15_193
.LBB15_213:
	v_cmp_ne_u16_e32 vcc_lo, 0, v3
	v_mov_b32_e32 v1, 0
	s_and_not1_b32 s1, s1, exec_lo
	s_and_b32 s25, vcc_lo, exec_lo
	s_delay_alu instid0(SALU_CYCLE_1)
	s_or_b32 s1, s1, s25
	s_or_b32 exec_lo, exec_lo, s18
	s_and_saveexec_b32 s18, s1
	s_cbranch_execnz .LBB15_194
	s_branch .LBB15_195
.LBB15_214:
	s_mov_b32 s24, -1
                                        ; implicit-def: $vgpr1
.LBB15_215:
	s_mov_b32 s18, 0
.LBB15_216:
	s_delay_alu instid0(SALU_CYCLE_1)
	s_and_b32 vcc_lo, exec_lo, s18
	s_cbranch_vccz .LBB15_220
; %bb.217:
	s_cmp_eq_u32 s0, 11
	s_cbranch_scc0 .LBB15_219
; %bb.218:
	global_load_u8 v1, v[4:5], off
	s_mov_b32 s24, 0
	s_mov_b32 s1, -1
	s_wait_loadcnt 0x0
	v_cmp_ne_u16_e32 vcc_lo, 0, v1
	v_cndmask_b32_e64 v1, 0, 1.0, vcc_lo
	s_branch .LBB15_220
.LBB15_219:
	s_mov_b32 s24, -1
                                        ; implicit-def: $vgpr1
.LBB15_220:
	s_branch .LBB15_25
.LBB15_221:
	s_cmp_lt_i32 s0, 5
	s_cbranch_scc1 .LBB15_226
; %bb.222:
	s_cmp_lt_i32 s0, 8
	s_cbranch_scc1 .LBB15_227
; %bb.223:
	;; [unrolled: 3-line block ×3, first 2 shown]
	s_cmp_gt_i32 s0, 9
	s_cbranch_scc0 .LBB15_229
; %bb.225:
	global_load_b64 v[6:7], v[4:5], off
	s_mov_b32 s1, 0
	s_wait_loadcnt 0x0
	v_cvt_f32_f64_e32 v1, v[6:7]
	s_branch .LBB15_230
.LBB15_226:
                                        ; implicit-def: $vgpr1
	s_branch .LBB15_248
.LBB15_227:
	s_mov_b32 s1, -1
                                        ; implicit-def: $vgpr1
	s_branch .LBB15_236
.LBB15_228:
	s_mov_b32 s1, -1
                                        ; implicit-def: $vgpr1
	s_branch .LBB15_233
.LBB15_229:
	s_mov_b32 s1, -1
                                        ; implicit-def: $vgpr1
.LBB15_230:
	s_delay_alu instid0(SALU_CYCLE_1)
	s_and_not1_b32 vcc_lo, exec_lo, s1
	s_cbranch_vccnz .LBB15_232
; %bb.231:
	global_load_b32 v1, v[4:5], off
.LBB15_232:
	s_mov_b32 s1, 0
.LBB15_233:
	s_delay_alu instid0(SALU_CYCLE_1)
	s_and_not1_b32 vcc_lo, exec_lo, s1
	s_cbranch_vccnz .LBB15_235
; %bb.234:
	s_wait_loadcnt 0x0
	global_load_b32 v1, v[4:5], off
	s_wait_loadcnt 0x0
	v_cvt_f32_f16_e32 v1, v1
.LBB15_235:
	s_mov_b32 s1, 0
.LBB15_236:
	s_delay_alu instid0(SALU_CYCLE_1)
	s_and_not1_b32 vcc_lo, exec_lo, s1
	s_cbranch_vccnz .LBB15_247
; %bb.237:
	s_cmp_lt_i32 s0, 6
	s_cbranch_scc1 .LBB15_240
; %bb.238:
	s_cmp_gt_i32 s0, 6
	s_cbranch_scc0 .LBB15_241
; %bb.239:
	global_load_b64 v[6:7], v[4:5], off
	s_mov_b32 s1, 0
	s_wait_loadcnt 0x0
	v_cvt_f32_f64_e32 v1, v[6:7]
	s_branch .LBB15_242
.LBB15_240:
	s_mov_b32 s1, -1
                                        ; implicit-def: $vgpr1
	s_branch .LBB15_245
.LBB15_241:
	s_mov_b32 s1, -1
                                        ; implicit-def: $vgpr1
.LBB15_242:
	s_delay_alu instid0(SALU_CYCLE_1)
	s_and_not1_b32 vcc_lo, exec_lo, s1
	s_cbranch_vccnz .LBB15_244
; %bb.243:
	s_wait_loadcnt 0x0
	global_load_b32 v1, v[4:5], off
.LBB15_244:
	s_mov_b32 s1, 0
.LBB15_245:
	s_delay_alu instid0(SALU_CYCLE_1)
	s_and_not1_b32 vcc_lo, exec_lo, s1
	s_cbranch_vccnz .LBB15_247
; %bb.246:
	s_wait_loadcnt 0x0
	global_load_u16 v1, v[4:5], off
	s_wait_loadcnt 0x0
	v_cvt_f32_f16_e32 v1, v1
.LBB15_247:
	s_cbranch_execnz .LBB15_267
.LBB15_248:
	s_cmp_lt_i32 s0, 2
	s_cbranch_scc1 .LBB15_252
; %bb.249:
	s_cmp_lt_i32 s0, 3
	s_cbranch_scc1 .LBB15_253
; %bb.250:
	s_cmp_gt_i32 s0, 3
	s_cbranch_scc0 .LBB15_254
; %bb.251:
	global_load_b64 v[6:7], v[4:5], off
	s_mov_b32 s1, 0
	s_wait_loadcnt 0x0
	v_xor_b32_e32 v1, v6, v7
	v_cls_i32_e32 v3, v7
	s_delay_alu instid0(VALU_DEP_2) | instskip(NEXT) | instid1(VALU_DEP_1)
	v_ashrrev_i32_e32 v1, 31, v1
	v_add_nc_u32_e32 v1, 32, v1
	s_delay_alu instid0(VALU_DEP_1) | instskip(NEXT) | instid1(VALU_DEP_1)
	v_add_min_u32_e64 v1, v3, -1, v1
	v_lshlrev_b64_e32 v[6:7], v1, v[6:7]
	v_sub_nc_u32_e32 v1, 32, v1
	s_delay_alu instid0(VALU_DEP_2) | instskip(NEXT) | instid1(VALU_DEP_1)
	v_min_u32_e32 v3, 1, v6
	v_or_b32_e32 v3, v7, v3
	s_delay_alu instid0(VALU_DEP_1) | instskip(NEXT) | instid1(VALU_DEP_1)
	v_cvt_f32_i32_e32 v3, v3
	v_ldexp_f32 v1, v3, v1
	s_branch .LBB15_255
.LBB15_252:
	s_mov_b32 s1, -1
                                        ; implicit-def: $vgpr1
	s_branch .LBB15_261
.LBB15_253:
	s_mov_b32 s1, -1
                                        ; implicit-def: $vgpr1
	s_branch .LBB15_258
.LBB15_254:
	s_mov_b32 s1, -1
                                        ; implicit-def: $vgpr1
.LBB15_255:
	s_delay_alu instid0(SALU_CYCLE_1)
	s_and_not1_b32 vcc_lo, exec_lo, s1
	s_cbranch_vccnz .LBB15_257
; %bb.256:
	s_wait_loadcnt 0x0
	global_load_b32 v1, v[4:5], off
	s_wait_loadcnt 0x0
	v_cvt_f32_i32_e32 v1, v1
.LBB15_257:
	s_mov_b32 s1, 0
.LBB15_258:
	s_delay_alu instid0(SALU_CYCLE_1)
	s_and_not1_b32 vcc_lo, exec_lo, s1
	s_cbranch_vccnz .LBB15_260
; %bb.259:
	s_wait_loadcnt 0x0
	global_load_i16 v1, v[4:5], off
	s_wait_loadcnt 0x0
	v_cvt_f32_i32_e32 v1, v1
.LBB15_260:
	s_mov_b32 s1, 0
.LBB15_261:
	s_delay_alu instid0(SALU_CYCLE_1)
	s_and_not1_b32 vcc_lo, exec_lo, s1
	s_cbranch_vccnz .LBB15_267
; %bb.262:
	s_cmp_gt_i32 s0, 0
	s_mov_b32 s0, 0
	s_cbranch_scc0 .LBB15_264
; %bb.263:
	s_wait_loadcnt 0x0
	global_load_i8 v1, v[4:5], off
	s_wait_loadcnt 0x0
	v_cvt_f32_i32_e32 v1, v1
	s_branch .LBB15_265
.LBB15_264:
	s_mov_b32 s0, -1
                                        ; implicit-def: $vgpr1
.LBB15_265:
	s_delay_alu instid0(SALU_CYCLE_1)
	s_and_not1_b32 vcc_lo, exec_lo, s0
	s_cbranch_vccnz .LBB15_267
; %bb.266:
	s_wait_loadcnt 0x0
	global_load_u8 v1, v[4:5], off
	s_wait_loadcnt 0x0
	v_cvt_f32_ubyte0_e32 v1, v1
.LBB15_267:
	s_branch .LBB15_26
.LBB15_268:
	s_mov_b32 s0, 0
.LBB15_269:
	s_mov_b32 s1, 0
                                        ; implicit-def: $vgpr0
.LBB15_270:
	s_and_b32 s18, s0, exec_lo
	s_and_b32 s39, s24, exec_lo
	s_or_not1_b32 s24, s1, exec_lo
.LBB15_271:
	s_wait_xcnt 0x0
	s_or_b32 exec_lo, exec_lo, s40
	s_mov_b32 s25, 0
	s_mov_b32 s0, 0
                                        ; implicit-def: $vgpr4_vgpr5
                                        ; implicit-def: $vgpr2
                                        ; implicit-def: $vgpr6
	s_and_saveexec_b32 s40, s24
	s_cbranch_execz .LBB15_279
; %bb.272:
	s_mov_b32 s0, -1
	s_mov_b32 s41, s39
	s_mov_b32 s42, s18
	s_mov_b32 s43, exec_lo
	v_cmpx_gt_i32_e64 s36, v0
	s_cbranch_execz .LBB15_553
; %bb.273:
	s_and_not1_b32 vcc_lo, exec_lo, s31
	s_cbranch_vccnz .LBB15_282
; %bb.274:
	s_and_not1_b32 vcc_lo, exec_lo, s38
	s_cbranch_vccnz .LBB15_283
; %bb.275:
	s_add_co_i32 s1, s37, 1
	s_cmp_eq_u32 s29, 2
	s_cbranch_scc1 .LBB15_284
; %bb.276:
	v_dual_mov_b32 v2, 0 :: v_dual_mov_b32 v4, 0
	s_wait_loadcnt 0x0
	v_mov_b32_e32 v1, v0
	s_and_b32 s0, s1, 28
	s_mov_b32 s41, 0
	s_mov_b64 s[24:25], s[2:3]
	s_mov_b64 s[26:27], s[22:23]
.LBB15_277:                             ; =>This Inner Loop Header: Depth=1
	s_clause 0x1
	s_load_b256 s[44:51], s[24:25], 0x4
	s_load_b128 s[60:63], s[24:25], 0x24
	s_load_b256 s[52:59], s[26:27], 0x0
	s_add_co_i32 s41, s41, 4
	s_wait_xcnt 0x0
	s_add_nc_u64 s[24:25], s[24:25], 48
	s_cmp_eq_u32 s0, s41
	s_add_nc_u64 s[26:27], s[26:27], 32
	s_wait_kmcnt 0x0
	v_mul_hi_u32 v3, s45, v1
	s_delay_alu instid0(VALU_DEP_1) | instskip(NEXT) | instid1(VALU_DEP_1)
	v_add_nc_u32_e32 v3, v1, v3
	v_lshrrev_b32_e32 v3, s46, v3
	s_delay_alu instid0(VALU_DEP_1) | instskip(NEXT) | instid1(VALU_DEP_1)
	v_mul_hi_u32 v5, s48, v3
	v_add_nc_u32_e32 v5, v3, v5
	s_delay_alu instid0(VALU_DEP_1) | instskip(NEXT) | instid1(VALU_DEP_1)
	v_lshrrev_b32_e32 v5, s49, v5
	v_mul_hi_u32 v6, s51, v5
	s_delay_alu instid0(VALU_DEP_1) | instskip(SKIP_1) | instid1(VALU_DEP_1)
	v_add_nc_u32_e32 v6, v5, v6
	v_mul_lo_u32 v7, v3, s44
	v_sub_nc_u32_e32 v1, v1, v7
	v_mul_lo_u32 v7, v5, s47
	s_delay_alu instid0(VALU_DEP_4) | instskip(NEXT) | instid1(VALU_DEP_3)
	v_lshrrev_b32_e32 v6, s60, v6
	v_mad_u32 v4, v1, s53, v4
	v_mad_u32 v1, v1, s52, v2
	s_delay_alu instid0(VALU_DEP_4) | instskip(NEXT) | instid1(VALU_DEP_4)
	v_sub_nc_u32_e32 v2, v3, v7
	v_mul_hi_u32 v8, s62, v6
	v_mul_lo_u32 v3, v6, s50
	s_delay_alu instid0(VALU_DEP_3) | instskip(SKIP_1) | instid1(VALU_DEP_3)
	v_mad_u32 v4, v2, s55, v4
	v_mad_u32 v2, v2, s54, v1
	v_dual_add_nc_u32 v7, v6, v8 :: v_dual_sub_nc_u32 v3, v5, v3
	s_delay_alu instid0(VALU_DEP_1) | instskip(NEXT) | instid1(VALU_DEP_2)
	v_lshrrev_b32_e32 v1, s63, v7
	v_mad_u32 v4, v3, s57, v4
	s_delay_alu instid0(VALU_DEP_4) | instskip(NEXT) | instid1(VALU_DEP_3)
	v_mad_u32 v2, v3, s56, v2
	v_mul_lo_u32 v5, v1, s61
	s_delay_alu instid0(VALU_DEP_1) | instskip(NEXT) | instid1(VALU_DEP_1)
	v_sub_nc_u32_e32 v3, v6, v5
	v_mad_u32 v4, v3, s59, v4
	s_delay_alu instid0(VALU_DEP_4)
	v_mad_u32 v2, v3, s58, v2
	s_cbranch_scc0 .LBB15_277
; %bb.278:
	s_delay_alu instid0(VALU_DEP_2)
	v_mov_b32_e32 v3, v4
	s_branch .LBB15_285
.LBB15_279:
	s_or_b32 exec_lo, exec_lo, s40
	s_mov_b32 s6, 0
	s_and_saveexec_b32 s1, s39
	s_cbranch_execnz .LBB15_938
.LBB15_280:
	s_or_b32 exec_lo, exec_lo, s1
	s_and_saveexec_b32 s1, s17
	s_delay_alu instid0(SALU_CYCLE_1)
	s_xor_b32 s1, exec_lo, s1
	s_cbranch_execz .LBB15_939
.LBB15_281:
	global_load_u8 v0, v[4:5], off
	s_or_b32 s0, s0, exec_lo
	s_wait_loadcnt 0x0
	v_cmp_ne_u16_e32 vcc_lo, 0, v0
	v_cndmask_b32_e64 v6, 0, 1.0, vcc_lo
	s_wait_xcnt 0x0
	s_or_b32 exec_lo, exec_lo, s1
	s_and_saveexec_b32 s1, s25
	s_cbranch_execz .LBB15_985
	s_branch .LBB15_940
.LBB15_282:
                                        ; implicit-def: $vgpr4
                                        ; implicit-def: $vgpr2
	s_and_not1_b32 vcc_lo, exec_lo, s0
	s_cbranch_vccnz .LBB15_292
	s_branch .LBB15_290
.LBB15_283:
	v_dual_mov_b32 v4, 0 :: v_dual_mov_b32 v2, 0
	s_branch .LBB15_289
.LBB15_284:
	v_mov_b64_e32 v[2:3], 0
	s_wait_loadcnt 0x0
	v_mov_b32_e32 v1, v0
	s_mov_b32 s0, 0
                                        ; implicit-def: $vgpr4
.LBB15_285:
	s_and_b32 s26, s1, 3
	s_mov_b32 s1, 0
	s_cmp_eq_u32 s26, 0
	s_cbranch_scc1 .LBB15_289
; %bb.286:
	s_lshl_b32 s24, s0, 3
	s_mov_b32 s25, s1
	s_mul_u64 s[44:45], s[0:1], 12
	s_add_nc_u64 s[24:25], s[2:3], s[24:25]
	s_delay_alu instid0(SALU_CYCLE_1)
	s_add_nc_u64 s[0:1], s[24:25], 0xc4
	s_add_nc_u64 s[24:25], s[2:3], s[44:45]
.LBB15_287:                             ; =>This Inner Loop Header: Depth=1
	s_load_b96 s[44:46], s[24:25], 0x4
	s_add_co_i32 s26, s26, -1
	s_wait_xcnt 0x0
	s_add_nc_u64 s[24:25], s[24:25], 12
	s_cmp_lg_u32 s26, 0
	s_wait_kmcnt 0x0
	v_mul_hi_u32 v4, s45, v1
	s_delay_alu instid0(VALU_DEP_1) | instskip(NEXT) | instid1(VALU_DEP_1)
	v_add_nc_u32_e32 v4, v1, v4
	v_lshrrev_b32_e32 v4, s46, v4
	s_load_b64 s[46:47], s[0:1], 0x0
	s_wait_xcnt 0x0
	s_add_nc_u64 s[0:1], s[0:1], 8
	s_delay_alu instid0(VALU_DEP_1) | instskip(NEXT) | instid1(VALU_DEP_1)
	v_mul_lo_u32 v5, v4, s44
	v_sub_nc_u32_e32 v1, v1, v5
	s_wait_kmcnt 0x0
	s_delay_alu instid0(VALU_DEP_1)
	v_mad_u32 v3, v1, s47, v3
	v_mad_u32 v2, v1, s46, v2
	v_mov_b32_e32 v1, v4
	s_cbranch_scc1 .LBB15_287
; %bb.288:
	s_delay_alu instid0(VALU_DEP_3)
	v_mov_b32_e32 v4, v3
.LBB15_289:
	s_cbranch_execnz .LBB15_292
.LBB15_290:
	s_wait_loadcnt 0x0
	v_mov_b32_e32 v1, 0
	s_and_not1_b32 vcc_lo, exec_lo, s35
	s_delay_alu instid0(VALU_DEP_1) | instskip(NEXT) | instid1(VALU_DEP_1)
	v_mul_u64_e32 v[2:3], s[16:17], v[0:1]
	v_add_nc_u32_e32 v2, v0, v3
	s_delay_alu instid0(VALU_DEP_1) | instskip(NEXT) | instid1(VALU_DEP_1)
	v_lshrrev_b32_e32 v6, s14, v2
	v_mul_lo_u32 v2, v6, s12
	s_delay_alu instid0(VALU_DEP_1) | instskip(NEXT) | instid1(VALU_DEP_1)
	v_sub_nc_u32_e32 v2, v0, v2
	v_mul_lo_u32 v4, v2, s9
	v_mul_lo_u32 v2, v2, s8
	s_cbranch_vccnz .LBB15_292
; %bb.291:
	v_mov_b32_e32 v7, v1
	s_delay_alu instid0(VALU_DEP_1) | instskip(NEXT) | instid1(VALU_DEP_1)
	v_mul_u64_e32 v[8:9], s[20:21], v[6:7]
	v_add_nc_u32_e32 v1, v6, v9
	s_delay_alu instid0(VALU_DEP_1) | instskip(NEXT) | instid1(VALU_DEP_1)
	v_lshrrev_b32_e32 v1, s19, v1
	v_mul_lo_u32 v1, v1, s15
	s_delay_alu instid0(VALU_DEP_1) | instskip(NEXT) | instid1(VALU_DEP_1)
	v_sub_nc_u32_e32 v1, v6, v1
	v_mad_u32 v2, v1, s10, v2
	v_mad_u32 v4, v1, s11, v4
.LBB15_292:
	v_mov_b32_e32 v5, 0
	s_and_b32 s0, 0xffff, s13
	s_delay_alu instid0(SALU_CYCLE_1) | instskip(NEXT) | instid1(VALU_DEP_1)
	s_cmp_lt_i32 s0, 11
	v_add_nc_u64_e32 v[4:5], s[6:7], v[4:5]
	s_cbranch_scc1 .LBB15_299
; %bb.293:
	s_cmp_gt_i32 s0, 25
	s_cbranch_scc0 .LBB15_352
; %bb.294:
	s_cmp_gt_i32 s0, 28
	s_cbranch_scc0 .LBB15_353
	;; [unrolled: 3-line block ×4, first 2 shown]
; %bb.297:
	s_cmp_eq_u32 s0, 46
	s_mov_b32 s25, 0
	s_cbranch_scc0 .LBB15_363
; %bb.298:
	s_wait_loadcnt 0x0
	global_load_b32 v1, v[4:5], off
	s_mov_b32 s1, -1
	s_mov_b32 s24, 0
	s_wait_loadcnt 0x0
	v_lshlrev_b32_e32 v1, 16, v1
	s_branch .LBB15_365
.LBB15_299:
	s_mov_b32 s1, 0
	s_mov_b32 s24, s39
                                        ; implicit-def: $vgpr1
	s_cbranch_execnz .LBB15_502
.LBB15_300:
	s_and_not1_b32 vcc_lo, exec_lo, s1
	s_cbranch_vccnz .LBB15_550
.LBB15_301:
	s_wait_loadcnt 0x0
	s_delay_alu instid0(VALU_DEP_1)
	v_and_b32_e32 v3, 0x7fffffff, v1
                                        ; implicit-def: $vgpr5
                                        ; implicit-def: $vgpr4
	s_mov_b32 s1, exec_lo
	s_wait_xcnt 0x0
	v_cmpx_ngt_f32_e64 0x48000000, |v1|
	s_xor_b32 s25, exec_lo, s1
	s_cbranch_execz .LBB15_303
; %bb.302:
	s_mov_b32 s0, 0x7fffff
	v_mov_b32_e32 v5, 0
	v_and_or_b32 v4, v3, s0, 0x800000
	s_mov_b64 s[0:1], 0xfe5163ab
	s_delay_alu instid0(VALU_DEP_1) | instid1(SALU_CYCLE_1)
	v_mul_u64_e32 v[6:7], s[0:1], v[4:5]
	s_delay_alu instid0(VALU_DEP_1) | instskip(SKIP_2) | instid1(VALU_DEP_3)
	v_dual_mov_b32 v8, v7 :: v_dual_mov_b32 v9, v5
	v_dual_mov_b32 v11, v5 :: v_dual_mov_b32 v13, v5
	v_dual_mov_b32 v15, v5 :: v_dual_lshrrev_b32 v7, 23, v3
	v_mad_nc_u64_u32 v[8:9], 0x3c439041, v4, v[8:9]
	s_delay_alu instid0(VALU_DEP_1) | instskip(NEXT) | instid1(VALU_DEP_1)
	v_mov_b32_e32 v10, v9
	v_mad_nc_u64_u32 v[10:11], 0xdb629599, v4, v[10:11]
	s_delay_alu instid0(VALU_DEP_1) | instskip(NEXT) | instid1(VALU_DEP_1)
	v_mov_b32_e32 v12, v11
	;; [unrolled: 3-line block ×3, first 2 shown]
	v_mad_nc_u64_u32 v[14:15], 0xfc2757d1, v4, v[14:15]
	s_delay_alu instid0(VALU_DEP_1) | instskip(NEXT) | instid1(VALU_DEP_1)
	v_dual_mov_b32 v17, v5 :: v_dual_mov_b32 v16, v15
	v_mad_nc_u64_u32 v[16:17], 0x4e441529, v4, v[16:17]
	s_delay_alu instid0(VALU_DEP_1) | instskip(NEXT) | instid1(VALU_DEP_1)
	v_dual_mov_b32 v18, v17 :: v_dual_add_nc_u32 v7, 0xffffff88, v7
	v_cmp_lt_u32_e32 vcc_lo, 63, v7
	v_mov_b32_e32 v19, v5
	v_cndmask_b32_e64 v9, 0, 0xffffffc0, vcc_lo
	s_delay_alu instid0(VALU_DEP_2) | instskip(SKIP_1) | instid1(VALU_DEP_3)
	v_mad_nc_u64_u32 v[4:5], 0xa2f9836e, v4, v[18:19]
	v_dual_cndmask_b32 v11, v16, v12, vcc_lo :: v_dual_cndmask_b32 v13, v14, v10, vcc_lo
	v_dual_cndmask_b32 v8, v12, v8 :: v_dual_add_nc_u32 v7, v9, v7
	v_cndmask_b32_e32 v6, v10, v6, vcc_lo
	s_delay_alu instid0(VALU_DEP_2) | instskip(SKIP_1) | instid1(VALU_DEP_2)
	v_cmp_lt_u32_e64 s0, 31, v7
	v_dual_cndmask_b32 v4, v4, v14 :: v_dual_cndmask_b32 v5, v5, v16
	v_cndmask_b32_e64 v9, 0, 0xffffffe0, s0
	s_delay_alu instid0(VALU_DEP_4) | instskip(NEXT) | instid1(VALU_DEP_2)
	v_dual_cndmask_b32 v12, v13, v8, s0 :: v_dual_cndmask_b32 v6, v8, v6, s0
	v_add_nc_u32_e32 v7, v9, v7
	s_delay_alu instid0(VALU_DEP_1) | instskip(NEXT) | instid1(VALU_DEP_1)
	v_cmp_lt_u32_e64 s1, 31, v7
	v_cndmask_b32_e64 v9, 0, 0xffffffe0, s1
	s_delay_alu instid0(VALU_DEP_1) | instskip(SKIP_1) | instid1(VALU_DEP_2)
	v_dual_cndmask_b32 v6, v12, v6, s1 :: v_dual_add_nc_u32 v7, v9, v7
	v_dual_cndmask_b32 v9, v4, v11, s0 :: v_dual_cndmask_b32 v4, v5, v4, s0
	v_dual_cndmask_b32 v5, v11, v13, s0 :: v_dual_sub_nc_u32 v11, 32, v7
	v_cmp_eq_u32_e32 vcc_lo, 0, v7
	s_delay_alu instid0(VALU_DEP_3) | instskip(NEXT) | instid1(VALU_DEP_3)
	v_cndmask_b32_e64 v4, v4, v9, s1
	v_cndmask_b32_e64 v9, v9, v5, s1
	;; [unrolled: 1-line block ×3, first 2 shown]
	s_delay_alu instid0(VALU_DEP_2) | instskip(NEXT) | instid1(VALU_DEP_2)
	v_alignbit_b32 v13, v4, v9, v11
	v_alignbit_b32 v10, v9, v5, v11
	;; [unrolled: 1-line block ×3, first 2 shown]
	s_delay_alu instid0(VALU_DEP_2) | instskip(NEXT) | instid1(VALU_DEP_2)
	v_dual_cndmask_b32 v4, v13, v4 :: v_dual_cndmask_b32 v7, v10, v9
	v_cndmask_b32_e32 v5, v11, v5, vcc_lo
	s_delay_alu instid0(VALU_DEP_2) | instskip(NEXT) | instid1(VALU_DEP_3)
	v_bfe_u32 v8, v4, 29, 1
	v_alignbit_b32 v9, v4, v7, 30
	s_delay_alu instid0(VALU_DEP_3) | instskip(SKIP_1) | instid1(VALU_DEP_4)
	v_alignbit_b32 v7, v7, v5, 30
	v_alignbit_b32 v5, v5, v6, 30
	v_sub_nc_u32_e32 v10, 0, v8
	s_delay_alu instid0(VALU_DEP_1) | instskip(NEXT) | instid1(VALU_DEP_4)
	v_xor_b32_e32 v9, v9, v10
	v_xor_b32_e32 v6, v7, v10
	s_delay_alu instid0(VALU_DEP_4) | instskip(NEXT) | instid1(VALU_DEP_3)
	v_dual_lshrrev_b32 v10, 29, v4 :: v_dual_bitop2_b32 v5, v5, v10 bitop3:0x14
	v_clz_i32_u32_e32 v11, v9
	s_delay_alu instid0(VALU_DEP_1) | instskip(NEXT) | instid1(VALU_DEP_1)
	v_min_u32_e32 v11, 32, v11
	v_dual_sub_nc_u32 v7, 31, v11 :: v_dual_lshlrev_b32 v12, 23, v11
	s_delay_alu instid0(VALU_DEP_1) | instskip(SKIP_2) | instid1(VALU_DEP_2)
	v_alignbit_b32 v9, v9, v6, v7
	v_alignbit_b32 v5, v6, v5, v7
	v_lshlrev_b32_e32 v6, 31, v10
	v_alignbit_b32 v7, v9, v5, 9
	s_delay_alu instid0(VALU_DEP_2) | instskip(SKIP_1) | instid1(VALU_DEP_3)
	v_dual_lshrrev_b32 v9, 9, v9 :: v_dual_bitop2_b32 v10, 0.5, v6 bitop3:0x54
	v_or_b32_e32 v6, 0x33000000, v6
	v_clz_i32_u32_e32 v13, v7
	s_delay_alu instid0(VALU_DEP_3) | instskip(NEXT) | instid1(VALU_DEP_2)
	v_sub_nc_u32_e32 v10, v10, v12
	v_min_u32_e32 v12, 32, v13
	s_delay_alu instid0(VALU_DEP_1) | instskip(NEXT) | instid1(VALU_DEP_3)
	v_add_lshl_u32 v11, v12, v11, 23
	v_or_b32_e32 v9, v9, v10
	v_not_b32_e32 v10, v12
	s_delay_alu instid0(VALU_DEP_2) | instskip(NEXT) | instid1(VALU_DEP_2)
	v_dual_mul_f32 v13, 0x3fc90fda, v9 :: v_dual_sub_nc_u32 v6, v6, v11
	v_alignbit_b32 v5, v7, v5, v10
	s_delay_alu instid0(VALU_DEP_2) | instskip(NEXT) | instid1(VALU_DEP_2)
	v_fma_f32 v7, 0x3fc90fda, v9, -v13
	v_lshrrev_b32_e32 v5, 9, v5
	s_delay_alu instid0(VALU_DEP_2) | instskip(NEXT) | instid1(VALU_DEP_2)
	v_fmamk_f32 v7, v9, 0x33a22168, v7
	v_or_b32_e32 v5, v6, v5
	s_delay_alu instid0(VALU_DEP_1) | instskip(NEXT) | instid1(VALU_DEP_1)
	v_fmac_f32_e32 v7, 0x3fc90fda, v5
	v_dual_add_f32 v4, v13, v7 :: v_dual_lshrrev_b32 v5, 30, v4
	s_delay_alu instid0(VALU_DEP_1)
	v_add_nc_u32_e32 v5, v8, v5
.LBB15_303:
	s_and_not1_saveexec_b32 s0, s25
; %bb.304:
	v_mul_f32_e64 v4, 0x3f22f983, |v1|
	s_delay_alu instid0(VALU_DEP_1) | instskip(NEXT) | instid1(VALU_DEP_1)
	v_rndne_f32_e32 v5, v4
	v_fma_f32 v4, 0xbfc90fda, v5, |v1|
	s_delay_alu instid0(VALU_DEP_1) | instskip(NEXT) | instid1(VALU_DEP_1)
	v_fmamk_f32 v4, v5, 0xb3a22168, v4
	v_fmamk_f32 v4, v5, 0xa7c234c4, v4
	v_cvt_i32_f32_e32 v5, v5
; %bb.305:
	s_or_b32 exec_lo, exec_lo, s0
	s_delay_alu instid0(VALU_DEP_1) | instskip(SKIP_3) | instid1(VALU_DEP_1)
	v_dual_mul_f32 v6, v4, v4 :: v_dual_bitop2_b32 v9, 1, v5 bitop3:0x40
	s_mov_b32 s0, 0xb94c1982
	s_mov_b32 s1, 0x37d75334
	s_mov_b32 s26, 0
	v_fmaak_f32 v7, s0, v6, 0x3c0881c4
	v_cmp_eq_u32_e32 vcc_lo, 0, v9
	s_mov_b32 s25, -1
	s_mov_b32 s0, s18
	v_lshlrev_b32_e32 v5, 30, v5
	v_fmaak_f32 v7, v6, v7, 0xbe2aaa9d
	v_fmaak_f32 v8, s1, v6, 0xbab64f3b
	s_and_b32 s1, s34, 0xff
	s_delay_alu instid0(SALU_CYCLE_1) | instskip(NEXT) | instid1(VALU_DEP_1)
	s_cmp_lt_i32 s1, 11
	v_dual_mul_f32 v7, v6, v7 :: v_dual_fmaak_f32 v8, v6, v8, 0x3d2aabf7
	v_and_b32_e32 v5, 0x80000000, v5
	s_delay_alu instid0(VALU_DEP_2) | instskip(NEXT) | instid1(VALU_DEP_3)
	v_dual_fmac_f32 v4, v4, v7 :: v_dual_bitop2_b32 v7, v3, v1 bitop3:0x14
	v_dual_fmaak_f32 v8, v6, v8, 0xbf000004 :: v_dual_mov_b32 v3, 0
	s_delay_alu instid0(VALU_DEP_1) | instskip(NEXT) | instid1(VALU_DEP_2)
	v_fma_f32 v6, v6, v8, 1.0
	v_add_nc_u64_e32 v[2:3], s[4:5], v[2:3]
	s_delay_alu instid0(VALU_DEP_2) | instskip(SKIP_1) | instid1(VALU_DEP_2)
	v_cndmask_b32_e32 v4, v6, v4, vcc_lo
	v_cmp_class_f32_e64 vcc_lo, v1, 0x1f8
	v_xor3_b32 v4, v7, v5, v4
	s_delay_alu instid0(VALU_DEP_1)
	v_cndmask_b32_e32 v4, 0x7fc00000, v4, vcc_lo
	s_cbranch_scc1 .LBB15_312
; %bb.306:
	s_and_b32 s25, 0xffff, s1
	s_delay_alu instid0(SALU_CYCLE_1)
	s_cmp_gt_i32 s25, 25
	s_cbranch_scc0 .LBB15_354
; %bb.307:
	s_cmp_gt_i32 s25, 28
	s_cbranch_scc0 .LBB15_356
; %bb.308:
	;; [unrolled: 3-line block ×4, first 2 shown]
	s_mov_b32 s27, 0
	s_mov_b32 s0, -1
	s_cmp_eq_u32 s25, 46
	s_cbranch_scc0 .LBB15_369
; %bb.311:
	v_bfe_u32 v1, v4, 16, 1
	v_cmp_o_f32_e32 vcc_lo, v4, v4
	s_mov_b32 s26, -1
	s_mov_b32 s0, 0
	s_delay_alu instid0(VALU_DEP_2) | instskip(NEXT) | instid1(VALU_DEP_1)
	v_add3_u32 v1, v4, v1, 0x7fff
	v_lshrrev_b32_e32 v1, 16, v1
	s_delay_alu instid0(VALU_DEP_1)
	v_cndmask_b32_e32 v1, 0x7fc0, v1, vcc_lo
	global_store_b32 v[2:3], v1, off
	s_branch .LBB15_369
.LBB15_312:
	s_and_b32 vcc_lo, exec_lo, s25
	s_cbranch_vccz .LBB15_438
; %bb.313:
	s_and_b32 s1, 0xffff, s1
	s_mov_b32 s25, -1
	s_cmp_lt_i32 s1, 5
	s_cbranch_scc1 .LBB15_334
; %bb.314:
	s_cmp_lt_i32 s1, 8
	s_cbranch_scc1 .LBB15_324
; %bb.315:
	;; [unrolled: 3-line block ×3, first 2 shown]
	s_cmp_gt_i32 s1, 9
	s_cbranch_scc0 .LBB15_318
; %bb.317:
	s_wait_xcnt 0x0
	v_cvt_f64_f32_e32 v[6:7], v4
	v_mov_b32_e32 v8, 0
	s_mov_b32 s25, 0
	s_delay_alu instid0(VALU_DEP_1)
	v_mov_b32_e32 v9, v8
	global_store_b128 v[2:3], v[6:9], off
.LBB15_318:
	s_and_not1_b32 vcc_lo, exec_lo, s25
	s_cbranch_vccnz .LBB15_320
; %bb.319:
	s_wait_xcnt 0x0
	v_mov_b32_e32 v5, 0
	global_store_b64 v[2:3], v[4:5], off
.LBB15_320:
	s_mov_b32 s25, 0
.LBB15_321:
	s_delay_alu instid0(SALU_CYCLE_1)
	s_and_not1_b32 vcc_lo, exec_lo, s25
	s_cbranch_vccnz .LBB15_323
; %bb.322:
	s_wait_xcnt 0x0
	v_cvt_f16_f32_e32 v1, v4
	s_delay_alu instid0(VALU_DEP_1)
	v_and_b32_e32 v1, 0xffff, v1
	global_store_b32 v[2:3], v1, off
.LBB15_323:
	s_mov_b32 s25, 0
.LBB15_324:
	s_delay_alu instid0(SALU_CYCLE_1)
	s_and_not1_b32 vcc_lo, exec_lo, s25
	s_cbranch_vccnz .LBB15_333
; %bb.325:
	s_cmp_lt_i32 s1, 6
	s_mov_b32 s25, -1
	s_cbranch_scc1 .LBB15_331
; %bb.326:
	s_cmp_gt_i32 s1, 6
	s_cbranch_scc0 .LBB15_328
; %bb.327:
	s_wait_xcnt 0x0
	v_cvt_f64_f32_e32 v[6:7], v4
	s_mov_b32 s25, 0
	global_store_b64 v[2:3], v[6:7], off
.LBB15_328:
	s_and_not1_b32 vcc_lo, exec_lo, s25
	s_cbranch_vccnz .LBB15_330
; %bb.329:
	global_store_b32 v[2:3], v4, off
.LBB15_330:
	s_mov_b32 s25, 0
.LBB15_331:
	s_delay_alu instid0(SALU_CYCLE_1)
	s_and_not1_b32 vcc_lo, exec_lo, s25
	s_cbranch_vccnz .LBB15_333
; %bb.332:
	s_wait_xcnt 0x0
	v_cvt_f16_f32_e32 v1, v4
	global_store_b16 v[2:3], v1, off
.LBB15_333:
	s_mov_b32 s25, 0
.LBB15_334:
	s_delay_alu instid0(SALU_CYCLE_1)
	s_and_not1_b32 vcc_lo, exec_lo, s25
	s_cbranch_vccnz .LBB15_350
; %bb.335:
	s_cmp_lt_i32 s1, 2
	s_mov_b32 s25, -1
	s_cbranch_scc1 .LBB15_345
; %bb.336:
	s_cmp_lt_i32 s1, 3
	s_cbranch_scc1 .LBB15_342
; %bb.337:
	s_cmp_gt_i32 s1, 3
	s_cbranch_scc0 .LBB15_339
; %bb.338:
	s_wait_xcnt 0x0
	v_trunc_f32_e32 v1, v4
	s_mov_b32 s25, 0
	s_delay_alu instid0(VALU_DEP_1) | instskip(SKIP_1) | instid1(VALU_DEP_2)
	v_mul_f32_e64 v5, 0x2f800000, |v1|
	v_ashrrev_i32_e32 v6, 31, v1
	v_floor_f32_e32 v5, v5
	s_delay_alu instid0(VALU_DEP_1) | instskip(SKIP_1) | instid1(VALU_DEP_2)
	v_fma_f32 v7, 0xcf800000, v5, |v1|
	v_cvt_u32_f32_e32 v1, v5
	v_cvt_u32_f32_e32 v5, v7
	s_delay_alu instid0(VALU_DEP_2) | instskip(NEXT) | instid1(VALU_DEP_2)
	v_dual_mov_b32 v7, v6 :: v_dual_bitop2_b32 v9, v1, v6 bitop3:0x14
	v_xor_b32_e32 v8, v5, v6
	s_delay_alu instid0(VALU_DEP_1)
	v_sub_nc_u64_e32 v[6:7], v[8:9], v[6:7]
	global_store_b64 v[2:3], v[6:7], off
.LBB15_339:
	s_and_not1_b32 vcc_lo, exec_lo, s25
	s_cbranch_vccnz .LBB15_341
; %bb.340:
	s_wait_xcnt 0x0
	v_cvt_i32_f32_e32 v1, v4
	global_store_b32 v[2:3], v1, off
.LBB15_341:
	s_mov_b32 s25, 0
.LBB15_342:
	s_delay_alu instid0(SALU_CYCLE_1)
	s_and_not1_b32 vcc_lo, exec_lo, s25
	s_cbranch_vccnz .LBB15_344
; %bb.343:
	s_wait_xcnt 0x0
	v_cvt_i32_f32_e32 v1, v4
	global_store_b16 v[2:3], v1, off
.LBB15_344:
	s_mov_b32 s25, 0
.LBB15_345:
	s_delay_alu instid0(SALU_CYCLE_1)
	s_and_not1_b32 vcc_lo, exec_lo, s25
	s_cbranch_vccnz .LBB15_350
; %bb.346:
	s_cmp_gt_i32 s1, 0
	s_mov_b32 s1, -1
	s_cbranch_scc0 .LBB15_348
; %bb.347:
	s_wait_xcnt 0x0
	v_cvt_i32_f32_e32 v1, v4
	s_mov_b32 s1, 0
	global_store_b8 v[2:3], v1, off
.LBB15_348:
	s_and_not1_b32 vcc_lo, exec_lo, s1
	s_cbranch_vccnz .LBB15_350
; %bb.349:
	s_wait_xcnt 0x0
	v_trunc_f32_e32 v1, v4
	s_delay_alu instid0(VALU_DEP_1) | instskip(NEXT) | instid1(VALU_DEP_1)
	v_mul_f32_e64 v4, 0x2f800000, |v1|
	v_floor_f32_e32 v4, v4
	s_delay_alu instid0(VALU_DEP_1) | instskip(SKIP_1) | instid1(VALU_DEP_2)
	v_fma_f32 v4, 0xcf800000, v4, |v1|
	v_ashrrev_i32_e32 v1, 31, v1
	v_cvt_u32_f32_e32 v4, v4
	s_delay_alu instid0(VALU_DEP_1) | instskip(NEXT) | instid1(VALU_DEP_1)
	v_xor_b32_e32 v4, v4, v1
	v_sub_nc_u32_e32 v1, v4, v1
	global_store_b8 v[2:3], v1, off
.LBB15_350:
	s_branch .LBB15_439
.LBB15_351:
	s_mov_b32 s1, 0
	s_branch .LBB15_551
.LBB15_352:
	s_mov_b32 s25, -1
	s_mov_b32 s1, 0
	s_mov_b32 s24, s39
                                        ; implicit-def: $vgpr1
	s_branch .LBB15_466
.LBB15_353:
	s_mov_b32 s25, -1
	s_mov_b32 s1, 0
	s_mov_b32 s24, s39
                                        ; implicit-def: $vgpr1
	s_branch .LBB15_447
.LBB15_354:
	s_mov_b32 s27, -1
	s_mov_b32 s0, s18
	s_branch .LBB15_396
.LBB15_355:
	s_mov_b32 s25, -1
	s_mov_b32 s1, 0
	s_mov_b32 s24, s39
                                        ; implicit-def: $vgpr1
	s_branch .LBB15_442
.LBB15_356:
	s_mov_b32 s27, -1
	s_mov_b32 s0, s18
	s_branch .LBB15_379
.LBB15_357:
	s_and_not1_saveexec_b32 s27, s27
	s_cbranch_execz .LBB15_110
.LBB15_358:
	v_add_f32_e64 v1, 0x46000000, |v4|
	s_and_not1_b32 s26, s26, exec_lo
	s_delay_alu instid0(VALU_DEP_1) | instskip(NEXT) | instid1(VALU_DEP_1)
	v_and_b32_e32 v1, 0xff, v1
	v_cmp_ne_u32_e32 vcc_lo, 0, v1
	s_and_b32 s39, vcc_lo, exec_lo
	s_delay_alu instid0(SALU_CYCLE_1)
	s_or_b32 s26, s26, s39
	s_or_b32 exec_lo, exec_lo, s27
	v_mov_b32_e32 v5, 0
	s_and_saveexec_b32 s27, s26
	s_cbranch_execnz .LBB15_111
	s_branch .LBB15_112
.LBB15_359:
	s_mov_b32 s25, -1
	s_mov_b32 s1, 0
	s_mov_b32 s24, s39
	s_branch .LBB15_364
.LBB15_360:
	s_mov_b32 s27, -1
	s_mov_b32 s0, s18
	s_branch .LBB15_375
.LBB15_361:
	s_and_not1_saveexec_b32 s27, s27
	s_cbranch_execz .LBB15_123
.LBB15_362:
	v_add_f32_e64 v1, 0x42800000, |v4|
	s_and_not1_b32 s26, s26, exec_lo
	s_delay_alu instid0(VALU_DEP_1) | instskip(NEXT) | instid1(VALU_DEP_1)
	v_and_b32_e32 v1, 0xff, v1
	v_cmp_ne_u32_e32 vcc_lo, 0, v1
	s_and_b32 s39, vcc_lo, exec_lo
	s_delay_alu instid0(SALU_CYCLE_1)
	s_or_b32 s26, s26, s39
	s_or_b32 exec_lo, exec_lo, s27
	v_mov_b32_e32 v5, 0
	s_and_saveexec_b32 s27, s26
	s_cbranch_execnz .LBB15_124
	s_branch .LBB15_125
.LBB15_363:
	s_mov_b32 s24, -1
	s_mov_b32 s1, 0
.LBB15_364:
                                        ; implicit-def: $vgpr1
.LBB15_365:
	s_and_b32 vcc_lo, exec_lo, s25
	s_cbranch_vccz .LBB15_441
; %bb.366:
	s_cmp_eq_u32 s0, 44
	s_cbranch_scc0 .LBB15_440
; %bb.367:
	s_wait_loadcnt 0x0
	global_load_u8 v1, v[4:5], off
	s_mov_b32 s24, 0
	s_mov_b32 s1, -1
	s_wait_loadcnt 0x0
	v_lshlrev_b32_e32 v3, 23, v1
	v_cmp_ne_u32_e32 vcc_lo, 0xff, v1
	s_delay_alu instid0(VALU_DEP_2) | instskip(SKIP_1) | instid1(VALU_DEP_2)
	v_cndmask_b32_e32 v3, 0x7f800001, v3, vcc_lo
	v_cmp_ne_u32_e32 vcc_lo, 0, v1
	v_cndmask_b32_e32 v1, 0x400000, v3, vcc_lo
	s_branch .LBB15_441
.LBB15_368:
	s_mov_b32 s27, -1
	s_mov_b32 s0, s18
.LBB15_369:
	s_and_b32 vcc_lo, exec_lo, s27
	s_cbranch_vccz .LBB15_374
; %bb.370:
	s_cmp_eq_u32 s25, 44
	s_mov_b32 s0, -1
	s_cbranch_scc0 .LBB15_374
; %bb.371:
	v_bfe_u32 v5, v4, 23, 8
	s_wait_xcnt 0x0
	v_mov_b32_e32 v1, 0xff
	s_mov_b32 s26, exec_lo
	s_delay_alu instid0(VALU_DEP_2)
	v_cmpx_ne_u32_e32 0xff, v5
	s_cbranch_execz .LBB15_373
; %bb.372:
	v_and_b32_e32 v1, 0x400000, v4
	v_and_or_b32 v5, 0x3fffff, v4, v5
	s_delay_alu instid0(VALU_DEP_2) | instskip(NEXT) | instid1(VALU_DEP_2)
	v_cmp_ne_u32_e32 vcc_lo, 0, v1
	v_cmp_ne_u32_e64 s0, 0, v5
	v_lshrrev_b32_e32 v1, 23, v4
	s_and_b32 s0, vcc_lo, s0
	s_delay_alu instid0(SALU_CYCLE_1) | instskip(NEXT) | instid1(VALU_DEP_1)
	v_cndmask_b32_e64 v5, 0, 1, s0
	v_add_nc_u32_e32 v1, v1, v5
.LBB15_373:
	s_or_b32 exec_lo, exec_lo, s26
	s_mov_b32 s26, -1
	s_mov_b32 s0, 0
	global_store_b8 v[2:3], v1, off
.LBB15_374:
	s_mov_b32 s27, 0
.LBB15_375:
	s_delay_alu instid0(SALU_CYCLE_1)
	s_and_b32 vcc_lo, exec_lo, s27
	s_cbranch_vccz .LBB15_378
; %bb.376:
	s_cmp_eq_u32 s25, 29
	s_mov_b32 s0, -1
	s_cbranch_scc0 .LBB15_378
; %bb.377:
	s_wait_xcnt 0x0
	v_trunc_f32_e32 v1, v4
	s_mov_b32 s26, -1
	s_mov_b32 s0, 0
	s_mov_b32 s27, 0
	s_delay_alu instid0(VALU_DEP_1) | instskip(NEXT) | instid1(VALU_DEP_1)
	v_mul_f32_e32 v5, 0x2f800000, v1
	v_floor_f32_e32 v5, v5
	s_delay_alu instid0(VALU_DEP_1) | instskip(SKIP_1) | instid1(VALU_DEP_2)
	v_fmamk_f32 v1, v5, 0xcf800000, v1
	v_cvt_u32_f32_e32 v7, v5
	v_cvt_u32_f32_e32 v6, v1
	global_store_b64 v[2:3], v[6:7], off
	s_branch .LBB15_379
.LBB15_378:
	s_mov_b32 s27, 0
.LBB15_379:
	s_delay_alu instid0(SALU_CYCLE_1)
	s_and_b32 vcc_lo, exec_lo, s27
	s_cbranch_vccz .LBB15_395
; %bb.380:
	s_cmp_lt_i32 s25, 27
	s_mov_b32 s26, -1
	s_cbranch_scc1 .LBB15_386
; %bb.381:
	s_wait_xcnt 0x0
	v_cvt_u32_f32_e32 v1, v4
	s_cmp_gt_i32 s25, 27
	s_cbranch_scc0 .LBB15_383
; %bb.382:
	s_mov_b32 s26, 0
	global_store_b32 v[2:3], v1, off
.LBB15_383:
	s_and_not1_b32 vcc_lo, exec_lo, s26
	s_cbranch_vccnz .LBB15_385
; %bb.384:
	global_store_b16 v[2:3], v1, off
.LBB15_385:
	s_mov_b32 s26, 0
.LBB15_386:
	s_delay_alu instid0(SALU_CYCLE_1)
	s_and_not1_b32 vcc_lo, exec_lo, s26
	s_cbranch_vccnz .LBB15_394
; %bb.387:
	s_wait_xcnt 0x0
	v_and_b32_e32 v1, 0x7fffffff, v4
	v_mov_b32_e32 v5, 0x80
	s_mov_b32 s26, exec_lo
	s_delay_alu instid0(VALU_DEP_2)
	v_cmpx_gt_u32_e32 0x43800000, v1
	s_cbranch_execz .LBB15_393
; %bb.388:
	v_cmp_lt_u32_e32 vcc_lo, 0x3bffffff, v1
	s_mov_b32 s27, 0
                                        ; implicit-def: $vgpr1
	s_and_saveexec_b32 s41, vcc_lo
	s_delay_alu instid0(SALU_CYCLE_1)
	s_xor_b32 s41, exec_lo, s41
	s_cbranch_execz .LBB15_583
; %bb.389:
	v_bfe_u32 v1, v4, 20, 1
	s_mov_b32 s27, exec_lo
	s_delay_alu instid0(VALU_DEP_1) | instskip(NEXT) | instid1(VALU_DEP_1)
	v_add3_u32 v1, v4, v1, 0x487ffff
	v_lshrrev_b32_e32 v1, 20, v1
	s_and_not1_saveexec_b32 s41, s41
	s_cbranch_execnz .LBB15_584
.LBB15_390:
	s_or_b32 exec_lo, exec_lo, s41
	v_mov_b32_e32 v5, 0
	s_and_saveexec_b32 s41, s27
.LBB15_391:
	v_lshrrev_b32_e32 v5, 24, v4
	s_delay_alu instid0(VALU_DEP_1)
	v_and_or_b32 v5, 0x80, v5, v1
.LBB15_392:
	s_or_b32 exec_lo, exec_lo, s41
.LBB15_393:
	s_delay_alu instid0(SALU_CYCLE_1)
	s_or_b32 exec_lo, exec_lo, s26
	global_store_b8 v[2:3], v5, off
.LBB15_394:
	s_mov_b32 s26, -1
.LBB15_395:
	s_mov_b32 s27, 0
.LBB15_396:
	s_delay_alu instid0(SALU_CYCLE_1)
	s_and_b32 vcc_lo, exec_lo, s27
	s_cbranch_vccz .LBB15_437
; %bb.397:
	s_cmp_gt_i32 s25, 22
	s_mov_b32 s27, -1
	s_cbranch_scc0 .LBB15_429
; %bb.398:
	s_cmp_lt_i32 s25, 24
	s_mov_b32 s26, -1
	s_cbranch_scc1 .LBB15_418
; %bb.399:
	s_cmp_gt_i32 s25, 24
	s_cbranch_scc0 .LBB15_407
; %bb.400:
	s_wait_xcnt 0x0
	v_and_b32_e32 v1, 0x7fffffff, v4
	v_mov_b32_e32 v5, 0x80
	s_mov_b32 s26, exec_lo
	s_delay_alu instid0(VALU_DEP_2)
	v_cmpx_gt_u32_e32 0x47800000, v1
	s_cbranch_execz .LBB15_406
; %bb.401:
	v_cmp_lt_u32_e32 vcc_lo, 0x37ffffff, v1
	s_mov_b32 s27, 0
                                        ; implicit-def: $vgpr1
	s_and_saveexec_b32 s41, vcc_lo
	s_delay_alu instid0(SALU_CYCLE_1)
	s_xor_b32 s41, exec_lo, s41
	s_cbranch_execz .LBB15_586
; %bb.402:
	v_bfe_u32 v1, v4, 21, 1
	s_mov_b32 s27, exec_lo
	s_delay_alu instid0(VALU_DEP_1) | instskip(NEXT) | instid1(VALU_DEP_1)
	v_add3_u32 v1, v4, v1, 0x88fffff
	v_lshrrev_b32_e32 v1, 21, v1
	s_and_not1_saveexec_b32 s41, s41
	s_cbranch_execnz .LBB15_587
.LBB15_403:
	s_or_b32 exec_lo, exec_lo, s41
	v_mov_b32_e32 v5, 0
	s_and_saveexec_b32 s41, s27
.LBB15_404:
	v_lshrrev_b32_e32 v5, 24, v4
	s_delay_alu instid0(VALU_DEP_1)
	v_and_or_b32 v5, 0x80, v5, v1
.LBB15_405:
	s_or_b32 exec_lo, exec_lo, s41
.LBB15_406:
	s_delay_alu instid0(SALU_CYCLE_1)
	s_or_b32 exec_lo, exec_lo, s26
	s_mov_b32 s26, 0
	global_store_b8 v[2:3], v5, off
.LBB15_407:
	s_and_b32 vcc_lo, exec_lo, s26
	s_cbranch_vccz .LBB15_417
; %bb.408:
	s_wait_xcnt 0x0
	v_and_b32_e32 v5, 0x7fffffff, v4
	s_mov_b32 s26, exec_lo
                                        ; implicit-def: $vgpr1
	s_delay_alu instid0(VALU_DEP_1)
	v_cmpx_gt_u32_e32 0x43f00000, v5
	s_xor_b32 s26, exec_lo, s26
	s_cbranch_execz .LBB15_414
; %bb.409:
	s_mov_b32 s27, exec_lo
                                        ; implicit-def: $vgpr1
	v_cmpx_lt_u32_e32 0x3c7fffff, v5
	s_xor_b32 s27, exec_lo, s27
; %bb.410:
	v_bfe_u32 v1, v4, 20, 1
	s_delay_alu instid0(VALU_DEP_1) | instskip(NEXT) | instid1(VALU_DEP_1)
	v_add3_u32 v1, v4, v1, 0x407ffff
	v_and_b32_e32 v5, 0xff00000, v1
	v_lshrrev_b32_e32 v1, 20, v1
	s_delay_alu instid0(VALU_DEP_2) | instskip(NEXT) | instid1(VALU_DEP_2)
	v_cmp_ne_u32_e32 vcc_lo, 0x7f00000, v5
	v_cndmask_b32_e32 v1, 0x7e, v1, vcc_lo
; %bb.411:
	s_and_not1_saveexec_b32 s27, s27
; %bb.412:
	v_add_f32_e64 v1, 0x46800000, |v4|
; %bb.413:
	s_or_b32 exec_lo, exec_lo, s27
                                        ; implicit-def: $vgpr5
.LBB15_414:
	s_and_not1_saveexec_b32 s26, s26
; %bb.415:
	v_mov_b32_e32 v1, 0x7f
	v_cmp_lt_u32_e32 vcc_lo, 0x7f800000, v5
	s_delay_alu instid0(VALU_DEP_2)
	v_cndmask_b32_e32 v1, 0x7e, v1, vcc_lo
; %bb.416:
	s_or_b32 exec_lo, exec_lo, s26
	v_lshrrev_b32_e32 v5, 24, v4
	s_delay_alu instid0(VALU_DEP_1)
	v_and_or_b32 v1, 0x80, v5, v1
	global_store_b8 v[2:3], v1, off
.LBB15_417:
	s_mov_b32 s26, 0
.LBB15_418:
	s_delay_alu instid0(SALU_CYCLE_1)
	s_and_not1_b32 vcc_lo, exec_lo, s26
	s_cbranch_vccnz .LBB15_428
; %bb.419:
	s_wait_xcnt 0x0
	v_and_b32_e32 v5, 0x7fffffff, v4
	s_mov_b32 s26, exec_lo
                                        ; implicit-def: $vgpr1
	s_delay_alu instid0(VALU_DEP_1)
	v_cmpx_gt_u32_e32 0x47800000, v5
	s_xor_b32 s26, exec_lo, s26
	s_cbranch_execz .LBB15_425
; %bb.420:
	s_mov_b32 s27, exec_lo
                                        ; implicit-def: $vgpr1
	v_cmpx_lt_u32_e32 0x387fffff, v5
	s_xor_b32 s27, exec_lo, s27
; %bb.421:
	v_bfe_u32 v1, v4, 21, 1
	s_delay_alu instid0(VALU_DEP_1) | instskip(NEXT) | instid1(VALU_DEP_1)
	v_add3_u32 v1, v4, v1, 0x80fffff
	v_lshrrev_b32_e32 v1, 21, v1
; %bb.422:
	s_and_not1_saveexec_b32 s27, s27
; %bb.423:
	v_add_f32_e64 v1, 0x43000000, |v4|
; %bb.424:
	s_or_b32 exec_lo, exec_lo, s27
                                        ; implicit-def: $vgpr5
.LBB15_425:
	s_and_not1_saveexec_b32 s26, s26
; %bb.426:
	v_mov_b32_e32 v1, 0x7f
	v_cmp_lt_u32_e32 vcc_lo, 0x7f800000, v5
	s_delay_alu instid0(VALU_DEP_2)
	v_cndmask_b32_e32 v1, 0x7c, v1, vcc_lo
; %bb.427:
	s_or_b32 exec_lo, exec_lo, s26
	v_lshrrev_b32_e32 v5, 24, v4
	s_delay_alu instid0(VALU_DEP_1)
	v_and_or_b32 v1, 0x80, v5, v1
	global_store_b8 v[2:3], v1, off
.LBB15_428:
	s_mov_b32 s27, 0
	s_mov_b32 s26, -1
.LBB15_429:
	s_and_not1_b32 vcc_lo, exec_lo, s27
	s_cbranch_vccnz .LBB15_437
; %bb.430:
	s_cmp_gt_i32 s25, 14
	s_mov_b32 s27, -1
	s_cbranch_scc0 .LBB15_434
; %bb.431:
	s_cmp_eq_u32 s25, 15
	s_mov_b32 s0, -1
	s_cbranch_scc0 .LBB15_433
; %bb.432:
	s_wait_xcnt 0x0
	v_bfe_u32 v1, v4, 16, 1
	v_cmp_o_f32_e32 vcc_lo, v4, v4
	s_mov_b32 s26, -1
	s_mov_b32 s0, 0
	s_delay_alu instid0(VALU_DEP_2) | instskip(NEXT) | instid1(VALU_DEP_1)
	v_add3_u32 v1, v4, v1, 0x7fff
	v_lshrrev_b32_e32 v1, 16, v1
	s_delay_alu instid0(VALU_DEP_1)
	v_cndmask_b32_e32 v1, 0x7fc0, v1, vcc_lo
	global_store_b16 v[2:3], v1, off
.LBB15_433:
	s_mov_b32 s27, 0
.LBB15_434:
	s_delay_alu instid0(SALU_CYCLE_1)
	s_and_b32 vcc_lo, exec_lo, s27
	s_cbranch_vccz .LBB15_437
; %bb.435:
	s_cmp_eq_u32 s25, 11
	s_mov_b32 s0, -1
	s_cbranch_scc0 .LBB15_437
; %bb.436:
	v_cmp_neq_f32_e32 vcc_lo, 0, v4
	s_mov_b32 s0, 0
	s_mov_b32 s26, -1
	s_wait_xcnt 0x0
	v_cndmask_b32_e64 v1, 0, 1, vcc_lo
	global_store_b8 v[2:3], v1, off
.LBB15_437:
.LBB15_438:
	s_and_not1_b32 vcc_lo, exec_lo, s26
	s_cbranch_vccnz .LBB15_351
.LBB15_439:
	v_add_nc_u32_e32 v0, 0x80, v0
	s_mov_b32 s1, -1
	s_branch .LBB15_552
.LBB15_440:
	s_mov_b32 s24, -1
                                        ; implicit-def: $vgpr1
.LBB15_441:
	s_mov_b32 s25, 0
.LBB15_442:
	s_delay_alu instid0(SALU_CYCLE_1)
	s_and_b32 vcc_lo, exec_lo, s25
	s_cbranch_vccz .LBB15_446
; %bb.443:
	s_cmp_eq_u32 s0, 29
	s_cbranch_scc0 .LBB15_445
; %bb.444:
	global_load_b64 v[6:7], v[4:5], off
	s_mov_b32 s1, -1
	s_mov_b32 s24, 0
	s_mov_b32 s25, 0
	s_wait_loadcnt 0x0
	v_clz_i32_u32_e32 v1, v7
	s_delay_alu instid0(VALU_DEP_1) | instskip(NEXT) | instid1(VALU_DEP_1)
	v_min_u32_e32 v1, 32, v1
	v_lshlrev_b64_e32 v[6:7], v1, v[6:7]
	v_sub_nc_u32_e32 v1, 32, v1
	s_delay_alu instid0(VALU_DEP_2) | instskip(NEXT) | instid1(VALU_DEP_1)
	v_min_u32_e32 v3, 1, v6
	v_or_b32_e32 v3, v7, v3
	s_delay_alu instid0(VALU_DEP_1) | instskip(NEXT) | instid1(VALU_DEP_1)
	v_cvt_f32_u32_e32 v3, v3
	v_ldexp_f32 v1, v3, v1
	s_branch .LBB15_447
.LBB15_445:
	s_mov_b32 s24, -1
                                        ; implicit-def: $vgpr1
.LBB15_446:
	s_mov_b32 s25, 0
.LBB15_447:
	s_delay_alu instid0(SALU_CYCLE_1)
	s_and_b32 vcc_lo, exec_lo, s25
	s_cbranch_vccz .LBB15_465
; %bb.448:
	s_cmp_lt_i32 s0, 27
	s_cbranch_scc1 .LBB15_451
; %bb.449:
	s_cmp_gt_i32 s0, 27
	s_cbranch_scc0 .LBB15_452
; %bb.450:
	s_wait_loadcnt 0x0
	global_load_b32 v1, v[4:5], off
	s_mov_b32 s1, 0
	s_wait_loadcnt 0x0
	v_cvt_f32_u32_e32 v1, v1
	s_branch .LBB15_453
.LBB15_451:
	s_mov_b32 s1, -1
                                        ; implicit-def: $vgpr1
	s_branch .LBB15_456
.LBB15_452:
	s_mov_b32 s1, -1
                                        ; implicit-def: $vgpr1
.LBB15_453:
	s_delay_alu instid0(SALU_CYCLE_1)
	s_and_not1_b32 vcc_lo, exec_lo, s1
	s_cbranch_vccnz .LBB15_455
; %bb.454:
	s_wait_loadcnt 0x0
	global_load_u16 v1, v[4:5], off
	s_wait_loadcnt 0x0
	v_cvt_f32_u32_e32 v1, v1
.LBB15_455:
	s_mov_b32 s1, 0
.LBB15_456:
	s_delay_alu instid0(SALU_CYCLE_1)
	s_and_not1_b32 vcc_lo, exec_lo, s1
	s_cbranch_vccnz .LBB15_464
; %bb.457:
	global_load_u8 v3, v[4:5], off
	s_mov_b32 s1, 0
	s_mov_b32 s25, exec_lo
	s_wait_loadcnt 0x0
	v_cmpx_lt_i16_e32 0x7f, v3
	s_xor_b32 s25, exec_lo, s25
	s_cbranch_execz .LBB15_478
; %bb.458:
	s_mov_b32 s1, -1
	s_mov_b32 s26, exec_lo
	v_cmpx_eq_u16_e32 0x80, v3
; %bb.459:
	s_xor_b32 s1, exec_lo, -1
; %bb.460:
	s_or_b32 exec_lo, exec_lo, s26
	s_delay_alu instid0(SALU_CYCLE_1)
	s_and_b32 s1, s1, exec_lo
	s_or_saveexec_b32 s25, s25
	v_mov_b32_e32 v1, 0x7f800001
	s_xor_b32 exec_lo, exec_lo, s25
	s_cbranch_execnz .LBB15_479
.LBB15_461:
	s_or_b32 exec_lo, exec_lo, s25
	s_and_saveexec_b32 s25, s1
	s_cbranch_execz .LBB15_463
.LBB15_462:
	v_and_b32_e32 v1, 0xffff, v3
	s_delay_alu instid0(VALU_DEP_1) | instskip(SKIP_1) | instid1(VALU_DEP_2)
	v_and_b32_e32 v6, 7, v1
	v_bfe_u32 v9, v1, 3, 4
	v_clz_i32_u32_e32 v7, v6
	s_delay_alu instid0(VALU_DEP_2) | instskip(NEXT) | instid1(VALU_DEP_2)
	v_cmp_eq_u32_e32 vcc_lo, 0, v9
	v_min_u32_e32 v7, 32, v7
	s_delay_alu instid0(VALU_DEP_1) | instskip(NEXT) | instid1(VALU_DEP_1)
	v_subrev_nc_u32_e32 v8, 28, v7
	v_dual_lshlrev_b32 v1, v8, v1 :: v_dual_sub_nc_u32 v7, 29, v7
	s_delay_alu instid0(VALU_DEP_1) | instskip(NEXT) | instid1(VALU_DEP_1)
	v_dual_lshlrev_b32 v3, 24, v3 :: v_dual_bitop2_b32 v1, 7, v1 bitop3:0x40
	v_dual_cndmask_b32 v1, v6, v1, vcc_lo :: v_dual_cndmask_b32 v7, v9, v7, vcc_lo
	s_delay_alu instid0(VALU_DEP_2) | instskip(NEXT) | instid1(VALU_DEP_2)
	v_and_b32_e32 v3, 0x80000000, v3
	v_lshlrev_b32_e32 v1, 20, v1
	s_delay_alu instid0(VALU_DEP_3) | instskip(NEXT) | instid1(VALU_DEP_1)
	v_lshl_add_u32 v6, v7, 23, 0x3b800000
	v_or3_b32 v1, v3, v6, v1
.LBB15_463:
	s_or_b32 exec_lo, exec_lo, s25
.LBB15_464:
	s_mov_b32 s1, -1
.LBB15_465:
	s_mov_b32 s25, 0
.LBB15_466:
	s_delay_alu instid0(SALU_CYCLE_1)
	s_and_b32 vcc_lo, exec_lo, s25
	s_cbranch_vccz .LBB15_501
; %bb.467:
	s_cmp_gt_i32 s0, 22
	s_cbranch_scc0 .LBB15_477
; %bb.468:
	s_cmp_lt_i32 s0, 24
	s_cbranch_scc1 .LBB15_480
; %bb.469:
	s_cmp_gt_i32 s0, 24
	s_cbranch_scc0 .LBB15_481
; %bb.470:
	global_load_u8 v3, v[4:5], off
	s_mov_b32 s1, 0
	s_mov_b32 s25, exec_lo
	s_wait_loadcnt 0x0
	v_cmpx_lt_i16_e32 0x7f, v3
	s_xor_b32 s25, exec_lo, s25
	s_cbranch_execz .LBB15_493
; %bb.471:
	s_mov_b32 s1, -1
	s_mov_b32 s26, exec_lo
	v_cmpx_eq_u16_e32 0x80, v3
; %bb.472:
	s_xor_b32 s1, exec_lo, -1
; %bb.473:
	s_or_b32 exec_lo, exec_lo, s26
	s_delay_alu instid0(SALU_CYCLE_1)
	s_and_b32 s1, s1, exec_lo
	s_or_saveexec_b32 s25, s25
	v_mov_b32_e32 v1, 0x7f800001
	s_xor_b32 exec_lo, exec_lo, s25
	s_cbranch_execnz .LBB15_494
.LBB15_474:
	s_or_b32 exec_lo, exec_lo, s25
	s_and_saveexec_b32 s25, s1
	s_cbranch_execz .LBB15_476
.LBB15_475:
	v_and_b32_e32 v1, 0xffff, v3
	s_delay_alu instid0(VALU_DEP_1) | instskip(SKIP_1) | instid1(VALU_DEP_2)
	v_and_b32_e32 v6, 3, v1
	v_bfe_u32 v9, v1, 2, 5
	v_clz_i32_u32_e32 v7, v6
	s_delay_alu instid0(VALU_DEP_2) | instskip(NEXT) | instid1(VALU_DEP_2)
	v_cmp_eq_u32_e32 vcc_lo, 0, v9
	v_min_u32_e32 v7, 32, v7
	s_delay_alu instid0(VALU_DEP_1) | instskip(NEXT) | instid1(VALU_DEP_1)
	v_subrev_nc_u32_e32 v8, 29, v7
	v_dual_lshlrev_b32 v1, v8, v1 :: v_dual_sub_nc_u32 v7, 30, v7
	s_delay_alu instid0(VALU_DEP_1) | instskip(NEXT) | instid1(VALU_DEP_1)
	v_dual_lshlrev_b32 v3, 24, v3 :: v_dual_bitop2_b32 v1, 3, v1 bitop3:0x40
	v_dual_cndmask_b32 v1, v6, v1, vcc_lo :: v_dual_cndmask_b32 v7, v9, v7, vcc_lo
	s_delay_alu instid0(VALU_DEP_2) | instskip(NEXT) | instid1(VALU_DEP_2)
	v_and_b32_e32 v3, 0x80000000, v3
	v_lshlrev_b32_e32 v1, 21, v1
	s_delay_alu instid0(VALU_DEP_3) | instskip(NEXT) | instid1(VALU_DEP_1)
	v_lshl_add_u32 v6, v7, 23, 0x37800000
	v_or3_b32 v1, v3, v6, v1
.LBB15_476:
	s_or_b32 exec_lo, exec_lo, s25
	s_mov_b32 s1, 0
	s_branch .LBB15_482
.LBB15_477:
	s_mov_b32 s25, -1
                                        ; implicit-def: $vgpr1
	s_branch .LBB15_488
.LBB15_478:
	s_or_saveexec_b32 s25, s25
	v_mov_b32_e32 v1, 0x7f800001
	s_xor_b32 exec_lo, exec_lo, s25
	s_cbranch_execz .LBB15_461
.LBB15_479:
	v_cmp_ne_u16_e32 vcc_lo, 0, v3
	v_mov_b32_e32 v1, 0
	s_and_not1_b32 s1, s1, exec_lo
	s_and_b32 s26, vcc_lo, exec_lo
	s_delay_alu instid0(SALU_CYCLE_1)
	s_or_b32 s1, s1, s26
	s_or_b32 exec_lo, exec_lo, s25
	s_and_saveexec_b32 s25, s1
	s_cbranch_execnz .LBB15_462
	s_branch .LBB15_463
.LBB15_480:
	s_mov_b32 s1, -1
                                        ; implicit-def: $vgpr1
	s_branch .LBB15_485
.LBB15_481:
	s_mov_b32 s1, -1
                                        ; implicit-def: $vgpr1
.LBB15_482:
	s_delay_alu instid0(SALU_CYCLE_1)
	s_and_b32 vcc_lo, exec_lo, s1
	s_cbranch_vccz .LBB15_484
; %bb.483:
	s_wait_loadcnt 0x0
	global_load_u8 v1, v[4:5], off
	s_wait_loadcnt 0x0
	v_lshlrev_b32_e32 v1, 24, v1
	s_delay_alu instid0(VALU_DEP_1) | instskip(NEXT) | instid1(VALU_DEP_1)
	v_and_b32_e32 v3, 0x7f000000, v1
	v_clz_i32_u32_e32 v6, v3
	v_cmp_ne_u32_e32 vcc_lo, 0, v3
	v_add_nc_u32_e32 v8, 0x1000000, v3
	s_delay_alu instid0(VALU_DEP_3) | instskip(NEXT) | instid1(VALU_DEP_1)
	v_min_u32_e32 v6, 32, v6
	v_sub_nc_u32_e64 v6, v6, 4 clamp
	s_delay_alu instid0(VALU_DEP_1) | instskip(NEXT) | instid1(VALU_DEP_1)
	v_dual_lshlrev_b32 v7, v6, v3 :: v_dual_lshlrev_b32 v6, 23, v6
	v_lshrrev_b32_e32 v7, 4, v7
	s_delay_alu instid0(VALU_DEP_1) | instskip(NEXT) | instid1(VALU_DEP_1)
	v_dual_sub_nc_u32 v6, v7, v6 :: v_dual_ashrrev_i32 v7, 8, v8
	v_add_nc_u32_e32 v6, 0x3c000000, v6
	s_delay_alu instid0(VALU_DEP_1) | instskip(NEXT) | instid1(VALU_DEP_1)
	v_and_or_b32 v6, 0x7f800000, v7, v6
	v_cndmask_b32_e32 v3, 0, v6, vcc_lo
	s_delay_alu instid0(VALU_DEP_1)
	v_and_or_b32 v1, 0x80000000, v1, v3
.LBB15_484:
	s_mov_b32 s1, 0
.LBB15_485:
	s_delay_alu instid0(SALU_CYCLE_1)
	s_and_not1_b32 vcc_lo, exec_lo, s1
	s_cbranch_vccnz .LBB15_487
; %bb.486:
	s_wait_loadcnt 0x0
	global_load_u8 v1, v[4:5], off
	s_wait_loadcnt 0x0
	v_lshlrev_b32_e32 v3, 25, v1
	v_lshlrev_b16 v1, 8, v1
	s_delay_alu instid0(VALU_DEP_1) | instskip(SKIP_1) | instid1(VALU_DEP_2)
	v_and_or_b32 v7, 0x7f00, v1, 0.5
	v_bfe_i32 v1, v1, 0, 16
	v_add_f32_e32 v7, -0.5, v7
	v_lshrrev_b32_e32 v6, 4, v3
	v_cmp_gt_u32_e32 vcc_lo, 0x8000000, v3
	s_delay_alu instid0(VALU_DEP_2) | instskip(NEXT) | instid1(VALU_DEP_1)
	v_or_b32_e32 v6, 0x70000000, v6
	v_mul_f32_e32 v6, 0x7800000, v6
	s_delay_alu instid0(VALU_DEP_1) | instskip(NEXT) | instid1(VALU_DEP_1)
	v_cndmask_b32_e32 v3, v6, v7, vcc_lo
	v_and_or_b32 v1, 0x80000000, v1, v3
.LBB15_487:
	s_mov_b32 s25, 0
	s_mov_b32 s1, -1
.LBB15_488:
	s_and_not1_b32 vcc_lo, exec_lo, s25
	s_cbranch_vccnz .LBB15_501
; %bb.489:
	s_cmp_gt_i32 s0, 14
	s_cbranch_scc0 .LBB15_492
; %bb.490:
	s_cmp_eq_u32 s0, 15
	s_cbranch_scc0 .LBB15_495
; %bb.491:
	s_wait_loadcnt 0x0
	global_load_u16 v1, v[4:5], off
	s_mov_b32 s1, -1
	s_mov_b32 s24, 0
	s_wait_loadcnt 0x0
	v_lshlrev_b32_e32 v1, 16, v1
	s_branch .LBB15_496
.LBB15_492:
	s_mov_b32 s25, -1
                                        ; implicit-def: $vgpr1
	s_branch .LBB15_497
.LBB15_493:
	s_or_saveexec_b32 s25, s25
	v_mov_b32_e32 v1, 0x7f800001
	s_xor_b32 exec_lo, exec_lo, s25
	s_cbranch_execz .LBB15_474
.LBB15_494:
	v_cmp_ne_u16_e32 vcc_lo, 0, v3
	v_mov_b32_e32 v1, 0
	s_and_not1_b32 s1, s1, exec_lo
	s_and_b32 s26, vcc_lo, exec_lo
	s_delay_alu instid0(SALU_CYCLE_1)
	s_or_b32 s1, s1, s26
	s_or_b32 exec_lo, exec_lo, s25
	s_and_saveexec_b32 s25, s1
	s_cbranch_execnz .LBB15_475
	s_branch .LBB15_476
.LBB15_495:
	s_mov_b32 s24, -1
                                        ; implicit-def: $vgpr1
.LBB15_496:
	s_mov_b32 s25, 0
.LBB15_497:
	s_delay_alu instid0(SALU_CYCLE_1)
	s_and_b32 vcc_lo, exec_lo, s25
	s_cbranch_vccz .LBB15_501
; %bb.498:
	s_cmp_eq_u32 s0, 11
	s_cbranch_scc0 .LBB15_500
; %bb.499:
	s_wait_loadcnt 0x0
	global_load_u8 v1, v[4:5], off
	s_mov_b32 s24, 0
	s_mov_b32 s1, -1
	s_wait_loadcnt 0x0
	v_cmp_ne_u16_e32 vcc_lo, 0, v1
	v_cndmask_b32_e64 v1, 0, 1.0, vcc_lo
	s_branch .LBB15_501
.LBB15_500:
	s_mov_b32 s24, -1
                                        ; implicit-def: $vgpr1
.LBB15_501:
	s_branch .LBB15_300
.LBB15_502:
	s_cmp_lt_i32 s0, 5
	s_cbranch_scc1 .LBB15_507
; %bb.503:
	s_cmp_lt_i32 s0, 8
	s_cbranch_scc1 .LBB15_508
; %bb.504:
	;; [unrolled: 3-line block ×3, first 2 shown]
	s_cmp_gt_i32 s0, 9
	s_cbranch_scc0 .LBB15_510
; %bb.506:
	global_load_b64 v[6:7], v[4:5], off
	s_mov_b32 s1, 0
	s_wait_loadcnt 0x0
	v_cvt_f32_f64_e32 v1, v[6:7]
	s_branch .LBB15_511
.LBB15_507:
	s_mov_b32 s1, -1
                                        ; implicit-def: $vgpr1
	s_branch .LBB15_529
.LBB15_508:
	s_mov_b32 s1, -1
                                        ; implicit-def: $vgpr1
	s_branch .LBB15_517
.LBB15_509:
	s_mov_b32 s1, -1
                                        ; implicit-def: $vgpr1
	s_branch .LBB15_514
.LBB15_510:
	s_mov_b32 s1, -1
                                        ; implicit-def: $vgpr1
.LBB15_511:
	s_delay_alu instid0(SALU_CYCLE_1)
	s_and_not1_b32 vcc_lo, exec_lo, s1
	s_cbranch_vccnz .LBB15_513
; %bb.512:
	s_wait_loadcnt 0x0
	global_load_b32 v1, v[4:5], off
.LBB15_513:
	s_mov_b32 s1, 0
.LBB15_514:
	s_delay_alu instid0(SALU_CYCLE_1)
	s_and_not1_b32 vcc_lo, exec_lo, s1
	s_cbranch_vccnz .LBB15_516
; %bb.515:
	s_wait_loadcnt 0x0
	global_load_b32 v1, v[4:5], off
	s_wait_loadcnt 0x0
	v_cvt_f32_f16_e32 v1, v1
.LBB15_516:
	s_mov_b32 s1, 0
.LBB15_517:
	s_delay_alu instid0(SALU_CYCLE_1)
	s_and_not1_b32 vcc_lo, exec_lo, s1
	s_cbranch_vccnz .LBB15_528
; %bb.518:
	s_cmp_lt_i32 s0, 6
	s_cbranch_scc1 .LBB15_521
; %bb.519:
	s_cmp_gt_i32 s0, 6
	s_cbranch_scc0 .LBB15_522
; %bb.520:
	global_load_b64 v[6:7], v[4:5], off
	s_mov_b32 s1, 0
	s_wait_loadcnt 0x0
	v_cvt_f32_f64_e32 v1, v[6:7]
	s_branch .LBB15_523
.LBB15_521:
	s_mov_b32 s1, -1
                                        ; implicit-def: $vgpr1
	s_branch .LBB15_526
.LBB15_522:
	s_mov_b32 s1, -1
                                        ; implicit-def: $vgpr1
.LBB15_523:
	s_delay_alu instid0(SALU_CYCLE_1)
	s_and_not1_b32 vcc_lo, exec_lo, s1
	s_cbranch_vccnz .LBB15_525
; %bb.524:
	s_wait_loadcnt 0x0
	global_load_b32 v1, v[4:5], off
.LBB15_525:
	s_mov_b32 s1, 0
.LBB15_526:
	s_delay_alu instid0(SALU_CYCLE_1)
	s_and_not1_b32 vcc_lo, exec_lo, s1
	s_cbranch_vccnz .LBB15_528
; %bb.527:
	s_wait_loadcnt 0x0
	global_load_u16 v1, v[4:5], off
	s_wait_loadcnt 0x0
	v_cvt_f32_f16_e32 v1, v1
.LBB15_528:
	s_mov_b32 s1, 0
.LBB15_529:
	s_delay_alu instid0(SALU_CYCLE_1)
	s_and_not1_b32 vcc_lo, exec_lo, s1
	s_cbranch_vccnz .LBB15_549
; %bb.530:
	s_cmp_lt_i32 s0, 2
	s_cbranch_scc1 .LBB15_534
; %bb.531:
	s_cmp_lt_i32 s0, 3
	s_cbranch_scc1 .LBB15_535
; %bb.532:
	s_cmp_gt_i32 s0, 3
	s_cbranch_scc0 .LBB15_536
; %bb.533:
	global_load_b64 v[6:7], v[4:5], off
	s_mov_b32 s1, 0
	s_wait_loadcnt 0x0
	v_xor_b32_e32 v1, v6, v7
	v_cls_i32_e32 v3, v7
	s_delay_alu instid0(VALU_DEP_2) | instskip(NEXT) | instid1(VALU_DEP_1)
	v_ashrrev_i32_e32 v1, 31, v1
	v_add_nc_u32_e32 v1, 32, v1
	s_delay_alu instid0(VALU_DEP_1) | instskip(NEXT) | instid1(VALU_DEP_1)
	v_add_min_u32_e64 v1, v3, -1, v1
	v_lshlrev_b64_e32 v[6:7], v1, v[6:7]
	v_sub_nc_u32_e32 v1, 32, v1
	s_delay_alu instid0(VALU_DEP_2) | instskip(NEXT) | instid1(VALU_DEP_1)
	v_min_u32_e32 v3, 1, v6
	v_or_b32_e32 v3, v7, v3
	s_delay_alu instid0(VALU_DEP_1) | instskip(NEXT) | instid1(VALU_DEP_1)
	v_cvt_f32_i32_e32 v3, v3
	v_ldexp_f32 v1, v3, v1
	s_branch .LBB15_537
.LBB15_534:
	s_mov_b32 s1, -1
                                        ; implicit-def: $vgpr1
	s_branch .LBB15_543
.LBB15_535:
	s_mov_b32 s1, -1
                                        ; implicit-def: $vgpr1
	s_branch .LBB15_540
.LBB15_536:
	s_mov_b32 s1, -1
                                        ; implicit-def: $vgpr1
.LBB15_537:
	s_delay_alu instid0(SALU_CYCLE_1)
	s_and_not1_b32 vcc_lo, exec_lo, s1
	s_cbranch_vccnz .LBB15_539
; %bb.538:
	s_wait_loadcnt 0x0
	global_load_b32 v1, v[4:5], off
	s_wait_loadcnt 0x0
	v_cvt_f32_i32_e32 v1, v1
.LBB15_539:
	s_mov_b32 s1, 0
.LBB15_540:
	s_delay_alu instid0(SALU_CYCLE_1)
	s_and_not1_b32 vcc_lo, exec_lo, s1
	s_cbranch_vccnz .LBB15_542
; %bb.541:
	s_wait_loadcnt 0x0
	global_load_i16 v1, v[4:5], off
	s_wait_loadcnt 0x0
	v_cvt_f32_i32_e32 v1, v1
.LBB15_542:
	s_mov_b32 s1, 0
.LBB15_543:
	s_delay_alu instid0(SALU_CYCLE_1)
	s_and_not1_b32 vcc_lo, exec_lo, s1
	s_cbranch_vccnz .LBB15_549
; %bb.544:
	s_cmp_gt_i32 s0, 0
	s_mov_b32 s0, 0
	s_cbranch_scc0 .LBB15_546
; %bb.545:
	s_wait_loadcnt 0x0
	global_load_i8 v1, v[4:5], off
	s_wait_loadcnt 0x0
	v_cvt_f32_i32_e32 v1, v1
	s_branch .LBB15_547
.LBB15_546:
	s_mov_b32 s0, -1
                                        ; implicit-def: $vgpr1
.LBB15_547:
	s_delay_alu instid0(SALU_CYCLE_1)
	s_and_not1_b32 vcc_lo, exec_lo, s0
	s_cbranch_vccnz .LBB15_549
; %bb.548:
	s_wait_loadcnt 0x0
	global_load_u8 v1, v[4:5], off
	s_wait_loadcnt 0x0
	v_cvt_f32_ubyte0_e32 v1, v1
.LBB15_549:
	s_branch .LBB15_301
.LBB15_550:
	s_mov_b32 s1, 0
	s_mov_b32 s0, s18
.LBB15_551:
                                        ; implicit-def: $vgpr0
.LBB15_552:
	s_and_not1_b32 s25, s18, exec_lo
	s_and_b32 s0, s0, exec_lo
	s_and_not1_b32 s26, s39, exec_lo
	s_and_b32 s24, s24, exec_lo
	s_or_b32 s42, s25, s0
	s_or_b32 s41, s26, s24
	s_or_not1_b32 s0, s1, exec_lo
.LBB15_553:
	s_wait_xcnt 0x0
	s_or_b32 exec_lo, exec_lo, s43
	s_mov_b32 s1, 0
	s_mov_b32 s24, 0
	;; [unrolled: 1-line block ×3, first 2 shown]
                                        ; implicit-def: $vgpr4_vgpr5
                                        ; implicit-def: $vgpr2
                                        ; implicit-def: $vgpr6
	s_and_saveexec_b32 s43, s0
	s_cbranch_execz .LBB15_937
; %bb.554:
	s_mov_b32 s25, -1
	s_mov_b32 s26, s41
	s_mov_b32 s27, s42
	s_mov_b32 s44, exec_lo
	v_cmpx_gt_i32_e64 s36, v0
	s_cbranch_execz .LBB15_834
; %bb.555:
	s_and_not1_b32 vcc_lo, exec_lo, s31
	s_cbranch_vccnz .LBB15_561
; %bb.556:
	s_and_not1_b32 vcc_lo, exec_lo, s38
	s_cbranch_vccnz .LBB15_562
; %bb.557:
	s_add_co_i32 s1, s37, 1
	s_cmp_eq_u32 s29, 2
	s_cbranch_scc1 .LBB15_563
; %bb.558:
	v_dual_mov_b32 v2, 0 :: v_dual_mov_b32 v4, 0
	s_wait_loadcnt 0x0
	v_mov_b32_e32 v1, v0
	s_and_b32 s0, s1, 28
	s_mov_b32 s45, 0
	s_mov_b64 s[24:25], s[2:3]
	s_mov_b64 s[26:27], s[22:23]
.LBB15_559:                             ; =>This Inner Loop Header: Depth=1
	s_clause 0x1
	s_load_b256 s[48:55], s[24:25], 0x4
	s_load_b128 s[64:67], s[24:25], 0x24
	s_load_b256 s[56:63], s[26:27], 0x0
	s_add_co_i32 s45, s45, 4
	s_wait_xcnt 0x0
	s_add_nc_u64 s[24:25], s[24:25], 48
	s_cmp_eq_u32 s0, s45
	s_add_nc_u64 s[26:27], s[26:27], 32
	s_wait_kmcnt 0x0
	v_mul_hi_u32 v3, s49, v1
	s_delay_alu instid0(VALU_DEP_1) | instskip(NEXT) | instid1(VALU_DEP_1)
	v_add_nc_u32_e32 v3, v1, v3
	v_lshrrev_b32_e32 v3, s50, v3
	s_delay_alu instid0(VALU_DEP_1) | instskip(NEXT) | instid1(VALU_DEP_1)
	v_mul_hi_u32 v5, s52, v3
	v_add_nc_u32_e32 v5, v3, v5
	s_delay_alu instid0(VALU_DEP_1) | instskip(NEXT) | instid1(VALU_DEP_1)
	v_lshrrev_b32_e32 v5, s53, v5
	v_mul_hi_u32 v6, s55, v5
	s_delay_alu instid0(VALU_DEP_1) | instskip(SKIP_1) | instid1(VALU_DEP_1)
	v_add_nc_u32_e32 v6, v5, v6
	v_mul_lo_u32 v7, v3, s48
	v_sub_nc_u32_e32 v1, v1, v7
	v_mul_lo_u32 v7, v5, s51
	s_delay_alu instid0(VALU_DEP_4) | instskip(NEXT) | instid1(VALU_DEP_3)
	v_lshrrev_b32_e32 v6, s64, v6
	v_mad_u32 v4, v1, s57, v4
	v_mad_u32 v1, v1, s56, v2
	s_delay_alu instid0(VALU_DEP_4) | instskip(NEXT) | instid1(VALU_DEP_4)
	v_sub_nc_u32_e32 v2, v3, v7
	v_mul_hi_u32 v8, s66, v6
	v_mul_lo_u32 v3, v6, s54
	s_delay_alu instid0(VALU_DEP_3) | instskip(SKIP_1) | instid1(VALU_DEP_3)
	v_mad_u32 v4, v2, s59, v4
	v_mad_u32 v2, v2, s58, v1
	v_dual_add_nc_u32 v7, v6, v8 :: v_dual_sub_nc_u32 v3, v5, v3
	s_delay_alu instid0(VALU_DEP_1) | instskip(NEXT) | instid1(VALU_DEP_2)
	v_lshrrev_b32_e32 v1, s67, v7
	v_mad_u32 v4, v3, s61, v4
	s_delay_alu instid0(VALU_DEP_4) | instskip(NEXT) | instid1(VALU_DEP_3)
	v_mad_u32 v2, v3, s60, v2
	v_mul_lo_u32 v5, v1, s65
	s_delay_alu instid0(VALU_DEP_1) | instskip(NEXT) | instid1(VALU_DEP_1)
	v_sub_nc_u32_e32 v3, v6, v5
	v_mad_u32 v4, v3, s63, v4
	s_delay_alu instid0(VALU_DEP_4)
	v_mad_u32 v2, v3, s62, v2
	s_cbranch_scc0 .LBB15_559
; %bb.560:
	s_delay_alu instid0(VALU_DEP_2)
	v_mov_b32_e32 v3, v4
	s_branch .LBB15_564
.LBB15_561:
	s_mov_b32 s0, -1
                                        ; implicit-def: $vgpr4
                                        ; implicit-def: $vgpr2
	s_branch .LBB15_569
.LBB15_562:
	v_dual_mov_b32 v4, 0 :: v_dual_mov_b32 v2, 0
	s_branch .LBB15_568
.LBB15_563:
	v_mov_b64_e32 v[2:3], 0
	s_wait_loadcnt 0x0
	v_mov_b32_e32 v1, v0
	s_mov_b32 s0, 0
                                        ; implicit-def: $vgpr4
.LBB15_564:
	s_and_b32 s26, s1, 3
	s_mov_b32 s1, 0
	s_cmp_eq_u32 s26, 0
	s_cbranch_scc1 .LBB15_568
; %bb.565:
	s_lshl_b32 s24, s0, 3
	s_mov_b32 s25, s1
	s_mul_u64 s[46:47], s[0:1], 12
	s_add_nc_u64 s[24:25], s[2:3], s[24:25]
	s_delay_alu instid0(SALU_CYCLE_1)
	s_add_nc_u64 s[0:1], s[24:25], 0xc4
	s_add_nc_u64 s[24:25], s[2:3], s[46:47]
.LBB15_566:                             ; =>This Inner Loop Header: Depth=1
	s_load_b96 s[48:50], s[24:25], 0x4
	s_load_b64 s[46:47], s[0:1], 0x0
	s_add_co_i32 s26, s26, -1
	s_wait_xcnt 0x0
	s_add_nc_u64 s[24:25], s[24:25], 12
	s_cmp_lg_u32 s26, 0
	s_add_nc_u64 s[0:1], s[0:1], 8
	s_wait_kmcnt 0x0
	v_mul_hi_u32 v4, s49, v1
	s_delay_alu instid0(VALU_DEP_1) | instskip(NEXT) | instid1(VALU_DEP_1)
	v_add_nc_u32_e32 v4, v1, v4
	v_lshrrev_b32_e32 v4, s50, v4
	s_delay_alu instid0(VALU_DEP_1) | instskip(NEXT) | instid1(VALU_DEP_1)
	v_mul_lo_u32 v5, v4, s48
	v_sub_nc_u32_e32 v1, v1, v5
	s_delay_alu instid0(VALU_DEP_1)
	v_mad_u32 v3, v1, s47, v3
	v_mad_u32 v2, v1, s46, v2
	v_mov_b32_e32 v1, v4
	s_cbranch_scc1 .LBB15_566
; %bb.567:
	s_delay_alu instid0(VALU_DEP_3)
	v_mov_b32_e32 v4, v3
.LBB15_568:
	s_mov_b32 s0, 0
.LBB15_569:
	s_delay_alu instid0(SALU_CYCLE_1)
	s_and_not1_b32 vcc_lo, exec_lo, s0
	s_cbranch_vccnz .LBB15_572
; %bb.570:
	s_wait_loadcnt 0x0
	v_mov_b32_e32 v1, 0
	s_and_not1_b32 vcc_lo, exec_lo, s35
	s_delay_alu instid0(VALU_DEP_1) | instskip(NEXT) | instid1(VALU_DEP_1)
	v_mul_u64_e32 v[2:3], s[16:17], v[0:1]
	v_add_nc_u32_e32 v2, v0, v3
	s_delay_alu instid0(VALU_DEP_1) | instskip(NEXT) | instid1(VALU_DEP_1)
	v_lshrrev_b32_e32 v6, s14, v2
	v_mul_lo_u32 v2, v6, s12
	s_delay_alu instid0(VALU_DEP_1) | instskip(NEXT) | instid1(VALU_DEP_1)
	v_sub_nc_u32_e32 v2, v0, v2
	v_mul_lo_u32 v4, v2, s9
	v_mul_lo_u32 v2, v2, s8
	s_cbranch_vccnz .LBB15_572
; %bb.571:
	v_mov_b32_e32 v7, v1
	s_delay_alu instid0(VALU_DEP_1) | instskip(NEXT) | instid1(VALU_DEP_1)
	v_mul_u64_e32 v[8:9], s[20:21], v[6:7]
	v_add_nc_u32_e32 v1, v6, v9
	s_delay_alu instid0(VALU_DEP_1) | instskip(NEXT) | instid1(VALU_DEP_1)
	v_lshrrev_b32_e32 v1, s19, v1
	v_mul_lo_u32 v1, v1, s15
	s_delay_alu instid0(VALU_DEP_1) | instskip(NEXT) | instid1(VALU_DEP_1)
	v_sub_nc_u32_e32 v1, v6, v1
	v_mad_u32 v2, v1, s10, v2
	v_mad_u32 v4, v1, s11, v4
.LBB15_572:
	v_mov_b32_e32 v5, 0
	s_and_b32 s0, 0xffff, s13
	s_delay_alu instid0(SALU_CYCLE_1) | instskip(NEXT) | instid1(VALU_DEP_1)
	s_cmp_lt_i32 s0, 11
	v_add_nc_u64_e32 v[4:5], s[6:7], v[4:5]
	s_cbranch_scc1 .LBB15_579
; %bb.573:
	s_cmp_gt_i32 s0, 25
	s_cbranch_scc0 .LBB15_580
; %bb.574:
	s_cmp_gt_i32 s0, 28
	s_cbranch_scc0 .LBB15_581
	;; [unrolled: 3-line block ×4, first 2 shown]
; %bb.577:
	s_cmp_eq_u32 s0, 46
	s_mov_b32 s25, 0
	s_cbranch_scc0 .LBB15_588
; %bb.578:
	s_wait_loadcnt 0x0
	global_load_b32 v1, v[4:5], off
	s_mov_b32 s1, -1
	s_mov_b32 s24, 0
	s_wait_loadcnt 0x0
	v_lshlrev_b32_e32 v1, 16, v1
	s_branch .LBB15_590
.LBB15_579:
	s_mov_b32 s25, -1
	s_mov_b32 s1, 0
	s_mov_b32 s24, s41
                                        ; implicit-def: $vgpr1
	s_branch .LBB15_655
.LBB15_580:
	s_mov_b32 s25, -1
	s_mov_b32 s1, 0
	s_mov_b32 s24, s41
                                        ; implicit-def: $vgpr1
	s_branch .LBB15_619
.LBB15_581:
	s_mov_b32 s25, -1
	s_mov_b32 s1, 0
	s_mov_b32 s24, s41
                                        ; implicit-def: $vgpr1
	s_branch .LBB15_600
.LBB15_582:
	s_mov_b32 s25, -1
	s_mov_b32 s1, 0
	s_mov_b32 s24, s41
                                        ; implicit-def: $vgpr1
	s_branch .LBB15_595
.LBB15_583:
	s_and_not1_saveexec_b32 s41, s41
	s_cbranch_execz .LBB15_390
.LBB15_584:
	v_add_f32_e64 v1, 0x46000000, |v4|
	s_and_not1_b32 s27, s27, exec_lo
	s_delay_alu instid0(VALU_DEP_1) | instskip(NEXT) | instid1(VALU_DEP_1)
	v_and_b32_e32 v1, 0xff, v1
	v_cmp_ne_u32_e32 vcc_lo, 0, v1
	s_and_b32 s42, vcc_lo, exec_lo
	s_delay_alu instid0(SALU_CYCLE_1)
	s_or_b32 s27, s27, s42
	s_or_b32 exec_lo, exec_lo, s41
	v_mov_b32_e32 v5, 0
	s_and_saveexec_b32 s41, s27
	s_cbranch_execnz .LBB15_391
	s_branch .LBB15_392
.LBB15_585:
	s_mov_b32 s25, -1
	s_mov_b32 s1, 0
	s_mov_b32 s24, s41
	s_branch .LBB15_589
.LBB15_586:
	s_and_not1_saveexec_b32 s41, s41
	s_cbranch_execz .LBB15_403
.LBB15_587:
	v_add_f32_e64 v1, 0x42800000, |v4|
	s_and_not1_b32 s27, s27, exec_lo
	s_delay_alu instid0(VALU_DEP_1) | instskip(NEXT) | instid1(VALU_DEP_1)
	v_and_b32_e32 v1, 0xff, v1
	v_cmp_ne_u32_e32 vcc_lo, 0, v1
	s_and_b32 s42, vcc_lo, exec_lo
	s_delay_alu instid0(SALU_CYCLE_1)
	s_or_b32 s27, s27, s42
	s_or_b32 exec_lo, exec_lo, s41
	v_mov_b32_e32 v5, 0
	s_and_saveexec_b32 s41, s27
	s_cbranch_execnz .LBB15_404
	s_branch .LBB15_405
.LBB15_588:
	s_mov_b32 s24, -1
	s_mov_b32 s1, 0
.LBB15_589:
                                        ; implicit-def: $vgpr1
.LBB15_590:
	s_and_b32 vcc_lo, exec_lo, s25
	s_cbranch_vccz .LBB15_594
; %bb.591:
	s_cmp_eq_u32 s0, 44
	s_cbranch_scc0 .LBB15_593
; %bb.592:
	s_wait_loadcnt 0x0
	global_load_u8 v1, v[4:5], off
	s_mov_b32 s24, 0
	s_mov_b32 s1, -1
	s_wait_loadcnt 0x0
	v_lshlrev_b32_e32 v3, 23, v1
	v_cmp_ne_u32_e32 vcc_lo, 0xff, v1
	s_delay_alu instid0(VALU_DEP_2) | instskip(SKIP_1) | instid1(VALU_DEP_2)
	v_cndmask_b32_e32 v3, 0x7f800001, v3, vcc_lo
	v_cmp_ne_u32_e32 vcc_lo, 0, v1
	v_cndmask_b32_e32 v1, 0x400000, v3, vcc_lo
	s_branch .LBB15_594
.LBB15_593:
	s_mov_b32 s24, -1
                                        ; implicit-def: $vgpr1
.LBB15_594:
	s_mov_b32 s25, 0
.LBB15_595:
	s_delay_alu instid0(SALU_CYCLE_1)
	s_and_b32 vcc_lo, exec_lo, s25
	s_cbranch_vccz .LBB15_599
; %bb.596:
	s_cmp_eq_u32 s0, 29
	s_cbranch_scc0 .LBB15_598
; %bb.597:
	global_load_b64 v[6:7], v[4:5], off
	s_mov_b32 s1, -1
	s_mov_b32 s24, 0
	s_mov_b32 s25, 0
	s_wait_loadcnt 0x0
	v_clz_i32_u32_e32 v1, v7
	s_delay_alu instid0(VALU_DEP_1) | instskip(NEXT) | instid1(VALU_DEP_1)
	v_min_u32_e32 v1, 32, v1
	v_lshlrev_b64_e32 v[6:7], v1, v[6:7]
	v_sub_nc_u32_e32 v1, 32, v1
	s_delay_alu instid0(VALU_DEP_2) | instskip(NEXT) | instid1(VALU_DEP_1)
	v_min_u32_e32 v3, 1, v6
	v_or_b32_e32 v3, v7, v3
	s_delay_alu instid0(VALU_DEP_1) | instskip(NEXT) | instid1(VALU_DEP_1)
	v_cvt_f32_u32_e32 v3, v3
	v_ldexp_f32 v1, v3, v1
	s_branch .LBB15_600
.LBB15_598:
	s_mov_b32 s24, -1
                                        ; implicit-def: $vgpr1
.LBB15_599:
	s_mov_b32 s25, 0
.LBB15_600:
	s_delay_alu instid0(SALU_CYCLE_1)
	s_and_b32 vcc_lo, exec_lo, s25
	s_cbranch_vccz .LBB15_618
; %bb.601:
	s_cmp_lt_i32 s0, 27
	s_cbranch_scc1 .LBB15_604
; %bb.602:
	s_cmp_gt_i32 s0, 27
	s_cbranch_scc0 .LBB15_605
; %bb.603:
	s_wait_loadcnt 0x0
	global_load_b32 v1, v[4:5], off
	s_mov_b32 s1, 0
	s_wait_loadcnt 0x0
	v_cvt_f32_u32_e32 v1, v1
	s_branch .LBB15_606
.LBB15_604:
	s_mov_b32 s1, -1
                                        ; implicit-def: $vgpr1
	s_branch .LBB15_609
.LBB15_605:
	s_mov_b32 s1, -1
                                        ; implicit-def: $vgpr1
.LBB15_606:
	s_delay_alu instid0(SALU_CYCLE_1)
	s_and_not1_b32 vcc_lo, exec_lo, s1
	s_cbranch_vccnz .LBB15_608
; %bb.607:
	s_wait_loadcnt 0x0
	global_load_u16 v1, v[4:5], off
	s_wait_loadcnt 0x0
	v_cvt_f32_u32_e32 v1, v1
.LBB15_608:
	s_mov_b32 s1, 0
.LBB15_609:
	s_delay_alu instid0(SALU_CYCLE_1)
	s_and_not1_b32 vcc_lo, exec_lo, s1
	s_cbranch_vccnz .LBB15_617
; %bb.610:
	global_load_u8 v3, v[4:5], off
	s_mov_b32 s1, 0
	s_mov_b32 s25, exec_lo
	s_wait_loadcnt 0x0
	v_cmpx_lt_i16_e32 0x7f, v3
	s_xor_b32 s25, exec_lo, s25
	s_cbranch_execz .LBB15_631
; %bb.611:
	s_mov_b32 s1, -1
	s_mov_b32 s26, exec_lo
	v_cmpx_eq_u16_e32 0x80, v3
; %bb.612:
	s_xor_b32 s1, exec_lo, -1
; %bb.613:
	s_or_b32 exec_lo, exec_lo, s26
	s_delay_alu instid0(SALU_CYCLE_1)
	s_and_b32 s1, s1, exec_lo
	s_or_saveexec_b32 s25, s25
	v_mov_b32_e32 v1, 0x7f800001
	s_xor_b32 exec_lo, exec_lo, s25
	s_cbranch_execnz .LBB15_632
.LBB15_614:
	s_or_b32 exec_lo, exec_lo, s25
	s_and_saveexec_b32 s25, s1
	s_cbranch_execz .LBB15_616
.LBB15_615:
	v_and_b32_e32 v1, 0xffff, v3
	s_delay_alu instid0(VALU_DEP_1) | instskip(SKIP_1) | instid1(VALU_DEP_2)
	v_and_b32_e32 v6, 7, v1
	v_bfe_u32 v9, v1, 3, 4
	v_clz_i32_u32_e32 v7, v6
	s_delay_alu instid0(VALU_DEP_2) | instskip(NEXT) | instid1(VALU_DEP_2)
	v_cmp_eq_u32_e32 vcc_lo, 0, v9
	v_min_u32_e32 v7, 32, v7
	s_delay_alu instid0(VALU_DEP_1) | instskip(NEXT) | instid1(VALU_DEP_1)
	v_subrev_nc_u32_e32 v8, 28, v7
	v_dual_lshlrev_b32 v1, v8, v1 :: v_dual_sub_nc_u32 v7, 29, v7
	s_delay_alu instid0(VALU_DEP_1) | instskip(NEXT) | instid1(VALU_DEP_1)
	v_dual_lshlrev_b32 v3, 24, v3 :: v_dual_bitop2_b32 v1, 7, v1 bitop3:0x40
	v_dual_cndmask_b32 v1, v6, v1, vcc_lo :: v_dual_cndmask_b32 v7, v9, v7, vcc_lo
	s_delay_alu instid0(VALU_DEP_2) | instskip(NEXT) | instid1(VALU_DEP_2)
	v_and_b32_e32 v3, 0x80000000, v3
	v_lshlrev_b32_e32 v1, 20, v1
	s_delay_alu instid0(VALU_DEP_3) | instskip(NEXT) | instid1(VALU_DEP_1)
	v_lshl_add_u32 v6, v7, 23, 0x3b800000
	v_or3_b32 v1, v3, v6, v1
.LBB15_616:
	s_or_b32 exec_lo, exec_lo, s25
.LBB15_617:
	s_mov_b32 s1, -1
.LBB15_618:
	s_mov_b32 s25, 0
.LBB15_619:
	s_delay_alu instid0(SALU_CYCLE_1)
	s_and_b32 vcc_lo, exec_lo, s25
	s_cbranch_vccz .LBB15_654
; %bb.620:
	s_cmp_gt_i32 s0, 22
	s_cbranch_scc0 .LBB15_630
; %bb.621:
	s_cmp_lt_i32 s0, 24
	s_cbranch_scc1 .LBB15_633
; %bb.622:
	s_cmp_gt_i32 s0, 24
	s_cbranch_scc0 .LBB15_634
; %bb.623:
	global_load_u8 v3, v[4:5], off
	s_mov_b32 s1, 0
	s_mov_b32 s25, exec_lo
	s_wait_loadcnt 0x0
	v_cmpx_lt_i16_e32 0x7f, v3
	s_xor_b32 s25, exec_lo, s25
	s_cbranch_execz .LBB15_646
; %bb.624:
	s_mov_b32 s1, -1
	s_mov_b32 s26, exec_lo
	v_cmpx_eq_u16_e32 0x80, v3
; %bb.625:
	s_xor_b32 s1, exec_lo, -1
; %bb.626:
	s_or_b32 exec_lo, exec_lo, s26
	s_delay_alu instid0(SALU_CYCLE_1)
	s_and_b32 s1, s1, exec_lo
	s_or_saveexec_b32 s25, s25
	v_mov_b32_e32 v1, 0x7f800001
	s_xor_b32 exec_lo, exec_lo, s25
	s_cbranch_execnz .LBB15_647
.LBB15_627:
	s_or_b32 exec_lo, exec_lo, s25
	s_and_saveexec_b32 s25, s1
	s_cbranch_execz .LBB15_629
.LBB15_628:
	v_and_b32_e32 v1, 0xffff, v3
	s_delay_alu instid0(VALU_DEP_1) | instskip(SKIP_1) | instid1(VALU_DEP_2)
	v_and_b32_e32 v6, 3, v1
	v_bfe_u32 v9, v1, 2, 5
	v_clz_i32_u32_e32 v7, v6
	s_delay_alu instid0(VALU_DEP_2) | instskip(NEXT) | instid1(VALU_DEP_2)
	v_cmp_eq_u32_e32 vcc_lo, 0, v9
	v_min_u32_e32 v7, 32, v7
	s_delay_alu instid0(VALU_DEP_1) | instskip(NEXT) | instid1(VALU_DEP_1)
	v_subrev_nc_u32_e32 v8, 29, v7
	v_dual_lshlrev_b32 v1, v8, v1 :: v_dual_sub_nc_u32 v7, 30, v7
	s_delay_alu instid0(VALU_DEP_1) | instskip(NEXT) | instid1(VALU_DEP_1)
	v_dual_lshlrev_b32 v3, 24, v3 :: v_dual_bitop2_b32 v1, 3, v1 bitop3:0x40
	v_dual_cndmask_b32 v1, v6, v1, vcc_lo :: v_dual_cndmask_b32 v7, v9, v7, vcc_lo
	s_delay_alu instid0(VALU_DEP_2) | instskip(NEXT) | instid1(VALU_DEP_2)
	v_and_b32_e32 v3, 0x80000000, v3
	v_lshlrev_b32_e32 v1, 21, v1
	s_delay_alu instid0(VALU_DEP_3) | instskip(NEXT) | instid1(VALU_DEP_1)
	v_lshl_add_u32 v6, v7, 23, 0x37800000
	v_or3_b32 v1, v3, v6, v1
.LBB15_629:
	s_or_b32 exec_lo, exec_lo, s25
	s_mov_b32 s1, 0
	s_branch .LBB15_635
.LBB15_630:
	s_mov_b32 s25, -1
                                        ; implicit-def: $vgpr1
	s_branch .LBB15_641
.LBB15_631:
	s_or_saveexec_b32 s25, s25
	v_mov_b32_e32 v1, 0x7f800001
	s_xor_b32 exec_lo, exec_lo, s25
	s_cbranch_execz .LBB15_614
.LBB15_632:
	v_cmp_ne_u16_e32 vcc_lo, 0, v3
	v_mov_b32_e32 v1, 0
	s_and_not1_b32 s1, s1, exec_lo
	s_and_b32 s26, vcc_lo, exec_lo
	s_delay_alu instid0(SALU_CYCLE_1)
	s_or_b32 s1, s1, s26
	s_or_b32 exec_lo, exec_lo, s25
	s_and_saveexec_b32 s25, s1
	s_cbranch_execnz .LBB15_615
	s_branch .LBB15_616
.LBB15_633:
	s_mov_b32 s1, -1
                                        ; implicit-def: $vgpr1
	s_branch .LBB15_638
.LBB15_634:
	s_mov_b32 s1, -1
                                        ; implicit-def: $vgpr1
.LBB15_635:
	s_delay_alu instid0(SALU_CYCLE_1)
	s_and_b32 vcc_lo, exec_lo, s1
	s_cbranch_vccz .LBB15_637
; %bb.636:
	s_wait_loadcnt 0x0
	global_load_u8 v1, v[4:5], off
	s_wait_loadcnt 0x0
	v_lshlrev_b32_e32 v1, 24, v1
	s_delay_alu instid0(VALU_DEP_1) | instskip(NEXT) | instid1(VALU_DEP_1)
	v_and_b32_e32 v3, 0x7f000000, v1
	v_clz_i32_u32_e32 v6, v3
	v_cmp_ne_u32_e32 vcc_lo, 0, v3
	v_add_nc_u32_e32 v8, 0x1000000, v3
	s_delay_alu instid0(VALU_DEP_3) | instskip(NEXT) | instid1(VALU_DEP_1)
	v_min_u32_e32 v6, 32, v6
	v_sub_nc_u32_e64 v6, v6, 4 clamp
	s_delay_alu instid0(VALU_DEP_1) | instskip(NEXT) | instid1(VALU_DEP_1)
	v_dual_lshlrev_b32 v7, v6, v3 :: v_dual_lshlrev_b32 v6, 23, v6
	v_lshrrev_b32_e32 v7, 4, v7
	s_delay_alu instid0(VALU_DEP_1) | instskip(NEXT) | instid1(VALU_DEP_1)
	v_dual_sub_nc_u32 v6, v7, v6 :: v_dual_ashrrev_i32 v7, 8, v8
	v_add_nc_u32_e32 v6, 0x3c000000, v6
	s_delay_alu instid0(VALU_DEP_1) | instskip(NEXT) | instid1(VALU_DEP_1)
	v_and_or_b32 v6, 0x7f800000, v7, v6
	v_cndmask_b32_e32 v3, 0, v6, vcc_lo
	s_delay_alu instid0(VALU_DEP_1)
	v_and_or_b32 v1, 0x80000000, v1, v3
.LBB15_637:
	s_mov_b32 s1, 0
.LBB15_638:
	s_delay_alu instid0(SALU_CYCLE_1)
	s_and_not1_b32 vcc_lo, exec_lo, s1
	s_cbranch_vccnz .LBB15_640
; %bb.639:
	s_wait_loadcnt 0x0
	global_load_u8 v1, v[4:5], off
	s_wait_loadcnt 0x0
	v_lshlrev_b32_e32 v3, 25, v1
	v_lshlrev_b16 v1, 8, v1
	s_delay_alu instid0(VALU_DEP_1) | instskip(SKIP_1) | instid1(VALU_DEP_2)
	v_and_or_b32 v7, 0x7f00, v1, 0.5
	v_bfe_i32 v1, v1, 0, 16
	v_add_f32_e32 v7, -0.5, v7
	v_lshrrev_b32_e32 v6, 4, v3
	v_cmp_gt_u32_e32 vcc_lo, 0x8000000, v3
	s_delay_alu instid0(VALU_DEP_2) | instskip(NEXT) | instid1(VALU_DEP_1)
	v_or_b32_e32 v6, 0x70000000, v6
	v_mul_f32_e32 v6, 0x7800000, v6
	s_delay_alu instid0(VALU_DEP_1) | instskip(NEXT) | instid1(VALU_DEP_1)
	v_cndmask_b32_e32 v3, v6, v7, vcc_lo
	v_and_or_b32 v1, 0x80000000, v1, v3
.LBB15_640:
	s_mov_b32 s25, 0
	s_mov_b32 s1, -1
.LBB15_641:
	s_and_not1_b32 vcc_lo, exec_lo, s25
	s_cbranch_vccnz .LBB15_654
; %bb.642:
	s_cmp_gt_i32 s0, 14
	s_cbranch_scc0 .LBB15_645
; %bb.643:
	s_cmp_eq_u32 s0, 15
	s_cbranch_scc0 .LBB15_648
; %bb.644:
	s_wait_loadcnt 0x0
	global_load_u16 v1, v[4:5], off
	s_mov_b32 s1, -1
	s_mov_b32 s24, 0
	s_wait_loadcnt 0x0
	v_lshlrev_b32_e32 v1, 16, v1
	s_branch .LBB15_649
.LBB15_645:
	s_mov_b32 s25, -1
                                        ; implicit-def: $vgpr1
	s_branch .LBB15_650
.LBB15_646:
	s_or_saveexec_b32 s25, s25
	v_mov_b32_e32 v1, 0x7f800001
	s_xor_b32 exec_lo, exec_lo, s25
	s_cbranch_execz .LBB15_627
.LBB15_647:
	v_cmp_ne_u16_e32 vcc_lo, 0, v3
	v_mov_b32_e32 v1, 0
	s_and_not1_b32 s1, s1, exec_lo
	s_and_b32 s26, vcc_lo, exec_lo
	s_delay_alu instid0(SALU_CYCLE_1)
	s_or_b32 s1, s1, s26
	s_or_b32 exec_lo, exec_lo, s25
	s_and_saveexec_b32 s25, s1
	s_cbranch_execnz .LBB15_628
	s_branch .LBB15_629
.LBB15_648:
	s_mov_b32 s24, -1
                                        ; implicit-def: $vgpr1
.LBB15_649:
	s_mov_b32 s25, 0
.LBB15_650:
	s_delay_alu instid0(SALU_CYCLE_1)
	s_and_b32 vcc_lo, exec_lo, s25
	s_cbranch_vccz .LBB15_654
; %bb.651:
	s_cmp_eq_u32 s0, 11
	s_cbranch_scc0 .LBB15_653
; %bb.652:
	s_wait_loadcnt 0x0
	global_load_u8 v1, v[4:5], off
	s_mov_b32 s24, 0
	s_mov_b32 s1, -1
	s_wait_loadcnt 0x0
	v_cmp_ne_u16_e32 vcc_lo, 0, v1
	v_cndmask_b32_e64 v1, 0, 1.0, vcc_lo
	s_branch .LBB15_654
.LBB15_653:
	s_mov_b32 s24, -1
                                        ; implicit-def: $vgpr1
.LBB15_654:
	s_mov_b32 s25, 0
.LBB15_655:
	s_delay_alu instid0(SALU_CYCLE_1)
	s_and_b32 vcc_lo, exec_lo, s25
	s_cbranch_vccz .LBB15_704
; %bb.656:
	s_cmp_lt_i32 s0, 5
	s_cbranch_scc1 .LBB15_661
; %bb.657:
	s_cmp_lt_i32 s0, 8
	s_cbranch_scc1 .LBB15_662
; %bb.658:
	s_cmp_lt_i32 s0, 9
	s_cbranch_scc1 .LBB15_663
; %bb.659:
	s_cmp_gt_i32 s0, 9
	s_cbranch_scc0 .LBB15_664
; %bb.660:
	global_load_b64 v[6:7], v[4:5], off
	s_mov_b32 s1, 0
	s_wait_loadcnt 0x0
	v_cvt_f32_f64_e32 v1, v[6:7]
	s_branch .LBB15_665
.LBB15_661:
	s_mov_b32 s1, -1
                                        ; implicit-def: $vgpr1
	s_branch .LBB15_683
.LBB15_662:
	s_mov_b32 s1, -1
                                        ; implicit-def: $vgpr1
	s_branch .LBB15_671
.LBB15_663:
	s_mov_b32 s1, -1
                                        ; implicit-def: $vgpr1
	s_branch .LBB15_668
.LBB15_664:
	s_mov_b32 s1, -1
                                        ; implicit-def: $vgpr1
.LBB15_665:
	s_delay_alu instid0(SALU_CYCLE_1)
	s_and_not1_b32 vcc_lo, exec_lo, s1
	s_cbranch_vccnz .LBB15_667
; %bb.666:
	s_wait_loadcnt 0x0
	global_load_b32 v1, v[4:5], off
.LBB15_667:
	s_mov_b32 s1, 0
.LBB15_668:
	s_delay_alu instid0(SALU_CYCLE_1)
	s_and_not1_b32 vcc_lo, exec_lo, s1
	s_cbranch_vccnz .LBB15_670
; %bb.669:
	s_wait_loadcnt 0x0
	global_load_b32 v1, v[4:5], off
	s_wait_loadcnt 0x0
	v_cvt_f32_f16_e32 v1, v1
.LBB15_670:
	s_mov_b32 s1, 0
.LBB15_671:
	s_delay_alu instid0(SALU_CYCLE_1)
	s_and_not1_b32 vcc_lo, exec_lo, s1
	s_cbranch_vccnz .LBB15_682
; %bb.672:
	s_cmp_lt_i32 s0, 6
	s_cbranch_scc1 .LBB15_675
; %bb.673:
	s_cmp_gt_i32 s0, 6
	s_cbranch_scc0 .LBB15_676
; %bb.674:
	global_load_b64 v[6:7], v[4:5], off
	s_mov_b32 s1, 0
	s_wait_loadcnt 0x0
	v_cvt_f32_f64_e32 v1, v[6:7]
	s_branch .LBB15_677
.LBB15_675:
	s_mov_b32 s1, -1
                                        ; implicit-def: $vgpr1
	s_branch .LBB15_680
.LBB15_676:
	s_mov_b32 s1, -1
                                        ; implicit-def: $vgpr1
.LBB15_677:
	s_delay_alu instid0(SALU_CYCLE_1)
	s_and_not1_b32 vcc_lo, exec_lo, s1
	s_cbranch_vccnz .LBB15_679
; %bb.678:
	s_wait_loadcnt 0x0
	global_load_b32 v1, v[4:5], off
.LBB15_679:
	s_mov_b32 s1, 0
.LBB15_680:
	s_delay_alu instid0(SALU_CYCLE_1)
	s_and_not1_b32 vcc_lo, exec_lo, s1
	s_cbranch_vccnz .LBB15_682
; %bb.681:
	s_wait_loadcnt 0x0
	global_load_u16 v1, v[4:5], off
	s_wait_loadcnt 0x0
	v_cvt_f32_f16_e32 v1, v1
.LBB15_682:
	s_mov_b32 s1, 0
.LBB15_683:
	s_delay_alu instid0(SALU_CYCLE_1)
	s_and_not1_b32 vcc_lo, exec_lo, s1
	s_cbranch_vccnz .LBB15_703
; %bb.684:
	s_cmp_lt_i32 s0, 2
	s_cbranch_scc1 .LBB15_688
; %bb.685:
	s_cmp_lt_i32 s0, 3
	s_cbranch_scc1 .LBB15_689
; %bb.686:
	s_cmp_gt_i32 s0, 3
	s_cbranch_scc0 .LBB15_690
; %bb.687:
	global_load_b64 v[6:7], v[4:5], off
	s_mov_b32 s1, 0
	s_wait_loadcnt 0x0
	v_xor_b32_e32 v1, v6, v7
	v_cls_i32_e32 v3, v7
	s_delay_alu instid0(VALU_DEP_2) | instskip(NEXT) | instid1(VALU_DEP_1)
	v_ashrrev_i32_e32 v1, 31, v1
	v_add_nc_u32_e32 v1, 32, v1
	s_delay_alu instid0(VALU_DEP_1) | instskip(NEXT) | instid1(VALU_DEP_1)
	v_add_min_u32_e64 v1, v3, -1, v1
	v_lshlrev_b64_e32 v[6:7], v1, v[6:7]
	v_sub_nc_u32_e32 v1, 32, v1
	s_delay_alu instid0(VALU_DEP_2) | instskip(NEXT) | instid1(VALU_DEP_1)
	v_min_u32_e32 v3, 1, v6
	v_or_b32_e32 v3, v7, v3
	s_delay_alu instid0(VALU_DEP_1) | instskip(NEXT) | instid1(VALU_DEP_1)
	v_cvt_f32_i32_e32 v3, v3
	v_ldexp_f32 v1, v3, v1
	s_branch .LBB15_691
.LBB15_688:
	s_mov_b32 s1, -1
                                        ; implicit-def: $vgpr1
	s_branch .LBB15_697
.LBB15_689:
	s_mov_b32 s1, -1
                                        ; implicit-def: $vgpr1
	s_branch .LBB15_694
.LBB15_690:
	s_mov_b32 s1, -1
                                        ; implicit-def: $vgpr1
.LBB15_691:
	s_delay_alu instid0(SALU_CYCLE_1)
	s_and_not1_b32 vcc_lo, exec_lo, s1
	s_cbranch_vccnz .LBB15_693
; %bb.692:
	s_wait_loadcnt 0x0
	global_load_b32 v1, v[4:5], off
	s_wait_loadcnt 0x0
	v_cvt_f32_i32_e32 v1, v1
.LBB15_693:
	s_mov_b32 s1, 0
.LBB15_694:
	s_delay_alu instid0(SALU_CYCLE_1)
	s_and_not1_b32 vcc_lo, exec_lo, s1
	s_cbranch_vccnz .LBB15_696
; %bb.695:
	s_wait_loadcnt 0x0
	global_load_i16 v1, v[4:5], off
	s_wait_loadcnt 0x0
	v_cvt_f32_i32_e32 v1, v1
.LBB15_696:
	s_mov_b32 s1, 0
.LBB15_697:
	s_delay_alu instid0(SALU_CYCLE_1)
	s_and_not1_b32 vcc_lo, exec_lo, s1
	s_cbranch_vccnz .LBB15_703
; %bb.698:
	s_cmp_gt_i32 s0, 0
	s_mov_b32 s0, 0
	s_cbranch_scc0 .LBB15_700
; %bb.699:
	s_wait_loadcnt 0x0
	global_load_i8 v1, v[4:5], off
	s_wait_loadcnt 0x0
	v_cvt_f32_i32_e32 v1, v1
	s_branch .LBB15_701
.LBB15_700:
	s_mov_b32 s0, -1
                                        ; implicit-def: $vgpr1
.LBB15_701:
	s_delay_alu instid0(SALU_CYCLE_1)
	s_and_not1_b32 vcc_lo, exec_lo, s0
	s_cbranch_vccnz .LBB15_703
; %bb.702:
	s_wait_loadcnt 0x0
	global_load_u8 v1, v[4:5], off
	s_wait_loadcnt 0x0
	v_cvt_f32_ubyte0_e32 v1, v1
.LBB15_703:
	s_mov_b32 s1, -1
.LBB15_704:
	s_delay_alu instid0(SALU_CYCLE_1)
	s_and_not1_b32 vcc_lo, exec_lo, s1
	s_cbranch_vccnz .LBB15_716
; %bb.705:
	s_wait_loadcnt 0x0
	s_delay_alu instid0(VALU_DEP_1)
	v_and_b32_e32 v3, 0x7fffffff, v1
                                        ; implicit-def: $vgpr5
                                        ; implicit-def: $vgpr4
	s_mov_b32 s1, exec_lo
	s_wait_xcnt 0x0
	v_cmpx_ngt_f32_e64 0x48000000, |v1|
	s_xor_b32 s25, exec_lo, s1
	s_cbranch_execz .LBB15_707
; %bb.706:
	s_mov_b32 s0, 0x7fffff
	v_mov_b32_e32 v5, 0
	v_and_or_b32 v4, v3, s0, 0x800000
	s_mov_b64 s[0:1], 0xfe5163ab
	s_delay_alu instid0(VALU_DEP_1) | instid1(SALU_CYCLE_1)
	v_mul_u64_e32 v[6:7], s[0:1], v[4:5]
	s_delay_alu instid0(VALU_DEP_1) | instskip(SKIP_2) | instid1(VALU_DEP_3)
	v_dual_mov_b32 v8, v7 :: v_dual_mov_b32 v9, v5
	v_dual_mov_b32 v11, v5 :: v_dual_mov_b32 v13, v5
	v_dual_mov_b32 v15, v5 :: v_dual_lshrrev_b32 v7, 23, v3
	v_mad_nc_u64_u32 v[8:9], 0x3c439041, v4, v[8:9]
	s_delay_alu instid0(VALU_DEP_1) | instskip(NEXT) | instid1(VALU_DEP_1)
	v_mov_b32_e32 v10, v9
	v_mad_nc_u64_u32 v[10:11], 0xdb629599, v4, v[10:11]
	s_delay_alu instid0(VALU_DEP_1) | instskip(NEXT) | instid1(VALU_DEP_1)
	v_mov_b32_e32 v12, v11
	;; [unrolled: 3-line block ×3, first 2 shown]
	v_mad_nc_u64_u32 v[14:15], 0xfc2757d1, v4, v[14:15]
	s_delay_alu instid0(VALU_DEP_1) | instskip(NEXT) | instid1(VALU_DEP_1)
	v_dual_mov_b32 v17, v5 :: v_dual_mov_b32 v16, v15
	v_mad_nc_u64_u32 v[16:17], 0x4e441529, v4, v[16:17]
	s_delay_alu instid0(VALU_DEP_1) | instskip(NEXT) | instid1(VALU_DEP_1)
	v_dual_mov_b32 v18, v17 :: v_dual_add_nc_u32 v7, 0xffffff88, v7
	v_cmp_lt_u32_e32 vcc_lo, 63, v7
	v_mov_b32_e32 v19, v5
	v_cndmask_b32_e64 v9, 0, 0xffffffc0, vcc_lo
	s_delay_alu instid0(VALU_DEP_2) | instskip(SKIP_1) | instid1(VALU_DEP_3)
	v_mad_nc_u64_u32 v[4:5], 0xa2f9836e, v4, v[18:19]
	v_dual_cndmask_b32 v11, v16, v12, vcc_lo :: v_dual_cndmask_b32 v13, v14, v10, vcc_lo
	v_dual_cndmask_b32 v8, v12, v8 :: v_dual_add_nc_u32 v7, v9, v7
	v_cndmask_b32_e32 v6, v10, v6, vcc_lo
	s_delay_alu instid0(VALU_DEP_2) | instskip(SKIP_1) | instid1(VALU_DEP_2)
	v_cmp_lt_u32_e64 s0, 31, v7
	v_dual_cndmask_b32 v4, v4, v14 :: v_dual_cndmask_b32 v5, v5, v16
	v_cndmask_b32_e64 v9, 0, 0xffffffe0, s0
	s_delay_alu instid0(VALU_DEP_4) | instskip(NEXT) | instid1(VALU_DEP_2)
	v_dual_cndmask_b32 v12, v13, v8, s0 :: v_dual_cndmask_b32 v6, v8, v6, s0
	v_add_nc_u32_e32 v7, v9, v7
	s_delay_alu instid0(VALU_DEP_1) | instskip(NEXT) | instid1(VALU_DEP_1)
	v_cmp_lt_u32_e64 s1, 31, v7
	v_cndmask_b32_e64 v9, 0, 0xffffffe0, s1
	s_delay_alu instid0(VALU_DEP_1) | instskip(SKIP_1) | instid1(VALU_DEP_2)
	v_dual_cndmask_b32 v6, v12, v6, s1 :: v_dual_add_nc_u32 v7, v9, v7
	v_dual_cndmask_b32 v9, v4, v11, s0 :: v_dual_cndmask_b32 v4, v5, v4, s0
	v_dual_cndmask_b32 v5, v11, v13, s0 :: v_dual_sub_nc_u32 v11, 32, v7
	v_cmp_eq_u32_e32 vcc_lo, 0, v7
	s_delay_alu instid0(VALU_DEP_3) | instskip(NEXT) | instid1(VALU_DEP_3)
	v_cndmask_b32_e64 v4, v4, v9, s1
	v_cndmask_b32_e64 v9, v9, v5, s1
	;; [unrolled: 1-line block ×3, first 2 shown]
	s_delay_alu instid0(VALU_DEP_2) | instskip(NEXT) | instid1(VALU_DEP_2)
	v_alignbit_b32 v13, v4, v9, v11
	v_alignbit_b32 v10, v9, v5, v11
	;; [unrolled: 1-line block ×3, first 2 shown]
	s_delay_alu instid0(VALU_DEP_2) | instskip(NEXT) | instid1(VALU_DEP_2)
	v_dual_cndmask_b32 v4, v13, v4 :: v_dual_cndmask_b32 v7, v10, v9
	v_cndmask_b32_e32 v5, v11, v5, vcc_lo
	s_delay_alu instid0(VALU_DEP_2) | instskip(NEXT) | instid1(VALU_DEP_3)
	v_bfe_u32 v8, v4, 29, 1
	v_alignbit_b32 v9, v4, v7, 30
	s_delay_alu instid0(VALU_DEP_3) | instskip(SKIP_1) | instid1(VALU_DEP_4)
	v_alignbit_b32 v7, v7, v5, 30
	v_alignbit_b32 v5, v5, v6, 30
	v_sub_nc_u32_e32 v10, 0, v8
	s_delay_alu instid0(VALU_DEP_1) | instskip(NEXT) | instid1(VALU_DEP_4)
	v_xor_b32_e32 v9, v9, v10
	v_xor_b32_e32 v6, v7, v10
	s_delay_alu instid0(VALU_DEP_4) | instskip(NEXT) | instid1(VALU_DEP_3)
	v_dual_lshrrev_b32 v10, 29, v4 :: v_dual_bitop2_b32 v5, v5, v10 bitop3:0x14
	v_clz_i32_u32_e32 v11, v9
	s_delay_alu instid0(VALU_DEP_1) | instskip(NEXT) | instid1(VALU_DEP_1)
	v_min_u32_e32 v11, 32, v11
	v_dual_sub_nc_u32 v7, 31, v11 :: v_dual_lshlrev_b32 v12, 23, v11
	s_delay_alu instid0(VALU_DEP_1) | instskip(SKIP_2) | instid1(VALU_DEP_2)
	v_alignbit_b32 v9, v9, v6, v7
	v_alignbit_b32 v5, v6, v5, v7
	v_lshlrev_b32_e32 v6, 31, v10
	v_alignbit_b32 v7, v9, v5, 9
	s_delay_alu instid0(VALU_DEP_2) | instskip(SKIP_1) | instid1(VALU_DEP_3)
	v_dual_lshrrev_b32 v9, 9, v9 :: v_dual_bitop2_b32 v10, 0.5, v6 bitop3:0x54
	v_or_b32_e32 v6, 0x33000000, v6
	v_clz_i32_u32_e32 v13, v7
	s_delay_alu instid0(VALU_DEP_3) | instskip(NEXT) | instid1(VALU_DEP_2)
	v_sub_nc_u32_e32 v10, v10, v12
	v_min_u32_e32 v12, 32, v13
	s_delay_alu instid0(VALU_DEP_1) | instskip(NEXT) | instid1(VALU_DEP_3)
	v_add_lshl_u32 v11, v12, v11, 23
	v_or_b32_e32 v9, v9, v10
	v_not_b32_e32 v10, v12
	s_delay_alu instid0(VALU_DEP_2) | instskip(NEXT) | instid1(VALU_DEP_2)
	v_dual_mul_f32 v13, 0x3fc90fda, v9 :: v_dual_sub_nc_u32 v6, v6, v11
	v_alignbit_b32 v5, v7, v5, v10
	s_delay_alu instid0(VALU_DEP_2) | instskip(NEXT) | instid1(VALU_DEP_2)
	v_fma_f32 v7, 0x3fc90fda, v9, -v13
	v_lshrrev_b32_e32 v5, 9, v5
	s_delay_alu instid0(VALU_DEP_2) | instskip(NEXT) | instid1(VALU_DEP_2)
	v_fmamk_f32 v7, v9, 0x33a22168, v7
	v_or_b32_e32 v5, v6, v5
	s_delay_alu instid0(VALU_DEP_1) | instskip(NEXT) | instid1(VALU_DEP_1)
	v_fmac_f32_e32 v7, 0x3fc90fda, v5
	v_dual_add_f32 v4, v13, v7 :: v_dual_lshrrev_b32 v5, 30, v4
	s_delay_alu instid0(VALU_DEP_1)
	v_add_nc_u32_e32 v5, v8, v5
.LBB15_707:
	s_and_not1_saveexec_b32 s0, s25
; %bb.708:
	v_mul_f32_e64 v4, 0x3f22f983, |v1|
	s_delay_alu instid0(VALU_DEP_1) | instskip(NEXT) | instid1(VALU_DEP_1)
	v_rndne_f32_e32 v5, v4
	v_fma_f32 v4, 0xbfc90fda, v5, |v1|
	s_delay_alu instid0(VALU_DEP_1) | instskip(NEXT) | instid1(VALU_DEP_1)
	v_fmamk_f32 v4, v5, 0xb3a22168, v4
	v_fmamk_f32 v4, v5, 0xa7c234c4, v4
	v_cvt_i32_f32_e32 v5, v5
; %bb.709:
	s_or_b32 exec_lo, exec_lo, s0
	s_delay_alu instid0(VALU_DEP_1) | instskip(SKIP_3) | instid1(VALU_DEP_1)
	v_dual_mul_f32 v6, v4, v4 :: v_dual_bitop2_b32 v9, 1, v5 bitop3:0x40
	s_mov_b32 s0, 0xb94c1982
	s_mov_b32 s1, 0x37d75334
	;; [unrolled: 1-line block ×3, first 2 shown]
	v_fmaak_f32 v7, s0, v6, 0x3c0881c4
	v_cmp_eq_u32_e32 vcc_lo, 0, v9
	s_mov_b32 s25, -1
	s_mov_b32 s0, s42
	v_lshlrev_b32_e32 v5, 30, v5
	v_fmaak_f32 v7, v6, v7, 0xbe2aaa9d
	v_fmaak_f32 v8, s1, v6, 0xbab64f3b
	s_and_b32 s1, s34, 0xff
	s_delay_alu instid0(SALU_CYCLE_1) | instskip(NEXT) | instid1(VALU_DEP_1)
	s_cmp_lt_i32 s1, 11
	v_dual_mul_f32 v7, v6, v7 :: v_dual_fmaak_f32 v8, v6, v8, 0x3d2aabf7
	v_and_b32_e32 v5, 0x80000000, v5
	s_delay_alu instid0(VALU_DEP_2) | instskip(NEXT) | instid1(VALU_DEP_3)
	v_dual_fmac_f32 v4, v4, v7 :: v_dual_bitop2_b32 v7, v3, v1 bitop3:0x14
	v_dual_fmaak_f32 v8, v6, v8, 0xbf000004 :: v_dual_mov_b32 v3, 0
	s_delay_alu instid0(VALU_DEP_1) | instskip(NEXT) | instid1(VALU_DEP_2)
	v_fma_f32 v6, v6, v8, 1.0
	v_add_nc_u64_e32 v[2:3], s[4:5], v[2:3]
	s_delay_alu instid0(VALU_DEP_2) | instskip(SKIP_1) | instid1(VALU_DEP_2)
	v_cndmask_b32_e32 v4, v6, v4, vcc_lo
	v_cmp_class_f32_e64 vcc_lo, v1, 0x1f8
	v_xor3_b32 v4, v7, v5, v4
	s_delay_alu instid0(VALU_DEP_1)
	v_cndmask_b32_e32 v4, 0x7fc00000, v4, vcc_lo
	s_cbranch_scc1 .LBB15_717
; %bb.710:
	s_and_b32 s25, 0xffff, s1
	s_delay_alu instid0(SALU_CYCLE_1)
	s_cmp_gt_i32 s25, 25
	s_cbranch_scc0 .LBB15_758
; %bb.711:
	s_cmp_gt_i32 s25, 28
	s_cbranch_scc0 .LBB15_759
; %bb.712:
	;; [unrolled: 3-line block ×4, first 2 shown]
	s_mov_b32 s27, 0
	s_mov_b32 s0, -1
	s_cmp_eq_u32 s25, 46
	s_cbranch_scc0 .LBB15_762
; %bb.715:
	v_bfe_u32 v1, v4, 16, 1
	v_cmp_o_f32_e32 vcc_lo, v4, v4
	s_mov_b32 s26, -1
	s_mov_b32 s0, 0
	s_delay_alu instid0(VALU_DEP_2) | instskip(NEXT) | instid1(VALU_DEP_1)
	v_add3_u32 v1, v4, v1, 0x7fff
	v_lshrrev_b32_e32 v1, 16, v1
	s_delay_alu instid0(VALU_DEP_1)
	v_cndmask_b32_e32 v1, 0x7fc0, v1, vcc_lo
	global_store_b32 v[2:3], v1, off
	s_branch .LBB15_762
.LBB15_716:
	s_mov_b32 s1, 0
	s_mov_b32 s0, s42
	s_branch .LBB15_757
.LBB15_717:
	s_and_b32 vcc_lo, exec_lo, s25
	s_cbranch_vccz .LBB15_831
; %bb.718:
	s_and_b32 s1, 0xffff, s1
	s_mov_b32 s25, -1
	s_cmp_lt_i32 s1, 5
	s_cbranch_scc1 .LBB15_739
; %bb.719:
	s_cmp_lt_i32 s1, 8
	s_cbranch_scc1 .LBB15_729
; %bb.720:
	;; [unrolled: 3-line block ×3, first 2 shown]
	s_cmp_gt_i32 s1, 9
	s_cbranch_scc0 .LBB15_723
; %bb.722:
	s_wait_xcnt 0x0
	v_cvt_f64_f32_e32 v[6:7], v4
	v_mov_b32_e32 v8, 0
	s_mov_b32 s25, 0
	s_delay_alu instid0(VALU_DEP_1)
	v_mov_b32_e32 v9, v8
	global_store_b128 v[2:3], v[6:9], off
.LBB15_723:
	s_and_not1_b32 vcc_lo, exec_lo, s25
	s_cbranch_vccnz .LBB15_725
; %bb.724:
	s_wait_xcnt 0x0
	v_mov_b32_e32 v5, 0
	global_store_b64 v[2:3], v[4:5], off
.LBB15_725:
	s_mov_b32 s25, 0
.LBB15_726:
	s_delay_alu instid0(SALU_CYCLE_1)
	s_and_not1_b32 vcc_lo, exec_lo, s25
	s_cbranch_vccnz .LBB15_728
; %bb.727:
	s_wait_xcnt 0x0
	v_cvt_f16_f32_e32 v1, v4
	s_delay_alu instid0(VALU_DEP_1)
	v_and_b32_e32 v1, 0xffff, v1
	global_store_b32 v[2:3], v1, off
.LBB15_728:
	s_mov_b32 s25, 0
.LBB15_729:
	s_delay_alu instid0(SALU_CYCLE_1)
	s_and_not1_b32 vcc_lo, exec_lo, s25
	s_cbranch_vccnz .LBB15_738
; %bb.730:
	s_cmp_lt_i32 s1, 6
	s_mov_b32 s25, -1
	s_cbranch_scc1 .LBB15_736
; %bb.731:
	s_cmp_gt_i32 s1, 6
	s_cbranch_scc0 .LBB15_733
; %bb.732:
	s_wait_xcnt 0x0
	v_cvt_f64_f32_e32 v[6:7], v4
	s_mov_b32 s25, 0
	global_store_b64 v[2:3], v[6:7], off
.LBB15_733:
	s_and_not1_b32 vcc_lo, exec_lo, s25
	s_cbranch_vccnz .LBB15_735
; %bb.734:
	global_store_b32 v[2:3], v4, off
.LBB15_735:
	s_mov_b32 s25, 0
.LBB15_736:
	s_delay_alu instid0(SALU_CYCLE_1)
	s_and_not1_b32 vcc_lo, exec_lo, s25
	s_cbranch_vccnz .LBB15_738
; %bb.737:
	s_wait_xcnt 0x0
	v_cvt_f16_f32_e32 v1, v4
	global_store_b16 v[2:3], v1, off
.LBB15_738:
	s_mov_b32 s25, 0
.LBB15_739:
	s_delay_alu instid0(SALU_CYCLE_1)
	s_and_not1_b32 vcc_lo, exec_lo, s25
	s_cbranch_vccnz .LBB15_755
; %bb.740:
	s_cmp_lt_i32 s1, 2
	s_mov_b32 s25, -1
	s_cbranch_scc1 .LBB15_750
; %bb.741:
	s_cmp_lt_i32 s1, 3
	s_cbranch_scc1 .LBB15_747
; %bb.742:
	s_cmp_gt_i32 s1, 3
	s_cbranch_scc0 .LBB15_744
; %bb.743:
	s_wait_xcnt 0x0
	v_trunc_f32_e32 v1, v4
	s_mov_b32 s25, 0
	s_delay_alu instid0(VALU_DEP_1) | instskip(SKIP_1) | instid1(VALU_DEP_2)
	v_mul_f32_e64 v5, 0x2f800000, |v1|
	v_ashrrev_i32_e32 v6, 31, v1
	v_floor_f32_e32 v5, v5
	s_delay_alu instid0(VALU_DEP_1) | instskip(SKIP_1) | instid1(VALU_DEP_2)
	v_fma_f32 v7, 0xcf800000, v5, |v1|
	v_cvt_u32_f32_e32 v1, v5
	v_cvt_u32_f32_e32 v5, v7
	s_delay_alu instid0(VALU_DEP_2) | instskip(NEXT) | instid1(VALU_DEP_2)
	v_dual_mov_b32 v7, v6 :: v_dual_bitop2_b32 v9, v1, v6 bitop3:0x14
	v_xor_b32_e32 v8, v5, v6
	s_delay_alu instid0(VALU_DEP_1)
	v_sub_nc_u64_e32 v[6:7], v[8:9], v[6:7]
	global_store_b64 v[2:3], v[6:7], off
.LBB15_744:
	s_and_not1_b32 vcc_lo, exec_lo, s25
	s_cbranch_vccnz .LBB15_746
; %bb.745:
	s_wait_xcnt 0x0
	v_cvt_i32_f32_e32 v1, v4
	global_store_b32 v[2:3], v1, off
.LBB15_746:
	s_mov_b32 s25, 0
.LBB15_747:
	s_delay_alu instid0(SALU_CYCLE_1)
	s_and_not1_b32 vcc_lo, exec_lo, s25
	s_cbranch_vccnz .LBB15_749
; %bb.748:
	s_wait_xcnt 0x0
	v_cvt_i32_f32_e32 v1, v4
	global_store_b16 v[2:3], v1, off
.LBB15_749:
	s_mov_b32 s25, 0
.LBB15_750:
	s_delay_alu instid0(SALU_CYCLE_1)
	s_and_not1_b32 vcc_lo, exec_lo, s25
	s_cbranch_vccnz .LBB15_755
; %bb.751:
	s_cmp_gt_i32 s1, 0
	s_mov_b32 s1, -1
	s_cbranch_scc0 .LBB15_753
; %bb.752:
	s_wait_xcnt 0x0
	v_cvt_i32_f32_e32 v1, v4
	s_mov_b32 s1, 0
	global_store_b8 v[2:3], v1, off
.LBB15_753:
	s_and_not1_b32 vcc_lo, exec_lo, s1
	s_cbranch_vccnz .LBB15_755
; %bb.754:
	s_wait_xcnt 0x0
	v_trunc_f32_e32 v1, v4
	s_delay_alu instid0(VALU_DEP_1) | instskip(NEXT) | instid1(VALU_DEP_1)
	v_mul_f32_e64 v4, 0x2f800000, |v1|
	v_floor_f32_e32 v4, v4
	s_delay_alu instid0(VALU_DEP_1) | instskip(SKIP_1) | instid1(VALU_DEP_2)
	v_fma_f32 v4, 0xcf800000, v4, |v1|
	v_ashrrev_i32_e32 v1, 31, v1
	v_cvt_u32_f32_e32 v4, v4
	s_delay_alu instid0(VALU_DEP_1) | instskip(NEXT) | instid1(VALU_DEP_1)
	v_xor_b32_e32 v4, v4, v1
	v_sub_nc_u32_e32 v1, v4, v1
	global_store_b8 v[2:3], v1, off
.LBB15_755:
	s_branch .LBB15_832
.LBB15_756:
	s_mov_b32 s1, 0
.LBB15_757:
                                        ; implicit-def: $vgpr0
	s_branch .LBB15_833
.LBB15_758:
	s_mov_b32 s27, -1
	s_mov_b32 s0, s42
	s_branch .LBB15_789
.LBB15_759:
	s_mov_b32 s27, -1
	s_mov_b32 s0, s42
	s_branch .LBB15_772
.LBB15_760:
	s_mov_b32 s27, -1
	s_mov_b32 s0, s42
	s_branch .LBB15_768
.LBB15_761:
	s_mov_b32 s27, -1
	s_mov_b32 s0, s42
.LBB15_762:
	s_and_b32 vcc_lo, exec_lo, s27
	s_cbranch_vccz .LBB15_767
; %bb.763:
	s_cmp_eq_u32 s25, 44
	s_mov_b32 s0, -1
	s_cbranch_scc0 .LBB15_767
; %bb.764:
	v_bfe_u32 v5, v4, 23, 8
	s_wait_xcnt 0x0
	v_mov_b32_e32 v1, 0xff
	s_mov_b32 s26, exec_lo
	s_delay_alu instid0(VALU_DEP_2)
	v_cmpx_ne_u32_e32 0xff, v5
	s_cbranch_execz .LBB15_766
; %bb.765:
	v_and_b32_e32 v1, 0x400000, v4
	v_and_or_b32 v5, 0x3fffff, v4, v5
	s_delay_alu instid0(VALU_DEP_2) | instskip(NEXT) | instid1(VALU_DEP_2)
	v_cmp_ne_u32_e32 vcc_lo, 0, v1
	v_cmp_ne_u32_e64 s0, 0, v5
	v_lshrrev_b32_e32 v1, 23, v4
	s_and_b32 s0, vcc_lo, s0
	s_delay_alu instid0(SALU_CYCLE_1) | instskip(NEXT) | instid1(VALU_DEP_1)
	v_cndmask_b32_e64 v5, 0, 1, s0
	v_add_nc_u32_e32 v1, v1, v5
.LBB15_766:
	s_or_b32 exec_lo, exec_lo, s26
	s_mov_b32 s26, -1
	s_mov_b32 s0, 0
	global_store_b8 v[2:3], v1, off
.LBB15_767:
	s_mov_b32 s27, 0
.LBB15_768:
	s_delay_alu instid0(SALU_CYCLE_1)
	s_and_b32 vcc_lo, exec_lo, s27
	s_cbranch_vccz .LBB15_771
; %bb.769:
	s_cmp_eq_u32 s25, 29
	s_mov_b32 s0, -1
	s_cbranch_scc0 .LBB15_771
; %bb.770:
	s_wait_xcnt 0x0
	v_trunc_f32_e32 v1, v4
	s_mov_b32 s26, -1
	s_mov_b32 s0, 0
	s_mov_b32 s27, 0
	s_delay_alu instid0(VALU_DEP_1) | instskip(NEXT) | instid1(VALU_DEP_1)
	v_mul_f32_e32 v5, 0x2f800000, v1
	v_floor_f32_e32 v5, v5
	s_delay_alu instid0(VALU_DEP_1) | instskip(SKIP_1) | instid1(VALU_DEP_2)
	v_fmamk_f32 v1, v5, 0xcf800000, v1
	v_cvt_u32_f32_e32 v7, v5
	v_cvt_u32_f32_e32 v6, v1
	global_store_b64 v[2:3], v[6:7], off
	s_branch .LBB15_772
.LBB15_771:
	s_mov_b32 s27, 0
.LBB15_772:
	s_delay_alu instid0(SALU_CYCLE_1)
	s_and_b32 vcc_lo, exec_lo, s27
	s_cbranch_vccz .LBB15_788
; %bb.773:
	s_cmp_lt_i32 s25, 27
	s_mov_b32 s26, -1
	s_cbranch_scc1 .LBB15_779
; %bb.774:
	s_wait_xcnt 0x0
	v_cvt_u32_f32_e32 v1, v4
	s_cmp_gt_i32 s25, 27
	s_cbranch_scc0 .LBB15_776
; %bb.775:
	s_mov_b32 s26, 0
	global_store_b32 v[2:3], v1, off
.LBB15_776:
	s_and_not1_b32 vcc_lo, exec_lo, s26
	s_cbranch_vccnz .LBB15_778
; %bb.777:
	global_store_b16 v[2:3], v1, off
.LBB15_778:
	s_mov_b32 s26, 0
.LBB15_779:
	s_delay_alu instid0(SALU_CYCLE_1)
	s_and_not1_b32 vcc_lo, exec_lo, s26
	s_cbranch_vccnz .LBB15_787
; %bb.780:
	s_wait_xcnt 0x0
	v_and_b32_e32 v1, 0x7fffffff, v4
	v_mov_b32_e32 v5, 0x80
	s_mov_b32 s26, exec_lo
	s_delay_alu instid0(VALU_DEP_2)
	v_cmpx_gt_u32_e32 0x43800000, v1
	s_cbranch_execz .LBB15_786
; %bb.781:
	v_cmp_lt_u32_e32 vcc_lo, 0x3bffffff, v1
	s_mov_b32 s27, 0
                                        ; implicit-def: $vgpr1
	s_and_saveexec_b32 s45, vcc_lo
	s_delay_alu instid0(SALU_CYCLE_1)
	s_xor_b32 s45, exec_lo, s45
	s_cbranch_execz .LBB15_864
; %bb.782:
	v_bfe_u32 v1, v4, 20, 1
	s_mov_b32 s27, exec_lo
	s_delay_alu instid0(VALU_DEP_1) | instskip(NEXT) | instid1(VALU_DEP_1)
	v_add3_u32 v1, v4, v1, 0x487ffff
	v_lshrrev_b32_e32 v1, 20, v1
	s_and_not1_saveexec_b32 s45, s45
	s_cbranch_execnz .LBB15_865
.LBB15_783:
	s_or_b32 exec_lo, exec_lo, s45
	v_mov_b32_e32 v5, 0
	s_and_saveexec_b32 s45, s27
.LBB15_784:
	v_lshrrev_b32_e32 v5, 24, v4
	s_delay_alu instid0(VALU_DEP_1)
	v_and_or_b32 v5, 0x80, v5, v1
.LBB15_785:
	s_or_b32 exec_lo, exec_lo, s45
.LBB15_786:
	s_delay_alu instid0(SALU_CYCLE_1)
	s_or_b32 exec_lo, exec_lo, s26
	global_store_b8 v[2:3], v5, off
.LBB15_787:
	s_mov_b32 s26, -1
.LBB15_788:
	s_mov_b32 s27, 0
.LBB15_789:
	s_delay_alu instid0(SALU_CYCLE_1)
	s_and_b32 vcc_lo, exec_lo, s27
	s_cbranch_vccz .LBB15_830
; %bb.790:
	s_cmp_gt_i32 s25, 22
	s_mov_b32 s27, -1
	s_cbranch_scc0 .LBB15_822
; %bb.791:
	s_cmp_lt_i32 s25, 24
	s_mov_b32 s26, -1
	s_cbranch_scc1 .LBB15_811
; %bb.792:
	s_cmp_gt_i32 s25, 24
	s_cbranch_scc0 .LBB15_800
; %bb.793:
	s_wait_xcnt 0x0
	v_and_b32_e32 v1, 0x7fffffff, v4
	v_mov_b32_e32 v5, 0x80
	s_mov_b32 s26, exec_lo
	s_delay_alu instid0(VALU_DEP_2)
	v_cmpx_gt_u32_e32 0x47800000, v1
	s_cbranch_execz .LBB15_799
; %bb.794:
	v_cmp_lt_u32_e32 vcc_lo, 0x37ffffff, v1
	s_mov_b32 s27, 0
                                        ; implicit-def: $vgpr1
	s_and_saveexec_b32 s45, vcc_lo
	s_delay_alu instid0(SALU_CYCLE_1)
	s_xor_b32 s45, exec_lo, s45
	s_cbranch_execz .LBB15_867
; %bb.795:
	v_bfe_u32 v1, v4, 21, 1
	s_mov_b32 s27, exec_lo
	s_delay_alu instid0(VALU_DEP_1) | instskip(NEXT) | instid1(VALU_DEP_1)
	v_add3_u32 v1, v4, v1, 0x88fffff
	v_lshrrev_b32_e32 v1, 21, v1
	s_and_not1_saveexec_b32 s45, s45
	s_cbranch_execnz .LBB15_868
.LBB15_796:
	s_or_b32 exec_lo, exec_lo, s45
	v_mov_b32_e32 v5, 0
	s_and_saveexec_b32 s45, s27
.LBB15_797:
	v_lshrrev_b32_e32 v5, 24, v4
	s_delay_alu instid0(VALU_DEP_1)
	v_and_or_b32 v5, 0x80, v5, v1
.LBB15_798:
	s_or_b32 exec_lo, exec_lo, s45
.LBB15_799:
	s_delay_alu instid0(SALU_CYCLE_1)
	s_or_b32 exec_lo, exec_lo, s26
	s_mov_b32 s26, 0
	global_store_b8 v[2:3], v5, off
.LBB15_800:
	s_and_b32 vcc_lo, exec_lo, s26
	s_cbranch_vccz .LBB15_810
; %bb.801:
	s_wait_xcnt 0x0
	v_and_b32_e32 v5, 0x7fffffff, v4
	s_mov_b32 s26, exec_lo
                                        ; implicit-def: $vgpr1
	s_delay_alu instid0(VALU_DEP_1)
	v_cmpx_gt_u32_e32 0x43f00000, v5
	s_xor_b32 s26, exec_lo, s26
	s_cbranch_execz .LBB15_807
; %bb.802:
	s_mov_b32 s27, exec_lo
                                        ; implicit-def: $vgpr1
	v_cmpx_lt_u32_e32 0x3c7fffff, v5
	s_xor_b32 s27, exec_lo, s27
; %bb.803:
	v_bfe_u32 v1, v4, 20, 1
	s_delay_alu instid0(VALU_DEP_1) | instskip(NEXT) | instid1(VALU_DEP_1)
	v_add3_u32 v1, v4, v1, 0x407ffff
	v_and_b32_e32 v5, 0xff00000, v1
	v_lshrrev_b32_e32 v1, 20, v1
	s_delay_alu instid0(VALU_DEP_2) | instskip(NEXT) | instid1(VALU_DEP_2)
	v_cmp_ne_u32_e32 vcc_lo, 0x7f00000, v5
	v_cndmask_b32_e32 v1, 0x7e, v1, vcc_lo
; %bb.804:
	s_and_not1_saveexec_b32 s27, s27
; %bb.805:
	v_add_f32_e64 v1, 0x46800000, |v4|
; %bb.806:
	s_or_b32 exec_lo, exec_lo, s27
                                        ; implicit-def: $vgpr5
.LBB15_807:
	s_and_not1_saveexec_b32 s26, s26
; %bb.808:
	v_mov_b32_e32 v1, 0x7f
	v_cmp_lt_u32_e32 vcc_lo, 0x7f800000, v5
	s_delay_alu instid0(VALU_DEP_2)
	v_cndmask_b32_e32 v1, 0x7e, v1, vcc_lo
; %bb.809:
	s_or_b32 exec_lo, exec_lo, s26
	v_lshrrev_b32_e32 v5, 24, v4
	s_delay_alu instid0(VALU_DEP_1)
	v_and_or_b32 v1, 0x80, v5, v1
	global_store_b8 v[2:3], v1, off
.LBB15_810:
	s_mov_b32 s26, 0
.LBB15_811:
	s_delay_alu instid0(SALU_CYCLE_1)
	s_and_not1_b32 vcc_lo, exec_lo, s26
	s_cbranch_vccnz .LBB15_821
; %bb.812:
	s_wait_xcnt 0x0
	v_and_b32_e32 v5, 0x7fffffff, v4
	s_mov_b32 s26, exec_lo
                                        ; implicit-def: $vgpr1
	s_delay_alu instid0(VALU_DEP_1)
	v_cmpx_gt_u32_e32 0x47800000, v5
	s_xor_b32 s26, exec_lo, s26
	s_cbranch_execz .LBB15_818
; %bb.813:
	s_mov_b32 s27, exec_lo
                                        ; implicit-def: $vgpr1
	v_cmpx_lt_u32_e32 0x387fffff, v5
	s_xor_b32 s27, exec_lo, s27
; %bb.814:
	v_bfe_u32 v1, v4, 21, 1
	s_delay_alu instid0(VALU_DEP_1) | instskip(NEXT) | instid1(VALU_DEP_1)
	v_add3_u32 v1, v4, v1, 0x80fffff
	v_lshrrev_b32_e32 v1, 21, v1
; %bb.815:
	s_and_not1_saveexec_b32 s27, s27
; %bb.816:
	v_add_f32_e64 v1, 0x43000000, |v4|
; %bb.817:
	s_or_b32 exec_lo, exec_lo, s27
                                        ; implicit-def: $vgpr5
.LBB15_818:
	s_and_not1_saveexec_b32 s26, s26
; %bb.819:
	v_mov_b32_e32 v1, 0x7f
	v_cmp_lt_u32_e32 vcc_lo, 0x7f800000, v5
	s_delay_alu instid0(VALU_DEP_2)
	v_cndmask_b32_e32 v1, 0x7c, v1, vcc_lo
; %bb.820:
	s_or_b32 exec_lo, exec_lo, s26
	v_lshrrev_b32_e32 v5, 24, v4
	s_delay_alu instid0(VALU_DEP_1)
	v_and_or_b32 v1, 0x80, v5, v1
	global_store_b8 v[2:3], v1, off
.LBB15_821:
	s_mov_b32 s27, 0
	s_mov_b32 s26, -1
.LBB15_822:
	s_and_not1_b32 vcc_lo, exec_lo, s27
	s_cbranch_vccnz .LBB15_830
; %bb.823:
	s_cmp_gt_i32 s25, 14
	s_mov_b32 s27, -1
	s_cbranch_scc0 .LBB15_827
; %bb.824:
	s_cmp_eq_u32 s25, 15
	s_mov_b32 s0, -1
	s_cbranch_scc0 .LBB15_826
; %bb.825:
	s_wait_xcnt 0x0
	v_bfe_u32 v1, v4, 16, 1
	v_cmp_o_f32_e32 vcc_lo, v4, v4
	s_mov_b32 s26, -1
	s_mov_b32 s0, 0
	s_delay_alu instid0(VALU_DEP_2) | instskip(NEXT) | instid1(VALU_DEP_1)
	v_add3_u32 v1, v4, v1, 0x7fff
	v_lshrrev_b32_e32 v1, 16, v1
	s_delay_alu instid0(VALU_DEP_1)
	v_cndmask_b32_e32 v1, 0x7fc0, v1, vcc_lo
	global_store_b16 v[2:3], v1, off
.LBB15_826:
	s_mov_b32 s27, 0
.LBB15_827:
	s_delay_alu instid0(SALU_CYCLE_1)
	s_and_b32 vcc_lo, exec_lo, s27
	s_cbranch_vccz .LBB15_830
; %bb.828:
	s_cmp_eq_u32 s25, 11
	s_mov_b32 s0, -1
	s_cbranch_scc0 .LBB15_830
; %bb.829:
	v_cmp_neq_f32_e32 vcc_lo, 0, v4
	s_mov_b32 s0, 0
	s_mov_b32 s26, -1
	s_wait_xcnt 0x0
	v_cndmask_b32_e64 v1, 0, 1, vcc_lo
	global_store_b8 v[2:3], v1, off
.LBB15_830:
.LBB15_831:
	s_and_not1_b32 vcc_lo, exec_lo, s26
	s_cbranch_vccnz .LBB15_756
.LBB15_832:
	v_add_nc_u32_e32 v0, 0x80, v0
	s_mov_b32 s1, -1
.LBB15_833:
	s_and_not1_b32 s25, s42, exec_lo
	s_and_b32 s0, s0, exec_lo
	s_and_not1_b32 s26, s41, exec_lo
	s_and_b32 s24, s24, exec_lo
	s_or_b32 s27, s25, s0
	s_or_b32 s26, s26, s24
	s_or_not1_b32 s25, s1, exec_lo
.LBB15_834:
	s_wait_xcnt 0x0
	s_or_b32 exec_lo, exec_lo, s44
	s_mov_b32 s0, 0
	s_mov_b32 s1, 0
	;; [unrolled: 1-line block ×3, first 2 shown]
                                        ; implicit-def: $vgpr4_vgpr5
                                        ; implicit-def: $vgpr2
                                        ; implicit-def: $vgpr6
	s_and_saveexec_b32 s44, s25
	s_cbranch_execz .LBB15_936
; %bb.835:
	v_cmp_gt_i32_e32 vcc_lo, s36, v0
	s_mov_b32 s45, s26
	s_mov_b32 s25, 0
                                        ; implicit-def: $vgpr4_vgpr5
                                        ; implicit-def: $vgpr2
                                        ; implicit-def: $vgpr6
	s_and_saveexec_b32 s36, vcc_lo
	s_cbranch_execz .LBB15_935
; %bb.836:
	s_and_not1_b32 vcc_lo, exec_lo, s31
	s_cbranch_vccnz .LBB15_842
; %bb.837:
	s_and_not1_b32 vcc_lo, exec_lo, s38
	s_cbranch_vccnz .LBB15_843
; %bb.838:
	s_add_co_i32 s37, s37, 1
	s_cmp_eq_u32 s29, 2
	s_cbranch_scc1 .LBB15_844
; %bb.839:
	v_dual_mov_b32 v2, 0 :: v_dual_mov_b32 v4, 0
	s_wait_loadcnt 0x0
	v_mov_b32_e32 v1, v0
	s_and_b32 s0, s37, 28
	s_mov_b64 s[24:25], s[2:3]
.LBB15_840:                             ; =>This Inner Loop Header: Depth=1
	s_clause 0x1
	s_load_b256 s[48:55], s[24:25], 0x4
	s_load_b128 s[64:67], s[24:25], 0x24
	s_load_b256 s[56:63], s[22:23], 0x0
	s_add_co_i32 s1, s1, 4
	s_wait_xcnt 0x0
	s_add_nc_u64 s[24:25], s[24:25], 48
	s_cmp_eq_u32 s0, s1
	s_add_nc_u64 s[22:23], s[22:23], 32
	s_wait_kmcnt 0x0
	v_mul_hi_u32 v3, s49, v1
	s_delay_alu instid0(VALU_DEP_1) | instskip(NEXT) | instid1(VALU_DEP_1)
	v_add_nc_u32_e32 v3, v1, v3
	v_lshrrev_b32_e32 v3, s50, v3
	s_delay_alu instid0(VALU_DEP_1) | instskip(NEXT) | instid1(VALU_DEP_1)
	v_mul_hi_u32 v5, s52, v3
	v_add_nc_u32_e32 v5, v3, v5
	s_delay_alu instid0(VALU_DEP_1) | instskip(NEXT) | instid1(VALU_DEP_1)
	v_lshrrev_b32_e32 v5, s53, v5
	v_mul_hi_u32 v6, s55, v5
	s_delay_alu instid0(VALU_DEP_1) | instskip(SKIP_1) | instid1(VALU_DEP_1)
	v_add_nc_u32_e32 v6, v5, v6
	v_mul_lo_u32 v7, v3, s48
	v_sub_nc_u32_e32 v1, v1, v7
	v_mul_lo_u32 v7, v5, s51
	s_delay_alu instid0(VALU_DEP_4) | instskip(NEXT) | instid1(VALU_DEP_3)
	v_lshrrev_b32_e32 v6, s64, v6
	v_mad_u32 v4, v1, s57, v4
	v_mad_u32 v1, v1, s56, v2
	s_delay_alu instid0(VALU_DEP_4) | instskip(NEXT) | instid1(VALU_DEP_4)
	v_sub_nc_u32_e32 v2, v3, v7
	v_mul_hi_u32 v8, s66, v6
	v_mul_lo_u32 v3, v6, s54
	s_delay_alu instid0(VALU_DEP_3) | instskip(SKIP_1) | instid1(VALU_DEP_3)
	v_mad_u32 v4, v2, s59, v4
	v_mad_u32 v2, v2, s58, v1
	v_dual_add_nc_u32 v7, v6, v8 :: v_dual_sub_nc_u32 v3, v5, v3
	s_delay_alu instid0(VALU_DEP_1) | instskip(NEXT) | instid1(VALU_DEP_2)
	v_lshrrev_b32_e32 v1, s67, v7
	v_mad_u32 v4, v3, s61, v4
	s_delay_alu instid0(VALU_DEP_4) | instskip(NEXT) | instid1(VALU_DEP_3)
	v_mad_u32 v2, v3, s60, v2
	v_mul_lo_u32 v5, v1, s65
	s_delay_alu instid0(VALU_DEP_1) | instskip(NEXT) | instid1(VALU_DEP_1)
	v_sub_nc_u32_e32 v3, v6, v5
	v_mad_u32 v4, v3, s63, v4
	s_delay_alu instid0(VALU_DEP_4)
	v_mad_u32 v2, v3, s62, v2
	s_cbranch_scc0 .LBB15_840
; %bb.841:
	s_delay_alu instid0(VALU_DEP_2)
	v_mov_b32_e32 v3, v4
	s_branch .LBB15_845
.LBB15_842:
	s_mov_b32 s0, -1
                                        ; implicit-def: $vgpr4
                                        ; implicit-def: $vgpr2
	s_branch .LBB15_850
.LBB15_843:
	v_dual_mov_b32 v4, 0 :: v_dual_mov_b32 v2, 0
	s_branch .LBB15_849
.LBB15_844:
	v_mov_b64_e32 v[2:3], 0
	s_wait_loadcnt 0x0
	v_mov_b32_e32 v1, v0
                                        ; implicit-def: $vgpr4
.LBB15_845:
	s_and_b32 s24, s37, 3
	s_mov_b32 s1, 0
	s_cmp_eq_u32 s24, 0
	s_cbranch_scc1 .LBB15_849
; %bb.846:
	s_lshl_b32 s22, s0, 3
	s_mov_b32 s23, s1
	s_mul_u64 s[46:47], s[0:1], 12
	s_add_nc_u64 s[22:23], s[2:3], s[22:23]
	s_delay_alu instid0(SALU_CYCLE_1)
	s_add_nc_u64 s[0:1], s[22:23], 0xc4
	s_add_nc_u64 s[22:23], s[2:3], s[46:47]
.LBB15_847:                             ; =>This Inner Loop Header: Depth=1
	s_load_b96 s[48:50], s[22:23], 0x4
	s_load_b64 s[46:47], s[0:1], 0x0
	s_add_co_i32 s24, s24, -1
	s_wait_xcnt 0x0
	s_add_nc_u64 s[22:23], s[22:23], 12
	s_cmp_lg_u32 s24, 0
	s_add_nc_u64 s[0:1], s[0:1], 8
	s_wait_kmcnt 0x0
	v_mul_hi_u32 v4, s49, v1
	s_delay_alu instid0(VALU_DEP_1) | instskip(NEXT) | instid1(VALU_DEP_1)
	v_add_nc_u32_e32 v4, v1, v4
	v_lshrrev_b32_e32 v4, s50, v4
	s_delay_alu instid0(VALU_DEP_1) | instskip(NEXT) | instid1(VALU_DEP_1)
	v_mul_lo_u32 v5, v4, s48
	v_sub_nc_u32_e32 v1, v1, v5
	s_delay_alu instid0(VALU_DEP_1)
	v_mad_u32 v3, v1, s47, v3
	v_mad_u32 v2, v1, s46, v2
	v_mov_b32_e32 v1, v4
	s_cbranch_scc1 .LBB15_847
; %bb.848:
	s_delay_alu instid0(VALU_DEP_3)
	v_mov_b32_e32 v4, v3
.LBB15_849:
	s_mov_b32 s0, 0
.LBB15_850:
	s_delay_alu instid0(SALU_CYCLE_1)
	s_and_not1_b32 vcc_lo, exec_lo, s0
	s_cbranch_vccnz .LBB15_853
; %bb.851:
	s_wait_loadcnt 0x0
	v_mov_b32_e32 v1, 0
	s_and_not1_b32 vcc_lo, exec_lo, s35
	s_delay_alu instid0(VALU_DEP_1) | instskip(NEXT) | instid1(VALU_DEP_1)
	v_mul_u64_e32 v[2:3], s[16:17], v[0:1]
	v_add_nc_u32_e32 v2, v0, v3
	s_delay_alu instid0(VALU_DEP_1) | instskip(NEXT) | instid1(VALU_DEP_1)
	v_lshrrev_b32_e32 v6, s14, v2
	v_mul_lo_u32 v2, v6, s12
	s_delay_alu instid0(VALU_DEP_1) | instskip(NEXT) | instid1(VALU_DEP_1)
	v_sub_nc_u32_e32 v0, v0, v2
	v_mul_lo_u32 v4, v0, s9
	v_mul_lo_u32 v2, v0, s8
	s_cbranch_vccnz .LBB15_853
; %bb.852:
	v_mov_b32_e32 v7, v1
	s_delay_alu instid0(VALU_DEP_1) | instskip(NEXT) | instid1(VALU_DEP_1)
	v_mul_u64_e32 v[0:1], s[20:21], v[6:7]
	v_add_nc_u32_e32 v0, v6, v1
	s_delay_alu instid0(VALU_DEP_1) | instskip(NEXT) | instid1(VALU_DEP_1)
	v_lshrrev_b32_e32 v0, s19, v0
	v_mul_lo_u32 v0, v0, s15
	s_delay_alu instid0(VALU_DEP_1) | instskip(NEXT) | instid1(VALU_DEP_1)
	v_sub_nc_u32_e32 v0, v6, v0
	v_mad_u32 v2, v0, s10, v2
	v_mad_u32 v4, v0, s11, v4
.LBB15_853:
	v_mov_b32_e32 v5, 0
	s_and_b32 s0, 0xffff, s13
	s_delay_alu instid0(SALU_CYCLE_1) | instskip(NEXT) | instid1(VALU_DEP_1)
	s_cmp_lt_i32 s0, 11
	v_add_nc_u64_e32 v[4:5], s[6:7], v[4:5]
	s_cbranch_scc1 .LBB15_860
; %bb.854:
	s_cmp_gt_i32 s0, 25
	s_mov_b32 s6, 0
	s_cbranch_scc0 .LBB15_861
; %bb.855:
	s_cmp_gt_i32 s0, 28
	s_cbranch_scc0 .LBB15_862
; %bb.856:
	s_cmp_gt_i32 s0, 43
	;; [unrolled: 3-line block ×3, first 2 shown]
	s_cbranch_scc0 .LBB15_866
; %bb.858:
	s_cmp_eq_u32 s0, 46
	s_mov_b32 s8, 0
	s_cbranch_scc0 .LBB15_869
; %bb.859:
	global_load_b32 v0, v[4:5], off
	s_mov_b32 s1, 0
	s_mov_b32 s7, -1
	s_wait_loadcnt 0x0
	v_lshlrev_b32_e32 v6, 16, v0
	s_branch .LBB15_871
.LBB15_860:
	s_mov_b32 s0, -1
	s_mov_b32 s7, 0
	s_mov_b32 s6, 0
	;; [unrolled: 1-line block ×3, first 2 shown]
                                        ; implicit-def: $vgpr6
	s_branch .LBB15_934
.LBB15_861:
	s_mov_b32 s8, -1
	s_mov_b32 s7, 0
	s_mov_b32 s1, s26
                                        ; implicit-def: $vgpr6
	s_branch .LBB15_900
.LBB15_862:
	s_mov_b32 s8, -1
	s_mov_b32 s7, 0
	s_mov_b32 s1, s26
                                        ; implicit-def: $vgpr6
	s_branch .LBB15_881
.LBB15_863:
	s_mov_b32 s8, -1
	s_mov_b32 s7, 0
	s_mov_b32 s1, s26
                                        ; implicit-def: $vgpr6
	s_branch .LBB15_876
.LBB15_864:
	s_and_not1_saveexec_b32 s45, s45
	s_cbranch_execz .LBB15_783
.LBB15_865:
	v_add_f32_e64 v1, 0x46000000, |v4|
	s_and_not1_b32 s27, s27, exec_lo
	s_delay_alu instid0(VALU_DEP_1) | instskip(NEXT) | instid1(VALU_DEP_1)
	v_and_b32_e32 v1, 0xff, v1
	v_cmp_ne_u32_e32 vcc_lo, 0, v1
	s_and_b32 s46, vcc_lo, exec_lo
	s_delay_alu instid0(SALU_CYCLE_1)
	s_or_b32 s27, s27, s46
	s_or_b32 exec_lo, exec_lo, s45
	v_mov_b32_e32 v5, 0
	s_and_saveexec_b32 s45, s27
	s_cbranch_execnz .LBB15_784
	s_branch .LBB15_785
.LBB15_866:
	s_mov_b32 s8, -1
	s_mov_b32 s7, 0
	s_mov_b32 s1, s26
	s_branch .LBB15_870
.LBB15_867:
	s_and_not1_saveexec_b32 s45, s45
	s_cbranch_execz .LBB15_796
.LBB15_868:
	v_add_f32_e64 v1, 0x42800000, |v4|
	s_and_not1_b32 s27, s27, exec_lo
	s_delay_alu instid0(VALU_DEP_1) | instskip(NEXT) | instid1(VALU_DEP_1)
	v_and_b32_e32 v1, 0xff, v1
	v_cmp_ne_u32_e32 vcc_lo, 0, v1
	s_and_b32 s46, vcc_lo, exec_lo
	s_delay_alu instid0(SALU_CYCLE_1)
	s_or_b32 s27, s27, s46
	s_or_b32 exec_lo, exec_lo, s45
	v_mov_b32_e32 v5, 0
	s_and_saveexec_b32 s45, s27
	s_cbranch_execnz .LBB15_797
	s_branch .LBB15_798
.LBB15_869:
	s_mov_b32 s1, -1
	s_mov_b32 s7, 0
.LBB15_870:
                                        ; implicit-def: $vgpr6
.LBB15_871:
	s_and_b32 vcc_lo, exec_lo, s8
	s_cbranch_vccz .LBB15_875
; %bb.872:
	s_cmp_eq_u32 s0, 44
	s_cbranch_scc0 .LBB15_874
; %bb.873:
	global_load_u8 v0, v[4:5], off
	s_mov_b32 s1, 0
	s_mov_b32 s7, -1
	s_wait_loadcnt 0x0
	v_lshlrev_b32_e32 v1, 23, v0
	v_cmp_ne_u32_e32 vcc_lo, 0xff, v0
	s_delay_alu instid0(VALU_DEP_2) | instskip(SKIP_1) | instid1(VALU_DEP_2)
	v_cndmask_b32_e32 v1, 0x7f800001, v1, vcc_lo
	v_cmp_ne_u32_e32 vcc_lo, 0, v0
	v_cndmask_b32_e32 v6, 0x400000, v1, vcc_lo
	s_branch .LBB15_875
.LBB15_874:
	s_mov_b32 s1, -1
                                        ; implicit-def: $vgpr6
.LBB15_875:
	s_mov_b32 s8, 0
.LBB15_876:
	s_delay_alu instid0(SALU_CYCLE_1)
	s_and_b32 vcc_lo, exec_lo, s8
	s_cbranch_vccz .LBB15_880
; %bb.877:
	s_cmp_eq_u32 s0, 29
	s_cbranch_scc0 .LBB15_879
; %bb.878:
	s_wait_loadcnt 0x0
	global_load_b64 v[0:1], v[4:5], off
	s_mov_b32 s1, 0
	s_mov_b32 s7, -1
	s_mov_b32 s8, 0
	s_wait_loadcnt 0x0
	v_clz_i32_u32_e32 v3, v1
	s_delay_alu instid0(VALU_DEP_1) | instskip(NEXT) | instid1(VALU_DEP_1)
	v_min_u32_e32 v3, 32, v3
	v_lshlrev_b64_e32 v[0:1], v3, v[0:1]
	s_delay_alu instid0(VALU_DEP_1) | instskip(NEXT) | instid1(VALU_DEP_1)
	v_min_u32_e32 v0, 1, v0
	v_dual_sub_nc_u32 v1, 32, v3 :: v_dual_bitop2_b32 v0, v1, v0 bitop3:0x54
	s_delay_alu instid0(VALU_DEP_1) | instskip(NEXT) | instid1(VALU_DEP_1)
	v_cvt_f32_u32_e32 v0, v0
	v_ldexp_f32 v6, v0, v1
	s_branch .LBB15_881
.LBB15_879:
	s_mov_b32 s1, -1
                                        ; implicit-def: $vgpr6
.LBB15_880:
	s_mov_b32 s8, 0
.LBB15_881:
	s_delay_alu instid0(SALU_CYCLE_1)
	s_and_b32 vcc_lo, exec_lo, s8
	s_cbranch_vccz .LBB15_899
; %bb.882:
	s_cmp_lt_i32 s0, 27
	s_cbranch_scc1 .LBB15_885
; %bb.883:
	s_cmp_gt_i32 s0, 27
	s_cbranch_scc0 .LBB15_886
; %bb.884:
	global_load_b32 v0, v[4:5], off
	s_mov_b32 s7, 0
	s_wait_loadcnt 0x0
	v_cvt_f32_u32_e32 v6, v0
	s_branch .LBB15_887
.LBB15_885:
	s_mov_b32 s7, -1
                                        ; implicit-def: $vgpr6
	s_branch .LBB15_890
.LBB15_886:
	s_mov_b32 s7, -1
                                        ; implicit-def: $vgpr6
.LBB15_887:
	s_delay_alu instid0(SALU_CYCLE_1)
	s_and_not1_b32 vcc_lo, exec_lo, s7
	s_cbranch_vccnz .LBB15_889
; %bb.888:
	global_load_u16 v0, v[4:5], off
	s_wait_loadcnt 0x0
	v_cvt_f32_u32_e32 v6, v0
.LBB15_889:
	s_mov_b32 s7, 0
.LBB15_890:
	s_delay_alu instid0(SALU_CYCLE_1)
	s_and_not1_b32 vcc_lo, exec_lo, s7
	s_cbranch_vccnz .LBB15_898
; %bb.891:
	global_load_u8 v0, v[4:5], off
	s_mov_b32 s7, 0
	s_mov_b32 s8, exec_lo
	s_wait_loadcnt 0x0
	v_cmpx_lt_i16_e32 0x7f, v0
	s_xor_b32 s8, exec_lo, s8
	s_cbranch_execz .LBB15_912
; %bb.892:
	s_mov_b32 s7, -1
	s_mov_b32 s9, exec_lo
	v_cmpx_eq_u16_e32 0x80, v0
; %bb.893:
	s_xor_b32 s7, exec_lo, -1
; %bb.894:
	s_or_b32 exec_lo, exec_lo, s9
	s_delay_alu instid0(SALU_CYCLE_1)
	s_and_b32 s7, s7, exec_lo
	s_or_saveexec_b32 s8, s8
	v_mov_b32_e32 v6, 0x7f800001
	s_xor_b32 exec_lo, exec_lo, s8
	s_cbranch_execnz .LBB15_913
.LBB15_895:
	s_or_b32 exec_lo, exec_lo, s8
	s_and_saveexec_b32 s8, s7
	s_cbranch_execz .LBB15_897
.LBB15_896:
	v_and_b32_e32 v1, 0xffff, v0
	s_delay_alu instid0(VALU_DEP_1) | instskip(SKIP_1) | instid1(VALU_DEP_2)
	v_and_b32_e32 v3, 7, v1
	v_bfe_u32 v8, v1, 3, 4
	v_clz_i32_u32_e32 v6, v3
	s_delay_alu instid0(VALU_DEP_2) | instskip(NEXT) | instid1(VALU_DEP_2)
	v_cmp_eq_u32_e32 vcc_lo, 0, v8
	v_min_u32_e32 v6, 32, v6
	s_delay_alu instid0(VALU_DEP_1) | instskip(NEXT) | instid1(VALU_DEP_1)
	v_subrev_nc_u32_e32 v7, 28, v6
	v_dual_lshlrev_b32 v1, v7, v1 :: v_dual_sub_nc_u32 v6, 29, v6
	s_delay_alu instid0(VALU_DEP_1) | instskip(NEXT) | instid1(VALU_DEP_1)
	v_dual_lshlrev_b32 v0, 24, v0 :: v_dual_bitop2_b32 v1, 7, v1 bitop3:0x40
	v_dual_cndmask_b32 v6, v8, v6 :: v_dual_cndmask_b32 v1, v3, v1
	s_delay_alu instid0(VALU_DEP_2) | instskip(NEXT) | instid1(VALU_DEP_2)
	v_and_b32_e32 v0, 0x80000000, v0
	v_lshl_add_u32 v3, v6, 23, 0x3b800000
	s_delay_alu instid0(VALU_DEP_3) | instskip(NEXT) | instid1(VALU_DEP_1)
	v_lshlrev_b32_e32 v1, 20, v1
	v_or3_b32 v6, v0, v3, v1
.LBB15_897:
	s_or_b32 exec_lo, exec_lo, s8
.LBB15_898:
	s_mov_b32 s7, -1
.LBB15_899:
	s_mov_b32 s8, 0
.LBB15_900:
	s_delay_alu instid0(SALU_CYCLE_1)
	s_and_b32 vcc_lo, exec_lo, s8
	s_cbranch_vccz .LBB15_933
; %bb.901:
	s_cmp_gt_i32 s0, 22
	s_cbranch_scc0 .LBB15_911
; %bb.902:
	s_cmp_lt_i32 s0, 24
	s_cbranch_scc1 .LBB15_914
; %bb.903:
	s_cmp_gt_i32 s0, 24
	s_cbranch_scc0 .LBB15_915
; %bb.904:
	global_load_u8 v0, v[4:5], off
	s_mov_b32 s7, exec_lo
	s_wait_loadcnt 0x0
	v_cmpx_lt_i16_e32 0x7f, v0
	s_xor_b32 s7, exec_lo, s7
	s_cbranch_execz .LBB15_927
; %bb.905:
	s_mov_b32 s6, -1
	s_mov_b32 s8, exec_lo
	v_cmpx_eq_u16_e32 0x80, v0
; %bb.906:
	s_xor_b32 s6, exec_lo, -1
; %bb.907:
	s_or_b32 exec_lo, exec_lo, s8
	s_delay_alu instid0(SALU_CYCLE_1)
	s_and_b32 s6, s6, exec_lo
	s_or_saveexec_b32 s7, s7
	v_mov_b32_e32 v6, 0x7f800001
	s_xor_b32 exec_lo, exec_lo, s7
	s_cbranch_execnz .LBB15_928
.LBB15_908:
	s_or_b32 exec_lo, exec_lo, s7
	s_and_saveexec_b32 s7, s6
	s_cbranch_execz .LBB15_910
.LBB15_909:
	v_and_b32_e32 v1, 0xffff, v0
	s_delay_alu instid0(VALU_DEP_1) | instskip(SKIP_1) | instid1(VALU_DEP_2)
	v_and_b32_e32 v3, 3, v1
	v_bfe_u32 v8, v1, 2, 5
	v_clz_i32_u32_e32 v6, v3
	s_delay_alu instid0(VALU_DEP_2) | instskip(NEXT) | instid1(VALU_DEP_2)
	v_cmp_eq_u32_e32 vcc_lo, 0, v8
	v_min_u32_e32 v6, 32, v6
	s_delay_alu instid0(VALU_DEP_1) | instskip(NEXT) | instid1(VALU_DEP_1)
	v_subrev_nc_u32_e32 v7, 29, v6
	v_dual_lshlrev_b32 v1, v7, v1 :: v_dual_sub_nc_u32 v6, 30, v6
	s_delay_alu instid0(VALU_DEP_1) | instskip(NEXT) | instid1(VALU_DEP_1)
	v_dual_lshlrev_b32 v0, 24, v0 :: v_dual_bitop2_b32 v1, 3, v1 bitop3:0x40
	v_dual_cndmask_b32 v6, v8, v6 :: v_dual_cndmask_b32 v1, v3, v1
	s_delay_alu instid0(VALU_DEP_2) | instskip(NEXT) | instid1(VALU_DEP_2)
	v_and_b32_e32 v0, 0x80000000, v0
	v_lshl_add_u32 v3, v6, 23, 0x37800000
	s_delay_alu instid0(VALU_DEP_3) | instskip(NEXT) | instid1(VALU_DEP_1)
	v_lshlrev_b32_e32 v1, 21, v1
	v_or3_b32 v6, v0, v3, v1
.LBB15_910:
	s_or_b32 exec_lo, exec_lo, s7
	s_mov_b32 s6, 0
	s_branch .LBB15_916
.LBB15_911:
	s_mov_b32 s6, -1
                                        ; implicit-def: $vgpr6
	s_branch .LBB15_922
.LBB15_912:
	s_or_saveexec_b32 s8, s8
	v_mov_b32_e32 v6, 0x7f800001
	s_xor_b32 exec_lo, exec_lo, s8
	s_cbranch_execz .LBB15_895
.LBB15_913:
	v_cmp_ne_u16_e32 vcc_lo, 0, v0
	v_mov_b32_e32 v6, 0
	s_and_not1_b32 s7, s7, exec_lo
	s_and_b32 s9, vcc_lo, exec_lo
	s_delay_alu instid0(SALU_CYCLE_1)
	s_or_b32 s7, s7, s9
	s_or_b32 exec_lo, exec_lo, s8
	s_and_saveexec_b32 s8, s7
	s_cbranch_execnz .LBB15_896
	s_branch .LBB15_897
.LBB15_914:
	s_mov_b32 s6, -1
                                        ; implicit-def: $vgpr6
	s_branch .LBB15_919
.LBB15_915:
	s_mov_b32 s6, -1
                                        ; implicit-def: $vgpr6
.LBB15_916:
	s_delay_alu instid0(SALU_CYCLE_1)
	s_and_b32 vcc_lo, exec_lo, s6
	s_cbranch_vccz .LBB15_918
; %bb.917:
	global_load_u8 v0, v[4:5], off
	s_wait_loadcnt 0x0
	v_lshlrev_b32_e32 v0, 24, v0
	s_delay_alu instid0(VALU_DEP_1) | instskip(NEXT) | instid1(VALU_DEP_1)
	v_and_b32_e32 v1, 0x7f000000, v0
	v_clz_i32_u32_e32 v3, v1
	v_add_nc_u32_e32 v7, 0x1000000, v1
	v_cmp_ne_u32_e32 vcc_lo, 0, v1
	s_delay_alu instid0(VALU_DEP_3) | instskip(NEXT) | instid1(VALU_DEP_1)
	v_min_u32_e32 v3, 32, v3
	v_sub_nc_u32_e64 v3, v3, 4 clamp
	s_delay_alu instid0(VALU_DEP_1) | instskip(NEXT) | instid1(VALU_DEP_1)
	v_dual_lshlrev_b32 v6, v3, v1 :: v_dual_lshlrev_b32 v3, 23, v3
	v_lshrrev_b32_e32 v6, 4, v6
	s_delay_alu instid0(VALU_DEP_1) | instskip(SKIP_1) | instid1(VALU_DEP_2)
	v_sub_nc_u32_e32 v3, v6, v3
	v_ashrrev_i32_e32 v6, 8, v7
	v_add_nc_u32_e32 v3, 0x3c000000, v3
	s_delay_alu instid0(VALU_DEP_1) | instskip(NEXT) | instid1(VALU_DEP_1)
	v_and_or_b32 v3, 0x7f800000, v6, v3
	v_cndmask_b32_e32 v1, 0, v3, vcc_lo
	s_delay_alu instid0(VALU_DEP_1)
	v_and_or_b32 v6, 0x80000000, v0, v1
.LBB15_918:
	s_mov_b32 s6, 0
.LBB15_919:
	s_delay_alu instid0(SALU_CYCLE_1)
	s_and_not1_b32 vcc_lo, exec_lo, s6
	s_cbranch_vccnz .LBB15_921
; %bb.920:
	global_load_u8 v0, v[4:5], off
	s_wait_loadcnt 0x0
	v_lshlrev_b32_e32 v1, 25, v0
	v_lshlrev_b16 v0, 8, v0
	s_delay_alu instid0(VALU_DEP_1) | instskip(SKIP_1) | instid1(VALU_DEP_2)
	v_and_or_b32 v6, 0x7f00, v0, 0.5
	v_bfe_i32 v0, v0, 0, 16
	v_dual_add_f32 v6, -0.5, v6 :: v_dual_lshrrev_b32 v3, 4, v1
	v_cmp_gt_u32_e32 vcc_lo, 0x8000000, v1
	s_delay_alu instid0(VALU_DEP_2) | instskip(NEXT) | instid1(VALU_DEP_1)
	v_or_b32_e32 v3, 0x70000000, v3
	v_mul_f32_e32 v3, 0x7800000, v3
	s_delay_alu instid0(VALU_DEP_1) | instskip(NEXT) | instid1(VALU_DEP_1)
	v_cndmask_b32_e32 v1, v3, v6, vcc_lo
	v_and_or_b32 v6, 0x80000000, v0, v1
.LBB15_921:
	s_mov_b32 s6, 0
	s_mov_b32 s7, -1
.LBB15_922:
	s_and_not1_b32 vcc_lo, exec_lo, s6
	s_mov_b32 s6, 0
	s_cbranch_vccnz .LBB15_933
; %bb.923:
	s_cmp_gt_i32 s0, 14
	s_cbranch_scc0 .LBB15_926
; %bb.924:
	s_cmp_eq_u32 s0, 15
	s_cbranch_scc0 .LBB15_929
; %bb.925:
	global_load_u16 v0, v[4:5], off
	s_mov_b32 s1, 0
	s_mov_b32 s7, -1
	s_wait_loadcnt 0x0
	v_lshlrev_b32_e32 v6, 16, v0
	s_branch .LBB15_931
.LBB15_926:
	s_mov_b32 s6, -1
	s_branch .LBB15_930
.LBB15_927:
	s_or_saveexec_b32 s7, s7
	v_mov_b32_e32 v6, 0x7f800001
	s_xor_b32 exec_lo, exec_lo, s7
	s_cbranch_execz .LBB15_908
.LBB15_928:
	v_cmp_ne_u16_e32 vcc_lo, 0, v0
	v_mov_b32_e32 v6, 0
	s_and_not1_b32 s6, s6, exec_lo
	s_and_b32 s8, vcc_lo, exec_lo
	s_delay_alu instid0(SALU_CYCLE_1)
	s_or_b32 s6, s6, s8
	s_or_b32 exec_lo, exec_lo, s7
	s_and_saveexec_b32 s7, s6
	s_cbranch_execnz .LBB15_909
	s_branch .LBB15_910
.LBB15_929:
	s_mov_b32 s1, -1
.LBB15_930:
                                        ; implicit-def: $vgpr6
.LBB15_931:
	s_and_b32 vcc_lo, exec_lo, s6
	s_mov_b32 s6, 0
	s_cbranch_vccz .LBB15_933
; %bb.932:
	s_cmp_lg_u32 s0, 11
	s_mov_b32 s6, -1
	s_cselect_b32 s0, -1, 0
	s_and_not1_b32 s1, s1, exec_lo
	s_and_b32 s0, s0, exec_lo
	s_delay_alu instid0(SALU_CYCLE_1)
	s_or_b32 s1, s1, s0
.LBB15_933:
	s_mov_b32 s0, 0
.LBB15_934:
	s_and_b32 s24, s7, exec_lo
	s_and_not1_b32 s7, s26, exec_lo
	s_and_b32 s1, s1, exec_lo
	s_and_b32 s25, s0, exec_lo
	;; [unrolled: 1-line block ×3, first 2 shown]
	s_or_b32 s45, s7, s1
.LBB15_935:
	s_wait_xcnt 0x0
	s_or_b32 exec_lo, exec_lo, s36
	s_delay_alu instid0(SALU_CYCLE_1)
	s_and_not1_b32 s6, s26, exec_lo
	s_and_b32 s7, s45, exec_lo
	s_and_b32 s24, s24, exec_lo
	;; [unrolled: 1-line block ×4, first 2 shown]
	s_or_b32 s26, s6, s7
.LBB15_936:
	s_or_b32 exec_lo, exec_lo, s44
	s_delay_alu instid0(SALU_CYCLE_1)
	s_and_not1_b32 s6, s42, exec_lo
	s_and_b32 s7, s27, exec_lo
	s_and_b32 s25, s24, exec_lo
	s_or_b32 s42, s6, s7
	s_and_not1_b32 s6, s41, exec_lo
	s_and_b32 s7, s26, exec_lo
	s_and_b32 s24, s1, exec_lo
	;; [unrolled: 1-line block ×3, first 2 shown]
	s_or_b32 s41, s6, s7
.LBB15_937:
	s_or_b32 exec_lo, exec_lo, s43
	s_delay_alu instid0(SALU_CYCLE_1)
	s_and_not1_b32 s0, s18, exec_lo
	s_and_b32 s6, s42, exec_lo
	s_and_b32 s7, s41, exec_lo
	s_or_b32 s18, s0, s6
	s_and_not1_b32 s6, s39, exec_lo
	s_and_b32 s0, s25, exec_lo
	s_and_b32 s25, s24, exec_lo
	;; [unrolled: 1-line block ×3, first 2 shown]
	s_or_b32 s39, s6, s7
	s_or_b32 exec_lo, exec_lo, s40
	s_mov_b32 s6, 0
	s_and_saveexec_b32 s1, s39
	s_cbranch_execz .LBB15_280
.LBB15_938:
	s_mov_b32 s6, exec_lo
	s_and_not1_b32 s17, s17, exec_lo
	s_trap 2
	s_or_b32 exec_lo, exec_lo, s1
	s_and_saveexec_b32 s1, s17
	s_delay_alu instid0(SALU_CYCLE_1)
	s_xor_b32 s1, exec_lo, s1
	s_cbranch_execnz .LBB15_281
.LBB15_939:
	s_or_b32 exec_lo, exec_lo, s1
	s_and_saveexec_b32 s1, s25
	s_cbranch_execz .LBB15_985
.LBB15_940:
	s_sext_i32_i16 s7, s13
	s_delay_alu instid0(SALU_CYCLE_1)
	s_cmp_lt_i32 s7, 5
	s_cbranch_scc1 .LBB15_945
; %bb.941:
	s_cmp_lt_i32 s7, 8
	s_cbranch_scc1 .LBB15_946
; %bb.942:
	;; [unrolled: 3-line block ×3, first 2 shown]
	s_cmp_gt_i32 s7, 9
	s_cbranch_scc0 .LBB15_948
; %bb.944:
	s_wait_loadcnt 0x0
	global_load_b64 v[0:1], v[4:5], off
	s_mov_b32 s7, 0
	s_wait_loadcnt 0x0
	v_cvt_f32_f64_e32 v6, v[0:1]
	s_branch .LBB15_949
.LBB15_945:
                                        ; implicit-def: $vgpr6
	s_branch .LBB15_966
.LBB15_946:
                                        ; implicit-def: $vgpr6
	s_branch .LBB15_955
.LBB15_947:
	s_mov_b32 s7, -1
                                        ; implicit-def: $vgpr6
	s_branch .LBB15_952
.LBB15_948:
	s_mov_b32 s7, -1
                                        ; implicit-def: $vgpr6
.LBB15_949:
	s_delay_alu instid0(SALU_CYCLE_1)
	s_and_not1_b32 vcc_lo, exec_lo, s7
	s_cbranch_vccnz .LBB15_951
; %bb.950:
	global_load_b32 v6, v[4:5], off
.LBB15_951:
	s_mov_b32 s7, 0
.LBB15_952:
	s_delay_alu instid0(SALU_CYCLE_1)
	s_and_not1_b32 vcc_lo, exec_lo, s7
	s_cbranch_vccnz .LBB15_954
; %bb.953:
	global_load_b32 v0, v[4:5], off
	s_wait_loadcnt 0x0
	v_cvt_f32_f16_e32 v6, v0
.LBB15_954:
	s_cbranch_execnz .LBB15_965
.LBB15_955:
	s_sext_i32_i16 s7, s13
	s_delay_alu instid0(SALU_CYCLE_1)
	s_cmp_lt_i32 s7, 6
	s_cbranch_scc1 .LBB15_958
; %bb.956:
	s_cmp_gt_i32 s7, 6
	s_cbranch_scc0 .LBB15_959
; %bb.957:
	s_wait_loadcnt 0x0
	global_load_b64 v[0:1], v[4:5], off
	s_mov_b32 s7, 0
	s_wait_loadcnt 0x0
	v_cvt_f32_f64_e32 v6, v[0:1]
	s_branch .LBB15_960
.LBB15_958:
	s_mov_b32 s7, -1
                                        ; implicit-def: $vgpr6
	s_branch .LBB15_963
.LBB15_959:
	s_mov_b32 s7, -1
                                        ; implicit-def: $vgpr6
.LBB15_960:
	s_delay_alu instid0(SALU_CYCLE_1)
	s_and_not1_b32 vcc_lo, exec_lo, s7
	s_cbranch_vccnz .LBB15_962
; %bb.961:
	s_wait_loadcnt 0x0
	global_load_b32 v6, v[4:5], off
.LBB15_962:
	s_mov_b32 s7, 0
.LBB15_963:
	s_delay_alu instid0(SALU_CYCLE_1)
	s_and_not1_b32 vcc_lo, exec_lo, s7
	s_cbranch_vccnz .LBB15_965
; %bb.964:
	global_load_u16 v0, v[4:5], off
	s_wait_loadcnt 0x0
	v_cvt_f32_f16_e32 v6, v0
.LBB15_965:
	s_cbranch_execnz .LBB15_984
.LBB15_966:
	s_sext_i32_i16 s7, s13
	s_delay_alu instid0(SALU_CYCLE_1)
	s_cmp_lt_i32 s7, 2
	s_cbranch_scc1 .LBB15_970
; %bb.967:
	s_cmp_lt_i32 s7, 3
	s_cbranch_scc1 .LBB15_971
; %bb.968:
	s_cmp_gt_i32 s7, 3
	s_cbranch_scc0 .LBB15_972
; %bb.969:
	s_wait_loadcnt 0x0
	global_load_b64 v[0:1], v[4:5], off
	s_mov_b32 s7, 0
	s_wait_loadcnt 0x0
	v_xor_b32_e32 v3, v0, v1
	v_cls_i32_e32 v6, v1
	s_delay_alu instid0(VALU_DEP_2) | instskip(NEXT) | instid1(VALU_DEP_1)
	v_ashrrev_i32_e32 v3, 31, v3
	v_add_nc_u32_e32 v3, 32, v3
	s_delay_alu instid0(VALU_DEP_1) | instskip(NEXT) | instid1(VALU_DEP_1)
	v_add_min_u32_e64 v3, v6, -1, v3
	v_lshlrev_b64_e32 v[0:1], v3, v[0:1]
	s_delay_alu instid0(VALU_DEP_1) | instskip(NEXT) | instid1(VALU_DEP_1)
	v_min_u32_e32 v0, 1, v0
	v_dual_sub_nc_u32 v1, 32, v3 :: v_dual_bitop2_b32 v0, v1, v0 bitop3:0x54
	s_delay_alu instid0(VALU_DEP_1) | instskip(NEXT) | instid1(VALU_DEP_1)
	v_cvt_f32_i32_e32 v0, v0
	v_ldexp_f32 v6, v0, v1
	s_branch .LBB15_973
.LBB15_970:
                                        ; implicit-def: $vgpr6
	s_branch .LBB15_979
.LBB15_971:
	s_mov_b32 s7, -1
                                        ; implicit-def: $vgpr6
	s_branch .LBB15_976
.LBB15_972:
	s_mov_b32 s7, -1
                                        ; implicit-def: $vgpr6
.LBB15_973:
	s_delay_alu instid0(SALU_CYCLE_1)
	s_and_not1_b32 vcc_lo, exec_lo, s7
	s_cbranch_vccnz .LBB15_975
; %bb.974:
	global_load_b32 v0, v[4:5], off
	s_wait_loadcnt 0x0
	v_cvt_f32_i32_e32 v6, v0
.LBB15_975:
	s_mov_b32 s7, 0
.LBB15_976:
	s_delay_alu instid0(SALU_CYCLE_1)
	s_and_not1_b32 vcc_lo, exec_lo, s7
	s_cbranch_vccnz .LBB15_978
; %bb.977:
	global_load_i16 v0, v[4:5], off
	s_wait_loadcnt 0x0
	v_cvt_f32_i32_e32 v6, v0
.LBB15_978:
	s_cbranch_execnz .LBB15_984
.LBB15_979:
	s_sext_i32_i16 s7, s13
	s_delay_alu instid0(SALU_CYCLE_1)
	s_cmp_gt_i32 s7, 0
	s_mov_b32 s7, 0
	s_cbranch_scc0 .LBB15_981
; %bb.980:
	global_load_i8 v0, v[4:5], off
	s_wait_loadcnt 0x0
	v_cvt_f32_i32_e32 v6, v0
	s_branch .LBB15_982
.LBB15_981:
	s_mov_b32 s7, -1
                                        ; implicit-def: $vgpr6
.LBB15_982:
	s_delay_alu instid0(SALU_CYCLE_1)
	s_and_not1_b32 vcc_lo, exec_lo, s7
	s_cbranch_vccnz .LBB15_984
; %bb.983:
	global_load_u8 v0, v[4:5], off
	s_wait_loadcnt 0x0
	v_cvt_f32_ubyte0_e32 v6, v0
.LBB15_984:
	s_or_b32 s0, s0, exec_lo
.LBB15_985:
	s_wait_xcnt 0x0
	s_or_b32 exec_lo, exec_lo, s1
	s_mov_b32 s9, 0
	s_mov_b32 s8, 0
                                        ; implicit-def: $sgpr1
                                        ; implicit-def: $vgpr0_vgpr1
                                        ; implicit-def: $vgpr4
	s_and_saveexec_b32 s7, s0
	s_cbranch_execz .LBB15_1064
; %bb.986:
	s_wait_loadcnt 0x0
	s_delay_alu instid0(VALU_DEP_1)
	v_and_b32_e32 v0, 0x7fffffff, v6
                                        ; implicit-def: $vgpr3
                                        ; implicit-def: $vgpr1
	s_mov_b32 s1, exec_lo
	v_cmpx_ngt_f32_e64 0x48000000, |v6|
	s_xor_b32 s8, exec_lo, s1
	s_cbranch_execz .LBB15_988
; %bb.987:
	s_mov_b32 s0, 0x7fffff
	v_mov_b32_e32 v5, 0
	v_and_or_b32 v4, v0, s0, 0x800000
	s_mov_b64 s[0:1], 0xfe5163ab
	v_lshrrev_b32_e32 v1, 23, v0
	s_delay_alu instid0(VALU_DEP_2) | instskip(NEXT) | instid1(VALU_DEP_1)
	v_mul_u64_e32 v[8:9], s[0:1], v[4:5]
	v_dual_mov_b32 v10, v9 :: v_dual_mov_b32 v11, v5
	v_dual_mov_b32 v13, v5 :: v_dual_mov_b32 v15, v5
	;; [unrolled: 1-line block ×3, first 2 shown]
	s_delay_alu instid0(VALU_DEP_3) | instskip(NEXT) | instid1(VALU_DEP_1)
	v_mad_nc_u64_u32 v[10:11], 0x3c439041, v4, v[10:11]
	v_mov_b32_e32 v12, v11
	s_delay_alu instid0(VALU_DEP_1) | instskip(NEXT) | instid1(VALU_DEP_1)
	v_mad_nc_u64_u32 v[12:13], 0xdb629599, v4, v[12:13]
	v_mov_b32_e32 v14, v13
	s_delay_alu instid0(VALU_DEP_1) | instskip(NEXT) | instid1(VALU_DEP_1)
	;; [unrolled: 3-line block ×3, first 2 shown]
	v_mad_nc_u64_u32 v[16:17], 0xfc2757d1, v4, v[16:17]
	v_dual_mov_b32 v19, v5 :: v_dual_mov_b32 v18, v17
	s_delay_alu instid0(VALU_DEP_1) | instskip(NEXT) | instid1(VALU_DEP_1)
	v_mad_nc_u64_u32 v[18:19], 0x4e441529, v4, v[18:19]
	v_dual_mov_b32 v20, v19 :: v_dual_add_nc_u32 v1, 0xffffff88, v1
	s_delay_alu instid0(VALU_DEP_1) | instskip(NEXT) | instid1(VALU_DEP_2)
	v_cmp_lt_u32_e32 vcc_lo, 63, v1
	v_mad_nc_u64_u32 v[4:5], 0xa2f9836e, v4, v[20:21]
	v_cndmask_b32_e64 v3, 0, 0xffffffc0, vcc_lo
	v_dual_cndmask_b32 v7, v18, v14 :: v_dual_cndmask_b32 v8, v12, v8
	s_delay_alu instid0(VALU_DEP_2) | instskip(NEXT) | instid1(VALU_DEP_1)
	v_add_nc_u32_e32 v1, v3, v1
	v_cmp_lt_u32_e64 s0, 31, v1
	v_dual_cndmask_b32 v4, v4, v16 :: v_dual_cndmask_b32 v5, v5, v18
	s_delay_alu instid0(VALU_DEP_2) | instskip(NEXT) | instid1(VALU_DEP_1)
	v_cndmask_b32_e64 v3, 0, 0xffffffe0, s0
	v_add_nc_u32_e32 v1, v3, v1
	s_delay_alu instid0(VALU_DEP_1) | instskip(NEXT) | instid1(VALU_DEP_1)
	v_cmp_lt_u32_e64 s1, 31, v1
	v_cndmask_b32_e64 v3, 0, 0xffffffe0, s1
	s_delay_alu instid0(VALU_DEP_1) | instskip(SKIP_1) | instid1(VALU_DEP_2)
	v_dual_cndmask_b32 v9, v16, v12, vcc_lo :: v_dual_add_nc_u32 v1, v3, v1
	v_dual_cndmask_b32 v3, v14, v10, vcc_lo :: v_dual_cndmask_b32 v10, v4, v7, s0
	v_dual_cndmask_b32 v4, v5, v4, s0 :: v_dual_cndmask_b32 v5, v7, v9, s0
	s_delay_alu instid0(VALU_DEP_2) | instskip(SKIP_1) | instid1(VALU_DEP_3)
	v_dual_sub_nc_u32 v7, 32, v1 :: v_dual_cndmask_b32 v9, v9, v3, s0
	v_cmp_eq_u32_e32 vcc_lo, 0, v1
	v_dual_cndmask_b32 v4, v4, v10, s1 :: v_dual_cndmask_b32 v10, v10, v5, s1
	s_delay_alu instid0(VALU_DEP_3) | instskip(NEXT) | instid1(VALU_DEP_2)
	v_dual_cndmask_b32 v3, v3, v8, s0 :: v_dual_cndmask_b32 v5, v5, v9, s1
	v_alignbit_b32 v11, v4, v10, v7
	s_delay_alu instid0(VALU_DEP_2) | instskip(NEXT) | instid1(VALU_DEP_1)
	v_alignbit_b32 v12, v10, v5, v7
	v_dual_cndmask_b32 v1, v11, v4 :: v_dual_cndmask_b32 v4, v12, v10
	s_delay_alu instid0(VALU_DEP_1) | instskip(NEXT) | instid1(VALU_DEP_1)
	v_bfe_u32 v8, v1, 29, 1
	v_dual_sub_nc_u32 v10, 0, v8 :: v_dual_cndmask_b32 v3, v9, v3, s1
	s_delay_alu instid0(VALU_DEP_3) | instskip(NEXT) | instid1(VALU_DEP_1)
	v_alignbit_b32 v9, v1, v4, 30
	v_xor_b32_e32 v9, v9, v10
	s_delay_alu instid0(VALU_DEP_3) | instskip(NEXT) | instid1(VALU_DEP_1)
	v_alignbit_b32 v7, v5, v3, v7
	v_cndmask_b32_e32 v5, v7, v5, vcc_lo
	s_delay_alu instid0(VALU_DEP_3) | instskip(NEXT) | instid1(VALU_DEP_2)
	v_clz_i32_u32_e32 v7, v9
	v_alignbit_b32 v4, v4, v5, 30
	s_delay_alu instid0(VALU_DEP_2) | instskip(NEXT) | instid1(VALU_DEP_2)
	v_min_u32_e32 v7, 32, v7
	v_xor_b32_e32 v4, v4, v10
	v_alignbit_b32 v3, v5, v3, 30
	s_delay_alu instid0(VALU_DEP_3) | instskip(NEXT) | instid1(VALU_DEP_2)
	v_dual_sub_nc_u32 v5, 31, v7 :: v_dual_lshlrev_b32 v11, 23, v7
	v_dual_lshrrev_b32 v10, 29, v1 :: v_dual_bitop2_b32 v3, v3, v10 bitop3:0x14
	s_delay_alu instid0(VALU_DEP_2) | instskip(NEXT) | instid1(VALU_DEP_2)
	v_alignbit_b32 v9, v9, v4, v5
	v_alignbit_b32 v3, v4, v3, v5
	s_delay_alu instid0(VALU_DEP_3) | instskip(NEXT) | instid1(VALU_DEP_2)
	v_lshlrev_b32_e32 v4, 31, v10
	v_alignbit_b32 v5, v9, v3, 9
	s_delay_alu instid0(VALU_DEP_2) | instskip(NEXT) | instid1(VALU_DEP_2)
	v_dual_lshrrev_b32 v9, 9, v9 :: v_dual_bitop2_b32 v10, 0.5, v4 bitop3:0x54
	v_clz_i32_u32_e32 v12, v5
	s_delay_alu instid0(VALU_DEP_2) | instskip(SKIP_1) | instid1(VALU_DEP_3)
	v_sub_nc_u32_e32 v10, v10, v11
	v_or_b32_e32 v4, 0x33000000, v4
	v_min_u32_e32 v11, 32, v12
	s_delay_alu instid0(VALU_DEP_1) | instskip(NEXT) | instid1(VALU_DEP_4)
	v_add_lshl_u32 v7, v11, v7, 23
	v_or_b32_e32 v9, v9, v10
	v_not_b32_e32 v10, v11
	s_delay_alu instid0(VALU_DEP_3) | instskip(NEXT) | instid1(VALU_DEP_2)
	v_sub_nc_u32_e32 v4, v4, v7
	v_alignbit_b32 v3, v5, v3, v10
	s_delay_alu instid0(VALU_DEP_1) | instskip(NEXT) | instid1(VALU_DEP_1)
	v_dual_mul_f32 v12, 0x3fc90fda, v9 :: v_dual_lshrrev_b32 v3, 9, v3
	v_fma_f32 v5, 0x3fc90fda, v9, -v12
	s_delay_alu instid0(VALU_DEP_2) | instskip(NEXT) | instid1(VALU_DEP_2)
	v_or_b32_e32 v3, v4, v3
	v_fmamk_f32 v5, v9, 0x33a22168, v5
	s_delay_alu instid0(VALU_DEP_1) | instskip(SKIP_1) | instid1(VALU_DEP_2)
	v_fmac_f32_e32 v5, 0x3fc90fda, v3
	v_lshrrev_b32_e32 v3, 30, v1
	v_add_f32_e32 v1, v12, v5
	s_delay_alu instid0(VALU_DEP_2)
	v_add_nc_u32_e32 v3, v8, v3
.LBB15_988:
	s_and_not1_saveexec_b32 s0, s8
; %bb.989:
	v_mul_f32_e64 v1, 0x3f22f983, |v6|
	s_delay_alu instid0(VALU_DEP_1) | instskip(NEXT) | instid1(VALU_DEP_1)
	v_rndne_f32_e32 v3, v1
	v_fma_f32 v1, 0xbfc90fda, v3, |v6|
	s_delay_alu instid0(VALU_DEP_1) | instskip(NEXT) | instid1(VALU_DEP_1)
	v_fmamk_f32 v1, v3, 0xb3a22168, v1
	v_fmamk_f32 v1, v3, 0xa7c234c4, v1
	v_cvt_i32_f32_e32 v3, v3
; %bb.990:
	s_or_b32 exec_lo, exec_lo, s0
	s_delay_alu instid0(VALU_DEP_1) | instskip(SKIP_3) | instid1(VALU_DEP_2)
	v_dual_mul_f32 v4, v1, v1 :: v_dual_bitop2_b32 v8, 1, v3 bitop3:0x40
	s_mov_b32 s0, 0xb94c1982
	s_mov_b32 s1, 0x37d75334
	v_lshlrev_b32_e32 v3, 30, v3
	v_fmaak_f32 v5, s0, v4, 0x3c0881c4
	v_fmaak_f32 v7, s1, v4, 0xbab64f3b
	v_cmp_eq_u32_e32 vcc_lo, 0, v8
	s_and_b32 s1, s34, 0xff
	s_mov_b32 s0, s18
	v_fmaak_f32 v5, v4, v5, 0xbe2aaa9d
	v_fmaak_f32 v7, v4, v7, 0x3d2aabf7
	s_cmp_lt_i32 s1, 11
	v_xor_b32_e32 v0, v0, v6
	s_delay_alu instid0(VALU_DEP_3) | instskip(NEXT) | instid1(VALU_DEP_3)
	v_mul_f32_e32 v5, v4, v5
	v_fmaak_f32 v7, v4, v7, 0xbf000004
	s_delay_alu instid0(VALU_DEP_2) | instskip(NEXT) | instid1(VALU_DEP_2)
	v_fmac_f32_e32 v1, v1, v5
	v_fma_f32 v4, v4, v7, 1.0
	v_and_b32_e32 v5, 0x80000000, v3
	s_delay_alu instid0(VALU_DEP_2) | instskip(SKIP_1) | instid1(VALU_DEP_2)
	v_dual_mov_b32 v3, 0 :: v_dual_cndmask_b32 v1, v4, v1, vcc_lo
	v_cmp_class_f32_e64 vcc_lo, v6, 0x1f8
	v_xor3_b32 v4, v0, v5, v1
	s_delay_alu instid0(VALU_DEP_3) | instskip(SKIP_1) | instid1(VALU_DEP_2)
	v_add_nc_u64_e32 v[0:1], s[4:5], v[2:3]
	s_mov_b32 s5, -1
	v_cndmask_b32_e32 v4, 0x7fc00000, v4, vcc_lo
	s_cbranch_scc1 .LBB15_1068
; %bb.991:
	s_and_b32 s4, 0xffff, s1
	s_mov_b32 s0, s18
	s_cmp_gt_i32 s4, 25
	s_cbranch_scc0 .LBB15_1024
; %bb.992:
	s_cmp_gt_i32 s4, 28
	s_mov_b32 s0, s18
	s_cbranch_scc0 .LBB15_1008
; %bb.993:
	s_cmp_gt_i32 s4, 43
	s_mov_b32 s0, s18
	;; [unrolled: 4-line block ×3, first 2 shown]
	s_cbranch_scc0 .LBB15_998
; %bb.995:
	s_cmp_eq_u32 s4, 46
	s_mov_b32 s0, -1
	s_cbranch_scc0 .LBB15_997
; %bb.996:
	v_bfe_u32 v2, v4, 16, 1
	v_cmp_o_f32_e32 vcc_lo, v4, v4
	s_mov_b32 s0, 0
	s_delay_alu instid0(VALU_DEP_2) | instskip(NEXT) | instid1(VALU_DEP_1)
	v_add3_u32 v2, v4, v2, 0x7fff
	v_lshrrev_b32_e32 v2, 16, v2
	s_delay_alu instid0(VALU_DEP_1)
	v_cndmask_b32_e32 v2, 0x7fc0, v2, vcc_lo
	global_store_b32 v[0:1], v2, off
.LBB15_997:
	s_mov_b32 s5, 0
.LBB15_998:
	s_delay_alu instid0(SALU_CYCLE_1)
	s_and_b32 vcc_lo, exec_lo, s5
	s_cbranch_vccz .LBB15_1003
; %bb.999:
	s_cmp_eq_u32 s4, 44
	s_mov_b32 s0, -1
	s_cbranch_scc0 .LBB15_1003
; %bb.1000:
	v_bfe_u32 v3, v4, 23, 8
	s_wait_xcnt 0x0
	v_mov_b32_e32 v2, 0xff
	s_mov_b32 s5, exec_lo
	s_delay_alu instid0(VALU_DEP_2)
	v_cmpx_ne_u32_e32 0xff, v3
	s_cbranch_execz .LBB15_1002
; %bb.1001:
	v_and_b32_e32 v2, 0x400000, v4
	v_and_or_b32 v3, 0x3fffff, v4, v3
	s_delay_alu instid0(VALU_DEP_2) | instskip(NEXT) | instid1(VALU_DEP_2)
	v_cmp_ne_u32_e32 vcc_lo, 0, v2
	v_cmp_ne_u32_e64 s0, 0, v3
	v_lshrrev_b32_e32 v2, 23, v4
	s_and_b32 s0, vcc_lo, s0
	s_delay_alu instid0(SALU_CYCLE_1) | instskip(NEXT) | instid1(VALU_DEP_1)
	v_cndmask_b32_e64 v3, 0, 1, s0
	v_add_nc_u32_e32 v2, v2, v3
.LBB15_1002:
	s_or_b32 exec_lo, exec_lo, s5
	s_mov_b32 s0, 0
	global_store_b8 v[0:1], v2, off
.LBB15_1003:
	s_mov_b32 s5, 0
.LBB15_1004:
	s_delay_alu instid0(SALU_CYCLE_1)
	s_and_b32 vcc_lo, exec_lo, s5
	s_cbranch_vccz .LBB15_1007
; %bb.1005:
	s_cmp_eq_u32 s4, 29
	s_mov_b32 s0, -1
	s_cbranch_scc0 .LBB15_1007
; %bb.1006:
	s_wait_xcnt 0x0
	v_trunc_f32_e32 v2, v4
	s_mov_b32 s0, 0
	s_delay_alu instid0(VALU_DEP_1) | instskip(NEXT) | instid1(VALU_DEP_1)
	v_mul_f32_e32 v3, 0x2f800000, v2
	v_floor_f32_e32 v3, v3
	s_delay_alu instid0(VALU_DEP_1) | instskip(SKIP_1) | instid1(VALU_DEP_2)
	v_fmamk_f32 v2, v3, 0xcf800000, v2
	v_cvt_u32_f32_e32 v3, v3
	v_cvt_u32_f32_e32 v2, v2
	global_store_b64 v[0:1], v[2:3], off
.LBB15_1007:
	s_mov_b32 s5, 0
.LBB15_1008:
	s_delay_alu instid0(SALU_CYCLE_1)
	s_and_b32 vcc_lo, exec_lo, s5
	s_cbranch_vccz .LBB15_1023
; %bb.1009:
	s_cmp_lt_i32 s4, 27
	s_mov_b32 s5, -1
	s_cbranch_scc1 .LBB15_1015
; %bb.1010:
	s_cmp_gt_i32 s4, 27
	s_cbranch_scc0 .LBB15_1012
; %bb.1011:
	s_wait_xcnt 0x0
	v_cvt_u32_f32_e32 v2, v4
	s_mov_b32 s5, 0
	global_store_b32 v[0:1], v2, off
.LBB15_1012:
	s_and_not1_b32 vcc_lo, exec_lo, s5
	s_cbranch_vccnz .LBB15_1014
; %bb.1013:
	s_wait_xcnt 0x0
	v_cvt_u32_f32_e32 v2, v4
	global_store_b16 v[0:1], v2, off
.LBB15_1014:
	s_mov_b32 s5, 0
.LBB15_1015:
	s_delay_alu instid0(SALU_CYCLE_1)
	s_and_not1_b32 vcc_lo, exec_lo, s5
	s_cbranch_vccnz .LBB15_1023
; %bb.1016:
	s_wait_xcnt 0x0
	v_and_b32_e32 v2, 0x7fffffff, v4
	v_mov_b32_e32 v3, 0x80
	s_mov_b32 s5, exec_lo
	s_delay_alu instid0(VALU_DEP_2)
	v_cmpx_gt_u32_e32 0x43800000, v2
	s_cbranch_execz .LBB15_1022
; %bb.1017:
	v_cmp_lt_u32_e32 vcc_lo, 0x3bffffff, v2
	s_mov_b32 s8, 0
                                        ; implicit-def: $vgpr2
	s_and_saveexec_b32 s9, vcc_lo
	s_delay_alu instid0(SALU_CYCLE_1)
	s_xor_b32 s9, exec_lo, s9
	s_cbranch_execz .LBB15_1183
; %bb.1018:
	v_bfe_u32 v2, v4, 20, 1
	s_mov_b32 s8, exec_lo
	s_delay_alu instid0(VALU_DEP_1) | instskip(NEXT) | instid1(VALU_DEP_1)
	v_add3_u32 v2, v4, v2, 0x487ffff
	v_lshrrev_b32_e32 v2, 20, v2
	s_and_not1_saveexec_b32 s9, s9
	s_cbranch_execnz .LBB15_1184
.LBB15_1019:
	s_or_b32 exec_lo, exec_lo, s9
	v_mov_b32_e32 v3, 0
	s_and_saveexec_b32 s9, s8
.LBB15_1020:
	v_lshrrev_b32_e32 v3, 24, v4
	s_delay_alu instid0(VALU_DEP_1)
	v_and_or_b32 v3, 0x80, v3, v2
.LBB15_1021:
	s_or_b32 exec_lo, exec_lo, s9
.LBB15_1022:
	s_delay_alu instid0(SALU_CYCLE_1)
	s_or_b32 exec_lo, exec_lo, s5
	global_store_b8 v[0:1], v3, off
.LBB15_1023:
	s_mov_b32 s5, 0
.LBB15_1024:
	s_delay_alu instid0(SALU_CYCLE_1)
	s_and_b32 vcc_lo, exec_lo, s5
	s_mov_b32 s5, 0
	s_cbranch_vccz .LBB15_1067
; %bb.1025:
	s_cmp_gt_i32 s4, 22
	s_mov_b32 s8, -1
	s_cbranch_scc0 .LBB15_1057
; %bb.1026:
	s_cmp_lt_i32 s4, 24
	s_cbranch_scc1 .LBB15_1046
; %bb.1027:
	s_cmp_gt_i32 s4, 24
	s_cbranch_scc0 .LBB15_1035
; %bb.1028:
	s_wait_xcnt 0x0
	v_and_b32_e32 v2, 0x7fffffff, v4
	v_mov_b32_e32 v3, 0x80
	s_mov_b32 s8, exec_lo
	s_delay_alu instid0(VALU_DEP_2)
	v_cmpx_gt_u32_e32 0x47800000, v2
	s_cbranch_execz .LBB15_1034
; %bb.1029:
	v_cmp_lt_u32_e32 vcc_lo, 0x37ffffff, v2
	s_mov_b32 s9, 0
                                        ; implicit-def: $vgpr2
	s_and_saveexec_b32 s10, vcc_lo
	s_delay_alu instid0(SALU_CYCLE_1)
	s_xor_b32 s10, exec_lo, s10
	s_cbranch_execz .LBB15_1313
; %bb.1030:
	v_bfe_u32 v2, v4, 21, 1
	s_mov_b32 s9, exec_lo
	s_delay_alu instid0(VALU_DEP_1) | instskip(NEXT) | instid1(VALU_DEP_1)
	v_add3_u32 v2, v4, v2, 0x88fffff
	v_lshrrev_b32_e32 v2, 21, v2
	s_and_not1_saveexec_b32 s10, s10
	s_cbranch_execnz .LBB15_1314
.LBB15_1031:
	s_or_b32 exec_lo, exec_lo, s10
	v_mov_b32_e32 v3, 0
	s_and_saveexec_b32 s10, s9
.LBB15_1032:
	v_lshrrev_b32_e32 v3, 24, v4
	s_delay_alu instid0(VALU_DEP_1)
	v_and_or_b32 v3, 0x80, v3, v2
.LBB15_1033:
	s_or_b32 exec_lo, exec_lo, s10
.LBB15_1034:
	s_delay_alu instid0(SALU_CYCLE_1)
	s_or_b32 exec_lo, exec_lo, s8
	s_mov_b32 s8, 0
	global_store_b8 v[0:1], v3, off
.LBB15_1035:
	s_and_b32 vcc_lo, exec_lo, s8
	s_cbranch_vccz .LBB15_1045
; %bb.1036:
	s_wait_xcnt 0x0
	v_and_b32_e32 v3, 0x7fffffff, v4
	s_mov_b32 s8, exec_lo
                                        ; implicit-def: $vgpr2
	s_delay_alu instid0(VALU_DEP_1)
	v_cmpx_gt_u32_e32 0x43f00000, v3
	s_xor_b32 s8, exec_lo, s8
	s_cbranch_execz .LBB15_1042
; %bb.1037:
	s_mov_b32 s9, exec_lo
                                        ; implicit-def: $vgpr2
	v_cmpx_lt_u32_e32 0x3c7fffff, v3
	s_xor_b32 s9, exec_lo, s9
; %bb.1038:
	v_bfe_u32 v2, v4, 20, 1
	s_delay_alu instid0(VALU_DEP_1) | instskip(NEXT) | instid1(VALU_DEP_1)
	v_add3_u32 v2, v4, v2, 0x407ffff
	v_and_b32_e32 v3, 0xff00000, v2
	v_lshrrev_b32_e32 v2, 20, v2
	s_delay_alu instid0(VALU_DEP_2) | instskip(NEXT) | instid1(VALU_DEP_2)
	v_cmp_ne_u32_e32 vcc_lo, 0x7f00000, v3
	v_cndmask_b32_e32 v2, 0x7e, v2, vcc_lo
; %bb.1039:
	s_and_not1_saveexec_b32 s9, s9
; %bb.1040:
	v_add_f32_e64 v2, 0x46800000, |v4|
; %bb.1041:
	s_or_b32 exec_lo, exec_lo, s9
                                        ; implicit-def: $vgpr3
.LBB15_1042:
	s_and_not1_saveexec_b32 s8, s8
; %bb.1043:
	v_mov_b32_e32 v2, 0x7f
	v_cmp_lt_u32_e32 vcc_lo, 0x7f800000, v3
	s_delay_alu instid0(VALU_DEP_2)
	v_cndmask_b32_e32 v2, 0x7e, v2, vcc_lo
; %bb.1044:
	s_or_b32 exec_lo, exec_lo, s8
	v_lshrrev_b32_e32 v3, 24, v4
	s_delay_alu instid0(VALU_DEP_1)
	v_and_or_b32 v2, 0x80, v3, v2
	global_store_b8 v[0:1], v2, off
.LBB15_1045:
	s_mov_b32 s8, 0
.LBB15_1046:
	s_delay_alu instid0(SALU_CYCLE_1)
	s_and_not1_b32 vcc_lo, exec_lo, s8
	s_cbranch_vccnz .LBB15_1056
; %bb.1047:
	s_wait_xcnt 0x0
	v_and_b32_e32 v3, 0x7fffffff, v4
	s_mov_b32 s8, exec_lo
                                        ; implicit-def: $vgpr2
	s_delay_alu instid0(VALU_DEP_1)
	v_cmpx_gt_u32_e32 0x47800000, v3
	s_xor_b32 s8, exec_lo, s8
	s_cbranch_execz .LBB15_1053
; %bb.1048:
	s_mov_b32 s9, exec_lo
                                        ; implicit-def: $vgpr2
	v_cmpx_lt_u32_e32 0x387fffff, v3
	s_xor_b32 s9, exec_lo, s9
; %bb.1049:
	v_bfe_u32 v2, v4, 21, 1
	s_delay_alu instid0(VALU_DEP_1) | instskip(NEXT) | instid1(VALU_DEP_1)
	v_add3_u32 v2, v4, v2, 0x80fffff
	v_lshrrev_b32_e32 v2, 21, v2
; %bb.1050:
	s_and_not1_saveexec_b32 s9, s9
; %bb.1051:
	v_add_f32_e64 v2, 0x43000000, |v4|
; %bb.1052:
	s_or_b32 exec_lo, exec_lo, s9
                                        ; implicit-def: $vgpr3
.LBB15_1053:
	s_and_not1_saveexec_b32 s8, s8
; %bb.1054:
	v_mov_b32_e32 v2, 0x7f
	v_cmp_lt_u32_e32 vcc_lo, 0x7f800000, v3
	s_delay_alu instid0(VALU_DEP_2)
	v_cndmask_b32_e32 v2, 0x7c, v2, vcc_lo
; %bb.1055:
	s_or_b32 exec_lo, exec_lo, s8
	v_lshrrev_b32_e32 v3, 24, v4
	s_delay_alu instid0(VALU_DEP_1)
	v_and_or_b32 v2, 0x80, v3, v2
	global_store_b8 v[0:1], v2, off
.LBB15_1056:
	s_mov_b32 s8, 0
.LBB15_1057:
	s_delay_alu instid0(SALU_CYCLE_1)
	s_and_not1_b32 vcc_lo, exec_lo, s8
	s_mov_b32 s9, 0
	s_cbranch_vccnz .LBB15_1068
; %bb.1058:
	s_cmp_gt_i32 s4, 14
	s_mov_b32 s8, -1
	s_cbranch_scc0 .LBB15_1062
; %bb.1059:
	s_cmp_eq_u32 s4, 15
	s_mov_b32 s0, -1
	s_cbranch_scc0 .LBB15_1061
; %bb.1060:
	s_wait_xcnt 0x0
	v_bfe_u32 v2, v4, 16, 1
	v_cmp_o_f32_e32 vcc_lo, v4, v4
	s_mov_b32 s0, 0
	s_delay_alu instid0(VALU_DEP_2) | instskip(NEXT) | instid1(VALU_DEP_1)
	v_add3_u32 v2, v4, v2, 0x7fff
	v_lshrrev_b32_e32 v2, 16, v2
	s_delay_alu instid0(VALU_DEP_1)
	v_cndmask_b32_e32 v2, 0x7fc0, v2, vcc_lo
	global_store_b16 v[0:1], v2, off
.LBB15_1061:
	s_mov_b32 s8, 0
.LBB15_1062:
	s_delay_alu instid0(SALU_CYCLE_1)
	s_and_b32 vcc_lo, exec_lo, s8
	s_cbranch_vccz .LBB15_1068
; %bb.1063:
	s_cmp_lg_u32 s4, 11
	s_mov_b32 s9, -1
	s_cselect_b32 s4, -1, 0
	s_and_not1_b32 s0, s0, exec_lo
	s_and_b32 s4, s4, exec_lo
	s_delay_alu instid0(SALU_CYCLE_1)
	s_or_b32 s0, s0, s4
	s_branch .LBB15_1068
.LBB15_1064:
	s_or_b32 exec_lo, exec_lo, s7
	s_and_saveexec_b32 s0, s18
	s_cbranch_execnz .LBB15_1069
.LBB15_1065:
	s_or_b32 exec_lo, exec_lo, s0
	s_and_saveexec_b32 s0, s9
	s_delay_alu instid0(SALU_CYCLE_1)
	s_xor_b32 s0, exec_lo, s0
	s_cbranch_execz .LBB15_1070
.LBB15_1066:
	v_cmp_neq_f32_e32 vcc_lo, 0, v4
	v_cndmask_b32_e64 v2, 0, 1, vcc_lo
	s_wait_loadcnt 0x0
	global_store_b8 v[0:1], v2, off
	s_wait_xcnt 0x0
	s_or_b32 exec_lo, exec_lo, s0
	s_and_saveexec_b32 s0, s8
	s_delay_alu instid0(SALU_CYCLE_1)
	s_xor_b32 s0, exec_lo, s0
	s_cbranch_execz .LBB15_1108
	s_branch .LBB15_1071
.LBB15_1067:
	s_mov_b32 s9, 0
.LBB15_1068:
	s_and_not1_b32 s4, s18, exec_lo
	s_and_b32 s0, s0, exec_lo
	s_and_b32 s8, s5, exec_lo
	;; [unrolled: 1-line block ×3, first 2 shown]
	s_or_b32 s18, s4, s0
	s_wait_xcnt 0x0
	s_or_b32 exec_lo, exec_lo, s7
	s_and_saveexec_b32 s0, s18
	s_cbranch_execz .LBB15_1065
.LBB15_1069:
	s_or_b32 s6, s6, exec_lo
	s_and_not1_b32 s9, s9, exec_lo
	s_trap 2
	s_or_b32 exec_lo, exec_lo, s0
	s_and_saveexec_b32 s0, s9
	s_delay_alu instid0(SALU_CYCLE_1)
	s_xor_b32 s0, exec_lo, s0
	s_cbranch_execnz .LBB15_1066
.LBB15_1070:
	s_or_b32 exec_lo, exec_lo, s0
	s_and_saveexec_b32 s0, s8
	s_delay_alu instid0(SALU_CYCLE_1)
	s_xor_b32 s0, exec_lo, s0
	s_cbranch_execz .LBB15_1108
.LBB15_1071:
	s_sext_i32_i16 s5, s1
	s_mov_b32 s4, -1
	s_cmp_lt_i32 s5, 5
	s_cbranch_scc1 .LBB15_1092
; %bb.1072:
	s_cmp_lt_i32 s5, 8
	s_cbranch_scc1 .LBB15_1082
; %bb.1073:
	s_cmp_lt_i32 s5, 9
	s_cbranch_scc1 .LBB15_1079
; %bb.1074:
	s_cmp_gt_i32 s5, 9
	s_cbranch_scc0 .LBB15_1076
; %bb.1075:
	s_wait_loadcnt 0x0
	v_cvt_f64_f32_e32 v[6:7], v4
	v_mov_b32_e32 v8, 0
	s_mov_b32 s4, 0
	s_delay_alu instid0(VALU_DEP_1)
	v_mov_b32_e32 v9, v8
	global_store_b128 v[0:1], v[6:9], off
.LBB15_1076:
	s_and_not1_b32 vcc_lo, exec_lo, s4
	s_cbranch_vccnz .LBB15_1078
; %bb.1077:
	v_mov_b32_e32 v5, 0
	s_wait_loadcnt 0x0
	global_store_b64 v[0:1], v[4:5], off
.LBB15_1078:
	s_mov_b32 s4, 0
.LBB15_1079:
	s_delay_alu instid0(SALU_CYCLE_1)
	s_and_not1_b32 vcc_lo, exec_lo, s4
	s_cbranch_vccnz .LBB15_1081
; %bb.1080:
	v_cvt_f16_f32_e32 v2, v4
	s_delay_alu instid0(VALU_DEP_1)
	v_and_b32_e32 v2, 0xffff, v2
	s_wait_loadcnt 0x0
	global_store_b32 v[0:1], v2, off
.LBB15_1081:
	s_mov_b32 s4, 0
.LBB15_1082:
	s_delay_alu instid0(SALU_CYCLE_1)
	s_and_not1_b32 vcc_lo, exec_lo, s4
	s_cbranch_vccnz .LBB15_1091
; %bb.1083:
	s_sext_i32_i16 s5, s1
	s_mov_b32 s4, -1
	s_cmp_lt_i32 s5, 6
	s_cbranch_scc1 .LBB15_1089
; %bb.1084:
	s_cmp_gt_i32 s5, 6
	s_cbranch_scc0 .LBB15_1086
; %bb.1085:
	s_wait_xcnt 0x0
	v_cvt_f64_f32_e32 v[2:3], v4
	s_mov_b32 s4, 0
	s_wait_loadcnt 0x0
	global_store_b64 v[0:1], v[2:3], off
.LBB15_1086:
	s_and_not1_b32 vcc_lo, exec_lo, s4
	s_cbranch_vccnz .LBB15_1088
; %bb.1087:
	s_wait_loadcnt 0x0
	global_store_b32 v[0:1], v4, off
.LBB15_1088:
	s_mov_b32 s4, 0
.LBB15_1089:
	s_delay_alu instid0(SALU_CYCLE_1)
	s_and_not1_b32 vcc_lo, exec_lo, s4
	s_cbranch_vccnz .LBB15_1091
; %bb.1090:
	s_wait_xcnt 0x0
	v_cvt_f16_f32_e32 v2, v4
	s_wait_loadcnt 0x0
	global_store_b16 v[0:1], v2, off
.LBB15_1091:
	s_mov_b32 s4, 0
.LBB15_1092:
	s_delay_alu instid0(SALU_CYCLE_1)
	s_and_not1_b32 vcc_lo, exec_lo, s4
	s_cbranch_vccnz .LBB15_1108
; %bb.1093:
	s_sext_i32_i16 s5, s1
	s_mov_b32 s4, -1
	s_cmp_lt_i32 s5, 2
	s_cbranch_scc1 .LBB15_1103
; %bb.1094:
	s_cmp_lt_i32 s5, 3
	s_cbranch_scc1 .LBB15_1100
; %bb.1095:
	s_cmp_gt_i32 s5, 3
	s_cbranch_scc0 .LBB15_1097
; %bb.1096:
	s_wait_xcnt 0x0
	v_trunc_f32_e32 v2, v4
	s_mov_b32 s4, 0
	s_delay_alu instid0(VALU_DEP_1) | instskip(NEXT) | instid1(VALU_DEP_1)
	v_mul_f32_e64 v3, 0x2f800000, |v2|
	v_floor_f32_e32 v3, v3
	s_delay_alu instid0(VALU_DEP_1) | instskip(SKIP_3) | instid1(VALU_DEP_3)
	v_fma_f32 v5, 0xcf800000, v3, |v2|
	v_ashrrev_i32_e32 v2, 31, v2
	s_wait_loadcnt 0x0
	v_cvt_u32_f32_e32 v6, v3
	v_cvt_u32_f32_e32 v5, v5
	s_delay_alu instid0(VALU_DEP_3) | instskip(NEXT) | instid1(VALU_DEP_3)
	v_mov_b32_e32 v3, v2
	v_xor_b32_e32 v7, v6, v2
	s_delay_alu instid0(VALU_DEP_3) | instskip(NEXT) | instid1(VALU_DEP_1)
	v_xor_b32_e32 v6, v5, v2
	v_sub_nc_u64_e32 v[2:3], v[6:7], v[2:3]
	global_store_b64 v[0:1], v[2:3], off
.LBB15_1097:
	s_and_not1_b32 vcc_lo, exec_lo, s4
	s_cbranch_vccnz .LBB15_1099
; %bb.1098:
	s_wait_xcnt 0x0
	v_cvt_i32_f32_e32 v2, v4
	s_wait_loadcnt 0x0
	global_store_b32 v[0:1], v2, off
.LBB15_1099:
	s_mov_b32 s4, 0
.LBB15_1100:
	s_delay_alu instid0(SALU_CYCLE_1)
	s_and_not1_b32 vcc_lo, exec_lo, s4
	s_cbranch_vccnz .LBB15_1102
; %bb.1101:
	s_wait_xcnt 0x0
	v_cvt_i32_f32_e32 v2, v4
	s_wait_loadcnt 0x0
	global_store_b16 v[0:1], v2, off
.LBB15_1102:
	s_mov_b32 s4, 0
.LBB15_1103:
	s_delay_alu instid0(SALU_CYCLE_1)
	s_and_not1_b32 vcc_lo, exec_lo, s4
	s_cbranch_vccnz .LBB15_1108
; %bb.1104:
	s_sext_i32_i16 s1, s1
	s_delay_alu instid0(SALU_CYCLE_1)
	s_cmp_gt_i32 s1, 0
	s_mov_b32 s1, -1
	s_cbranch_scc0 .LBB15_1106
; %bb.1105:
	s_wait_xcnt 0x0
	v_cvt_i32_f32_e32 v2, v4
	s_mov_b32 s1, 0
	s_wait_loadcnt 0x0
	global_store_b8 v[0:1], v2, off
.LBB15_1106:
	s_and_not1_b32 vcc_lo, exec_lo, s1
	s_cbranch_vccnz .LBB15_1108
; %bb.1107:
	s_wait_xcnt 0x0
	v_trunc_f32_e32 v2, v4
	s_delay_alu instid0(VALU_DEP_1) | instskip(NEXT) | instid1(VALU_DEP_1)
	v_mul_f32_e64 v3, 0x2f800000, |v2|
	v_floor_f32_e32 v3, v3
	s_delay_alu instid0(VALU_DEP_1) | instskip(SKIP_1) | instid1(VALU_DEP_2)
	v_fma_f32 v3, 0xcf800000, v3, |v2|
	v_ashrrev_i32_e32 v2, 31, v2
	v_cvt_u32_f32_e32 v3, v3
	s_delay_alu instid0(VALU_DEP_1) | instskip(NEXT) | instid1(VALU_DEP_1)
	v_xor_b32_e32 v3, v3, v2
	v_sub_nc_u32_e32 v2, v3, v2
	s_wait_loadcnt 0x0
	global_store_b8 v[0:1], v2, off
.LBB15_1108:
	s_wait_xcnt 0x0
	s_or_b32 exec_lo, exec_lo, s0
	s_delay_alu instid0(SALU_CYCLE_1)
	s_and_b32 s8, s6, exec_lo
                                        ; implicit-def: $vgpr9
                                        ; implicit-def: $vgpr0
.LBB15_1109:
	s_or_saveexec_b32 s9, s33
	s_mov_b32 s0, 0
                                        ; implicit-def: $vgpr2_vgpr3
                                        ; implicit-def: $sgpr1
                                        ; implicit-def: $vgpr4
	s_xor_b32 exec_lo, exec_lo, s9
	s_cbranch_execz .LBB15_2134
; %bb.1110:
	s_wait_loadcnt 0x0
	v_cndmask_b32_e64 v1, 0, 1, s31
	s_and_not1_b32 vcc_lo, exec_lo, s31
	s_cbranch_vccnz .LBB15_1116
; %bb.1111:
	s_cmp_lg_u32 s28, 0
	s_mov_b32 s10, 0
	s_cbranch_scc0 .LBB15_1117
; %bb.1112:
	s_min_u32 s1, s29, 15
	s_delay_alu instid0(SALU_CYCLE_1)
	s_add_co_i32 s1, s1, 1
	s_cmp_eq_u32 s29, 2
	s_cbranch_scc1 .LBB15_1118
; %bb.1113:
	v_dual_mov_b32 v6, 0 :: v_dual_mov_b32 v14, 0
	v_mov_b32_e32 v2, v0
	s_and_b32 s0, s1, 28
	s_add_nc_u64 s[4:5], s[2:3], 0xc4
	s_mov_b32 s11, 0
	s_mov_b64 s[6:7], s[2:3]
.LBB15_1114:                            ; =>This Inner Loop Header: Depth=1
	s_clause 0x1
	s_load_b256 s[12:19], s[6:7], 0x4
	s_load_b128 s[36:39], s[6:7], 0x24
	s_load_b256 s[20:27], s[4:5], 0x0
	s_add_co_i32 s11, s11, 4
	s_wait_xcnt 0x0
	s_add_nc_u64 s[6:7], s[6:7], 48
	s_cmp_lg_u32 s0, s11
	s_add_nc_u64 s[4:5], s[4:5], 32
	s_wait_kmcnt 0x0
	v_mul_hi_u32 v3, s13, v2
	s_delay_alu instid0(VALU_DEP_1) | instskip(NEXT) | instid1(VALU_DEP_1)
	v_add_nc_u32_e32 v3, v2, v3
	v_lshrrev_b32_e32 v3, s14, v3
	s_delay_alu instid0(VALU_DEP_1) | instskip(NEXT) | instid1(VALU_DEP_1)
	v_mul_hi_u32 v4, s16, v3
	v_add_nc_u32_e32 v4, v3, v4
	s_delay_alu instid0(VALU_DEP_1) | instskip(NEXT) | instid1(VALU_DEP_1)
	v_lshrrev_b32_e32 v4, s17, v4
	v_mul_hi_u32 v5, s19, v4
	s_delay_alu instid0(VALU_DEP_1) | instskip(SKIP_1) | instid1(VALU_DEP_1)
	v_add_nc_u32_e32 v5, v4, v5
	v_mul_lo_u32 v7, v3, s12
	v_sub_nc_u32_e32 v2, v2, v7
	v_mul_lo_u32 v7, v4, s15
	s_delay_alu instid0(VALU_DEP_4) | instskip(NEXT) | instid1(VALU_DEP_3)
	v_lshrrev_b32_e32 v5, s36, v5
	v_mad_u32 v10, v2, s21, v14
	v_mad_u32 v2, v2, s20, v6
	s_delay_alu instid0(VALU_DEP_4) | instskip(NEXT) | instid1(VALU_DEP_4)
	v_sub_nc_u32_e32 v3, v3, v7
	v_mul_hi_u32 v8, s38, v5
	v_mul_lo_u32 v6, v5, s18
	s_delay_alu instid0(VALU_DEP_1) | instskip(NEXT) | instid1(VALU_DEP_4)
	v_dual_add_nc_u32 v7, v5, v8 :: v_dual_sub_nc_u32 v4, v4, v6
	v_mad_u32 v8, v3, s23, v10
	v_mad_u32 v3, v3, s22, v2
	s_delay_alu instid0(VALU_DEP_3) | instskip(NEXT) | instid1(VALU_DEP_1)
	v_lshrrev_b32_e32 v2, s39, v7
	v_mul_lo_u32 v6, v2, s37
	s_delay_alu instid0(VALU_DEP_4) | instskip(NEXT) | instid1(VALU_DEP_4)
	v_mad_u32 v7, v4, s25, v8
	v_mad_u32 v3, v4, s24, v3
	s_delay_alu instid0(VALU_DEP_3) | instskip(NEXT) | instid1(VALU_DEP_1)
	v_sub_nc_u32_e32 v4, v5, v6
	v_mad_u32 v14, v4, s27, v7
	s_delay_alu instid0(VALU_DEP_3)
	v_mad_u32 v6, v4, s26, v3
	s_cbranch_scc1 .LBB15_1114
; %bb.1115:
	s_delay_alu instid0(VALU_DEP_2)
	v_mov_b32_e32 v7, v14
	s_and_b32 s6, s1, 3
	s_mov_b32 s1, 0
	s_cmp_eq_u32 s6, 0
	s_cbranch_scc0 .LBB15_1119
	s_branch .LBB15_1122
.LBB15_1116:
	s_mov_b32 s10, -1
                                        ; implicit-def: $vgpr14
                                        ; implicit-def: $vgpr6
	s_branch .LBB15_1122
.LBB15_1117:
	v_dual_mov_b32 v14, 0 :: v_dual_mov_b32 v6, 0
	s_branch .LBB15_1122
.LBB15_1118:
	v_mov_b64_e32 v[6:7], 0
	v_mov_b32_e32 v2, v0
                                        ; implicit-def: $vgpr14
	s_and_b32 s6, s1, 3
	s_mov_b32 s1, 0
	s_cmp_eq_u32 s6, 0
	s_cbranch_scc1 .LBB15_1122
.LBB15_1119:
	s_lshl_b32 s4, s0, 3
	s_mov_b32 s5, s1
	s_mul_u64 s[12:13], s[0:1], 12
	s_add_nc_u64 s[4:5], s[2:3], s[4:5]
	s_delay_alu instid0(SALU_CYCLE_1)
	s_add_nc_u64 s[0:1], s[4:5], 0xc4
	s_add_nc_u64 s[4:5], s[2:3], s[12:13]
.LBB15_1120:                            ; =>This Inner Loop Header: Depth=1
	s_load_b96 s[12:14], s[4:5], 0x4
	s_add_co_i32 s6, s6, -1
	s_wait_xcnt 0x0
	s_add_nc_u64 s[4:5], s[4:5], 12
	s_cmp_lg_u32 s6, 0
	s_wait_kmcnt 0x0
	v_mul_hi_u32 v3, s13, v2
	s_delay_alu instid0(VALU_DEP_1) | instskip(NEXT) | instid1(VALU_DEP_1)
	v_add_nc_u32_e32 v3, v2, v3
	v_lshrrev_b32_e32 v3, s14, v3
	s_load_b64 s[14:15], s[0:1], 0x0
	s_wait_xcnt 0x0
	s_add_nc_u64 s[0:1], s[0:1], 8
	s_delay_alu instid0(VALU_DEP_1) | instskip(NEXT) | instid1(VALU_DEP_1)
	v_mul_lo_u32 v4, v3, s12
	v_sub_nc_u32_e32 v2, v2, v4
	s_wait_kmcnt 0x0
	s_delay_alu instid0(VALU_DEP_1)
	v_mad_u32 v7, v2, s15, v7
	v_mad_u32 v6, v2, s14, v6
	v_mov_b32_e32 v2, v3
	s_cbranch_scc1 .LBB15_1120
; %bb.1121:
	s_delay_alu instid0(VALU_DEP_3)
	v_mov_b32_e32 v14, v7
.LBB15_1122:
	s_and_not1_b32 vcc_lo, exec_lo, s10
	s_cbranch_vccnz .LBB15_1125
; %bb.1123:
	s_clause 0x1
	s_load_b96 s[4:6], s[2:3], 0x4
	s_load_b64 s[0:1], s[2:3], 0xc4
	s_cmp_lt_u32 s28, 2
	s_wait_kmcnt 0x0
	v_mul_hi_u32 v2, s5, v0
	s_delay_alu instid0(VALU_DEP_1) | instskip(NEXT) | instid1(VALU_DEP_1)
	v_add_nc_u32_e32 v2, v0, v2
	v_lshrrev_b32_e32 v2, s6, v2
	s_delay_alu instid0(VALU_DEP_1) | instskip(NEXT) | instid1(VALU_DEP_1)
	v_mul_lo_u32 v3, v2, s4
	v_sub_nc_u32_e32 v3, v0, v3
	s_delay_alu instid0(VALU_DEP_1)
	v_mul_lo_u32 v14, v3, s1
	v_mul_lo_u32 v6, v3, s0
	s_cbranch_scc1 .LBB15_1125
; %bb.1124:
	s_clause 0x1
	s_load_b96 s[4:6], s[2:3], 0x10
	s_load_b64 s[0:1], s[2:3], 0xcc
	s_wait_kmcnt 0x0
	v_mul_hi_u32 v3, s5, v2
	s_delay_alu instid0(VALU_DEP_1) | instskip(NEXT) | instid1(VALU_DEP_1)
	v_add_nc_u32_e32 v3, v2, v3
	v_lshrrev_b32_e32 v3, s6, v3
	s_delay_alu instid0(VALU_DEP_1) | instskip(NEXT) | instid1(VALU_DEP_1)
	v_mul_lo_u32 v3, v3, s4
	v_sub_nc_u32_e32 v2, v2, v3
	s_delay_alu instid0(VALU_DEP_1)
	v_mad_u32 v6, v2, s0, v6
	v_mad_u32 v14, v2, s1, v14
.LBB15_1125:
	v_cmp_ne_u32_e32 vcc_lo, 1, v1
	v_add_nc_u32_e32 v2, 0x80, v0
	s_cbranch_vccnz .LBB15_1131
; %bb.1126:
	s_cmp_lg_u32 s28, 0
	s_mov_b32 s10, 0
	s_cbranch_scc0 .LBB15_1132
; %bb.1127:
	s_min_u32 s1, s29, 15
	s_delay_alu instid0(SALU_CYCLE_1)
	s_add_co_i32 s1, s1, 1
	s_cmp_eq_u32 s29, 2
	s_cbranch_scc1 .LBB15_1133
; %bb.1128:
	v_dual_mov_b32 v4, 0 :: v_dual_mov_b32 v12, 0
	v_mov_b32_e32 v3, v2
	s_and_b32 s0, s1, 28
	s_add_nc_u64 s[4:5], s[2:3], 0xc4
	s_mov_b32 s11, 0
	s_mov_b64 s[6:7], s[2:3]
.LBB15_1129:                            ; =>This Inner Loop Header: Depth=1
	s_clause 0x1
	s_load_b256 s[12:19], s[6:7], 0x4
	s_load_b128 s[36:39], s[6:7], 0x24
	s_load_b256 s[20:27], s[4:5], 0x0
	s_add_co_i32 s11, s11, 4
	s_wait_xcnt 0x0
	s_add_nc_u64 s[6:7], s[6:7], 48
	s_cmp_lg_u32 s0, s11
	s_add_nc_u64 s[4:5], s[4:5], 32
	s_wait_kmcnt 0x0
	v_mul_hi_u32 v5, s13, v3
	s_delay_alu instid0(VALU_DEP_1) | instskip(NEXT) | instid1(VALU_DEP_1)
	v_add_nc_u32_e32 v5, v3, v5
	v_lshrrev_b32_e32 v5, s14, v5
	s_delay_alu instid0(VALU_DEP_1) | instskip(NEXT) | instid1(VALU_DEP_1)
	v_mul_hi_u32 v7, s16, v5
	v_add_nc_u32_e32 v7, v5, v7
	s_delay_alu instid0(VALU_DEP_1) | instskip(NEXT) | instid1(VALU_DEP_1)
	v_lshrrev_b32_e32 v7, s17, v7
	v_mul_hi_u32 v8, s19, v7
	s_delay_alu instid0(VALU_DEP_1) | instskip(SKIP_1) | instid1(VALU_DEP_1)
	v_add_nc_u32_e32 v8, v7, v8
	v_mul_lo_u32 v10, v5, s12
	v_sub_nc_u32_e32 v3, v3, v10
	v_mul_lo_u32 v10, v7, s15
	s_delay_alu instid0(VALU_DEP_4) | instskip(NEXT) | instid1(VALU_DEP_3)
	v_lshrrev_b32_e32 v8, s36, v8
	v_mad_u32 v12, v3, s21, v12
	v_mad_u32 v3, v3, s20, v4
	s_delay_alu instid0(VALU_DEP_4) | instskip(NEXT) | instid1(VALU_DEP_4)
	v_sub_nc_u32_e32 v4, v5, v10
	v_mul_hi_u32 v11, s38, v8
	v_mul_lo_u32 v5, v8, s18
	s_delay_alu instid0(VALU_DEP_1) | instskip(NEXT) | instid1(VALU_DEP_4)
	v_dual_add_nc_u32 v10, v8, v11 :: v_dual_sub_nc_u32 v5, v7, v5
	v_mad_u32 v11, v4, s23, v12
	v_mad_u32 v4, v4, s22, v3
	s_delay_alu instid0(VALU_DEP_3) | instskip(NEXT) | instid1(VALU_DEP_1)
	v_lshrrev_b32_e32 v3, s39, v10
	v_mul_lo_u32 v7, v3, s37
	s_delay_alu instid0(VALU_DEP_4) | instskip(NEXT) | instid1(VALU_DEP_4)
	v_mad_u32 v10, v5, s25, v11
	v_mad_u32 v4, v5, s24, v4
	s_delay_alu instid0(VALU_DEP_3) | instskip(NEXT) | instid1(VALU_DEP_1)
	v_sub_nc_u32_e32 v5, v8, v7
	v_mad_u32 v12, v5, s27, v10
	s_delay_alu instid0(VALU_DEP_3)
	v_mad_u32 v4, v5, s26, v4
	s_cbranch_scc1 .LBB15_1129
; %bb.1130:
	s_delay_alu instid0(VALU_DEP_2)
	v_mov_b32_e32 v5, v12
	s_and_b32 s6, s1, 3
	s_mov_b32 s1, 0
	s_cmp_eq_u32 s6, 0
	s_cbranch_scc0 .LBB15_1134
	s_branch .LBB15_1137
.LBB15_1131:
	s_mov_b32 s10, -1
                                        ; implicit-def: $vgpr12
                                        ; implicit-def: $vgpr4
	s_branch .LBB15_1137
.LBB15_1132:
	v_dual_mov_b32 v12, 0 :: v_dual_mov_b32 v4, 0
	s_branch .LBB15_1137
.LBB15_1133:
	v_mov_b64_e32 v[4:5], 0
	v_mov_b32_e32 v3, v2
	s_mov_b32 s0, 0
                                        ; implicit-def: $vgpr12
	s_and_b32 s6, s1, 3
	s_mov_b32 s1, 0
	s_cmp_eq_u32 s6, 0
	s_cbranch_scc1 .LBB15_1137
.LBB15_1134:
	s_lshl_b32 s4, s0, 3
	s_mov_b32 s5, s1
	s_mul_u64 s[12:13], s[0:1], 12
	s_add_nc_u64 s[4:5], s[2:3], s[4:5]
	s_delay_alu instid0(SALU_CYCLE_1)
	s_add_nc_u64 s[0:1], s[4:5], 0xc4
	s_add_nc_u64 s[4:5], s[2:3], s[12:13]
.LBB15_1135:                            ; =>This Inner Loop Header: Depth=1
	s_load_b96 s[12:14], s[4:5], 0x4
	s_add_co_i32 s6, s6, -1
	s_wait_xcnt 0x0
	s_add_nc_u64 s[4:5], s[4:5], 12
	s_cmp_lg_u32 s6, 0
	s_wait_kmcnt 0x0
	v_mul_hi_u32 v7, s13, v3
	s_delay_alu instid0(VALU_DEP_1) | instskip(NEXT) | instid1(VALU_DEP_1)
	v_add_nc_u32_e32 v7, v3, v7
	v_lshrrev_b32_e32 v7, s14, v7
	s_load_b64 s[14:15], s[0:1], 0x0
	s_wait_xcnt 0x0
	s_add_nc_u64 s[0:1], s[0:1], 8
	s_delay_alu instid0(VALU_DEP_1) | instskip(NEXT) | instid1(VALU_DEP_1)
	v_mul_lo_u32 v8, v7, s12
	v_sub_nc_u32_e32 v3, v3, v8
	s_wait_kmcnt 0x0
	s_delay_alu instid0(VALU_DEP_1)
	v_mad_u32 v5, v3, s15, v5
	v_mad_u32 v4, v3, s14, v4
	v_mov_b32_e32 v3, v7
	s_cbranch_scc1 .LBB15_1135
; %bb.1136:
	s_delay_alu instid0(VALU_DEP_3)
	v_mov_b32_e32 v12, v5
.LBB15_1137:
	s_and_not1_b32 vcc_lo, exec_lo, s10
	s_cbranch_vccnz .LBB15_1140
; %bb.1138:
	s_clause 0x1
	s_load_b96 s[4:6], s[2:3], 0x4
	s_load_b64 s[0:1], s[2:3], 0xc4
	s_cmp_lt_u32 s28, 2
	s_wait_kmcnt 0x0
	v_mul_hi_u32 v3, s5, v2
	s_delay_alu instid0(VALU_DEP_1) | instskip(NEXT) | instid1(VALU_DEP_1)
	v_add_nc_u32_e32 v3, v2, v3
	v_lshrrev_b32_e32 v3, s6, v3
	s_delay_alu instid0(VALU_DEP_1) | instskip(NEXT) | instid1(VALU_DEP_1)
	v_mul_lo_u32 v4, v3, s4
	v_sub_nc_u32_e32 v2, v2, v4
	s_delay_alu instid0(VALU_DEP_1)
	v_mul_lo_u32 v12, v2, s1
	v_mul_lo_u32 v4, v2, s0
	s_cbranch_scc1 .LBB15_1140
; %bb.1139:
	s_clause 0x1
	s_load_b96 s[4:6], s[2:3], 0x10
	s_load_b64 s[0:1], s[2:3], 0xcc
	s_wait_kmcnt 0x0
	v_mul_hi_u32 v2, s5, v3
	s_delay_alu instid0(VALU_DEP_1) | instskip(NEXT) | instid1(VALU_DEP_1)
	v_add_nc_u32_e32 v2, v3, v2
	v_lshrrev_b32_e32 v2, s6, v2
	s_delay_alu instid0(VALU_DEP_1) | instskip(NEXT) | instid1(VALU_DEP_1)
	v_mul_lo_u32 v2, v2, s4
	v_sub_nc_u32_e32 v2, v3, v2
	s_delay_alu instid0(VALU_DEP_1)
	v_mad_u32 v4, v2, s0, v4
	v_mad_u32 v12, v2, s1, v12
.LBB15_1140:
	v_cmp_ne_u32_e32 vcc_lo, 1, v1
	v_add_nc_u32_e32 v0, 0x100, v0
	s_cbranch_vccnz .LBB15_1146
; %bb.1141:
	s_cmp_lg_u32 s28, 0
	s_mov_b32 s10, 0
	s_cbranch_scc0 .LBB15_1147
; %bb.1142:
	s_min_u32 s1, s29, 15
	s_delay_alu instid0(SALU_CYCLE_1)
	s_add_co_i32 s1, s1, 1
	s_cmp_eq_u32 s29, 2
	s_cbranch_scc1 .LBB15_1148
; %bb.1143:
	v_dual_mov_b32 v2, 0 :: v_dual_mov_b32 v10, 0
	v_mov_b32_e32 v5, v0
	s_and_b32 s0, s1, 28
	s_add_nc_u64 s[4:5], s[2:3], 0xc4
	s_mov_b32 s11, 0
	s_mov_b64 s[6:7], s[2:3]
.LBB15_1144:                            ; =>This Inner Loop Header: Depth=1
	s_clause 0x1
	s_load_b256 s[12:19], s[6:7], 0x4
	s_load_b128 s[36:39], s[6:7], 0x24
	s_load_b256 s[20:27], s[4:5], 0x0
	s_add_co_i32 s11, s11, 4
	s_wait_xcnt 0x0
	s_add_nc_u64 s[6:7], s[6:7], 48
	s_cmp_lg_u32 s0, s11
	s_add_nc_u64 s[4:5], s[4:5], 32
	s_wait_kmcnt 0x0
	v_mul_hi_u32 v3, s13, v5
	s_delay_alu instid0(VALU_DEP_1) | instskip(NEXT) | instid1(VALU_DEP_1)
	v_add_nc_u32_e32 v3, v5, v3
	v_lshrrev_b32_e32 v3, s14, v3
	s_delay_alu instid0(VALU_DEP_1) | instskip(NEXT) | instid1(VALU_DEP_1)
	v_mul_hi_u32 v7, s16, v3
	v_add_nc_u32_e32 v7, v3, v7
	s_delay_alu instid0(VALU_DEP_1) | instskip(NEXT) | instid1(VALU_DEP_1)
	v_lshrrev_b32_e32 v7, s17, v7
	v_mul_hi_u32 v8, s19, v7
	s_delay_alu instid0(VALU_DEP_1) | instskip(NEXT) | instid1(VALU_DEP_1)
	v_add_nc_u32_e32 v8, v7, v8
	v_lshrrev_b32_e32 v8, s36, v8
	v_mul_lo_u32 v11, v3, s12
	s_delay_alu instid0(VALU_DEP_2) | instskip(NEXT) | instid1(VALU_DEP_2)
	v_mul_hi_u32 v13, s38, v8
	v_sub_nc_u32_e32 v5, v5, v11
	s_delay_alu instid0(VALU_DEP_1) | instskip(SKIP_1) | instid1(VALU_DEP_4)
	v_mad_u32 v10, v5, s21, v10
	v_mad_u32 v2, v5, s20, v2
	v_add_nc_u32_e32 v5, v8, v13
	s_delay_alu instid0(VALU_DEP_1) | instskip(SKIP_1) | instid1(VALU_DEP_1)
	v_lshrrev_b32_e32 v5, s39, v5
	v_mul_lo_u32 v11, v7, s15
	v_sub_nc_u32_e32 v3, v3, v11
	v_mul_lo_u32 v11, v8, s18
	s_delay_alu instid0(VALU_DEP_2) | instskip(SKIP_1) | instid1(VALU_DEP_3)
	v_mad_u32 v10, v3, s23, v10
	v_mad_u32 v2, v3, s22, v2
	v_sub_nc_u32_e32 v3, v7, v11
	v_mul_lo_u32 v7, v5, s37
	s_delay_alu instid0(VALU_DEP_2) | instskip(NEXT) | instid1(VALU_DEP_4)
	v_mad_u32 v10, v3, s25, v10
	v_mad_u32 v2, v3, s24, v2
	s_delay_alu instid0(VALU_DEP_3) | instskip(NEXT) | instid1(VALU_DEP_1)
	v_sub_nc_u32_e32 v3, v8, v7
	v_mad_u32 v10, v3, s27, v10
	s_delay_alu instid0(VALU_DEP_3)
	v_mad_u32 v2, v3, s26, v2
	s_cbranch_scc1 .LBB15_1144
; %bb.1145:
	s_delay_alu instid0(VALU_DEP_2)
	v_mov_b32_e32 v3, v10
	s_and_b32 s6, s1, 3
	s_mov_b32 s1, 0
	s_cmp_eq_u32 s6, 0
	s_cbranch_scc0 .LBB15_1149
	s_branch .LBB15_1152
.LBB15_1146:
	s_mov_b32 s10, -1
                                        ; implicit-def: $vgpr10
                                        ; implicit-def: $vgpr2
	s_branch .LBB15_1152
.LBB15_1147:
	v_dual_mov_b32 v10, 0 :: v_dual_mov_b32 v2, 0
	s_branch .LBB15_1152
.LBB15_1148:
	v_mov_b64_e32 v[2:3], 0
	v_mov_b32_e32 v5, v0
	s_mov_b32 s0, 0
                                        ; implicit-def: $vgpr10
	s_and_b32 s6, s1, 3
	s_mov_b32 s1, 0
	s_cmp_eq_u32 s6, 0
	s_cbranch_scc1 .LBB15_1152
.LBB15_1149:
	s_lshl_b32 s4, s0, 3
	s_mov_b32 s5, s1
	s_mul_u64 s[12:13], s[0:1], 12
	s_add_nc_u64 s[4:5], s[2:3], s[4:5]
	s_delay_alu instid0(SALU_CYCLE_1)
	s_add_nc_u64 s[0:1], s[4:5], 0xc4
	s_add_nc_u64 s[4:5], s[2:3], s[12:13]
.LBB15_1150:                            ; =>This Inner Loop Header: Depth=1
	s_load_b96 s[12:14], s[4:5], 0x4
	s_add_co_i32 s6, s6, -1
	s_wait_xcnt 0x0
	s_add_nc_u64 s[4:5], s[4:5], 12
	s_cmp_lg_u32 s6, 0
	s_wait_kmcnt 0x0
	v_mul_hi_u32 v7, s13, v5
	s_delay_alu instid0(VALU_DEP_1) | instskip(NEXT) | instid1(VALU_DEP_1)
	v_add_nc_u32_e32 v7, v5, v7
	v_lshrrev_b32_e32 v7, s14, v7
	s_load_b64 s[14:15], s[0:1], 0x0
	s_wait_xcnt 0x0
	s_add_nc_u64 s[0:1], s[0:1], 8
	s_delay_alu instid0(VALU_DEP_1) | instskip(NEXT) | instid1(VALU_DEP_1)
	v_mul_lo_u32 v8, v7, s12
	v_sub_nc_u32_e32 v5, v5, v8
	s_wait_kmcnt 0x0
	s_delay_alu instid0(VALU_DEP_1)
	v_mad_u32 v3, v5, s15, v3
	v_mad_u32 v2, v5, s14, v2
	v_mov_b32_e32 v5, v7
	s_cbranch_scc1 .LBB15_1150
; %bb.1151:
	s_delay_alu instid0(VALU_DEP_3)
	v_mov_b32_e32 v10, v3
.LBB15_1152:
	s_and_not1_b32 vcc_lo, exec_lo, s10
	s_cbranch_vccnz .LBB15_1155
; %bb.1153:
	s_clause 0x1
	s_load_b96 s[4:6], s[2:3], 0x4
	s_load_b64 s[0:1], s[2:3], 0xc4
	s_cmp_lt_u32 s28, 2
	s_wait_kmcnt 0x0
	v_mul_hi_u32 v2, s5, v0
	s_delay_alu instid0(VALU_DEP_1) | instskip(NEXT) | instid1(VALU_DEP_1)
	v_add_nc_u32_e32 v2, v0, v2
	v_lshrrev_b32_e32 v3, s6, v2
	s_delay_alu instid0(VALU_DEP_1) | instskip(NEXT) | instid1(VALU_DEP_1)
	v_mul_lo_u32 v2, v3, s4
	v_sub_nc_u32_e32 v0, v0, v2
	s_delay_alu instid0(VALU_DEP_1)
	v_mul_lo_u32 v10, v0, s1
	v_mul_lo_u32 v2, v0, s0
	s_cbranch_scc1 .LBB15_1155
; %bb.1154:
	s_clause 0x1
	s_load_b96 s[4:6], s[2:3], 0x10
	s_load_b64 s[0:1], s[2:3], 0xcc
	s_wait_kmcnt 0x0
	v_mul_hi_u32 v0, s5, v3
	s_delay_alu instid0(VALU_DEP_1) | instskip(NEXT) | instid1(VALU_DEP_1)
	v_add_nc_u32_e32 v0, v3, v0
	v_lshrrev_b32_e32 v0, s6, v0
	s_delay_alu instid0(VALU_DEP_1) | instskip(NEXT) | instid1(VALU_DEP_1)
	v_mul_lo_u32 v0, v0, s4
	v_sub_nc_u32_e32 v0, v3, v0
	s_delay_alu instid0(VALU_DEP_1)
	v_mad_u32 v2, v0, s0, v2
	v_mad_u32 v10, v0, s1, v10
.LBB15_1155:
	v_cmp_ne_u32_e32 vcc_lo, 1, v1
	s_cbranch_vccnz .LBB15_1161
; %bb.1156:
	s_cmp_lg_u32 s28, 0
	s_mov_b32 s10, 0
	s_cbranch_scc0 .LBB15_1162
; %bb.1157:
	s_min_u32 s1, s29, 15
	s_delay_alu instid0(SALU_CYCLE_1)
	s_add_co_i32 s1, s1, 1
	s_cmp_eq_u32 s29, 2
	s_cbranch_scc1 .LBB15_1163
; %bb.1158:
	v_dual_mov_b32 v0, 0 :: v_dual_mov_b32 v8, 0
	v_mov_b32_e32 v3, v9
	s_and_b32 s0, s1, 28
	s_add_nc_u64 s[4:5], s[2:3], 0xc4
	s_mov_b32 s11, 0
	s_mov_b64 s[6:7], s[2:3]
.LBB15_1159:                            ; =>This Inner Loop Header: Depth=1
	s_clause 0x1
	s_load_b256 s[12:19], s[6:7], 0x4
	s_load_b128 s[36:39], s[6:7], 0x24
	s_load_b256 s[20:27], s[4:5], 0x0
	s_add_co_i32 s11, s11, 4
	s_wait_xcnt 0x0
	s_add_nc_u64 s[6:7], s[6:7], 48
	s_cmp_lg_u32 s0, s11
	s_add_nc_u64 s[4:5], s[4:5], 32
	s_wait_kmcnt 0x0
	v_mul_hi_u32 v1, s13, v3
	s_delay_alu instid0(VALU_DEP_1) | instskip(NEXT) | instid1(VALU_DEP_1)
	v_add_nc_u32_e32 v1, v3, v1
	v_lshrrev_b32_e32 v1, s14, v1
	s_delay_alu instid0(VALU_DEP_1) | instskip(NEXT) | instid1(VALU_DEP_1)
	v_mul_lo_u32 v11, v1, s12
	v_sub_nc_u32_e32 v3, v3, v11
	v_mul_hi_u32 v5, s16, v1
	s_delay_alu instid0(VALU_DEP_2) | instskip(SKIP_1) | instid1(VALU_DEP_3)
	v_mad_u32 v8, v3, s21, v8
	v_mad_u32 v0, v3, s20, v0
	v_add_nc_u32_e32 v5, v1, v5
	s_delay_alu instid0(VALU_DEP_1) | instskip(NEXT) | instid1(VALU_DEP_1)
	v_lshrrev_b32_e32 v5, s17, v5
	v_mul_lo_u32 v11, v5, s15
	s_delay_alu instid0(VALU_DEP_1) | instskip(SKIP_1) | instid1(VALU_DEP_2)
	v_sub_nc_u32_e32 v1, v1, v11
	v_mul_hi_u32 v7, s19, v5
	v_mad_u32 v8, v1, s23, v8
	v_mad_u32 v0, v1, s22, v0
	s_delay_alu instid0(VALU_DEP_3) | instskip(NEXT) | instid1(VALU_DEP_1)
	v_add_nc_u32_e32 v7, v5, v7
	v_lshrrev_b32_e32 v7, s36, v7
	s_delay_alu instid0(VALU_DEP_1) | instskip(SKIP_1) | instid1(VALU_DEP_1)
	v_mul_hi_u32 v13, s38, v7
	v_mul_lo_u32 v11, v7, s18
	v_dual_add_nc_u32 v3, v7, v13 :: v_dual_sub_nc_u32 v1, v5, v11
	s_delay_alu instid0(VALU_DEP_1) | instskip(NEXT) | instid1(VALU_DEP_2)
	v_lshrrev_b32_e32 v3, s39, v3
	v_mad_u32 v8, v1, s25, v8
	v_mad_u32 v0, v1, s24, v0
	s_delay_alu instid0(VALU_DEP_3) | instskip(NEXT) | instid1(VALU_DEP_1)
	v_mul_lo_u32 v5, v3, s37
	v_sub_nc_u32_e32 v1, v7, v5
	s_delay_alu instid0(VALU_DEP_1) | instskip(NEXT) | instid1(VALU_DEP_4)
	v_mad_u32 v8, v1, s27, v8
	v_mad_u32 v0, v1, s26, v0
	s_cbranch_scc1 .LBB15_1159
; %bb.1160:
	s_delay_alu instid0(VALU_DEP_2)
	v_mov_b32_e32 v1, v8
	s_and_b32 s6, s1, 3
	s_mov_b32 s1, 0
	s_cmp_eq_u32 s6, 0
	s_cbranch_scc0 .LBB15_1164
	s_branch .LBB15_1167
.LBB15_1161:
	s_mov_b32 s10, -1
                                        ; implicit-def: $vgpr8
                                        ; implicit-def: $vgpr0
	s_branch .LBB15_1167
.LBB15_1162:
	v_dual_mov_b32 v8, 0 :: v_dual_mov_b32 v0, 0
	s_branch .LBB15_1167
.LBB15_1163:
	v_mov_b64_e32 v[0:1], 0
	v_mov_b32_e32 v3, v9
	s_mov_b32 s0, 0
                                        ; implicit-def: $vgpr8
	s_and_b32 s6, s1, 3
	s_mov_b32 s1, 0
	s_cmp_eq_u32 s6, 0
	s_cbranch_scc1 .LBB15_1167
.LBB15_1164:
	s_lshl_b32 s4, s0, 3
	s_mov_b32 s5, s1
	s_mul_u64 s[12:13], s[0:1], 12
	s_add_nc_u64 s[4:5], s[2:3], s[4:5]
	s_delay_alu instid0(SALU_CYCLE_1)
	s_add_nc_u64 s[0:1], s[4:5], 0xc4
	s_add_nc_u64 s[4:5], s[2:3], s[12:13]
.LBB15_1165:                            ; =>This Inner Loop Header: Depth=1
	s_load_b96 s[12:14], s[4:5], 0x4
	s_add_co_i32 s6, s6, -1
	s_wait_xcnt 0x0
	s_add_nc_u64 s[4:5], s[4:5], 12
	s_cmp_lg_u32 s6, 0
	s_wait_kmcnt 0x0
	v_mul_hi_u32 v5, s13, v3
	s_delay_alu instid0(VALU_DEP_1) | instskip(NEXT) | instid1(VALU_DEP_1)
	v_add_nc_u32_e32 v5, v3, v5
	v_lshrrev_b32_e32 v5, s14, v5
	s_load_b64 s[14:15], s[0:1], 0x0
	s_wait_xcnt 0x0
	s_add_nc_u64 s[0:1], s[0:1], 8
	s_delay_alu instid0(VALU_DEP_1) | instskip(NEXT) | instid1(VALU_DEP_1)
	v_mul_lo_u32 v7, v5, s12
	v_sub_nc_u32_e32 v3, v3, v7
	s_wait_kmcnt 0x0
	s_delay_alu instid0(VALU_DEP_1)
	v_mad_u32 v1, v3, s15, v1
	v_mad_u32 v0, v3, s14, v0
	v_mov_b32_e32 v3, v5
	s_cbranch_scc1 .LBB15_1165
; %bb.1166:
	s_delay_alu instid0(VALU_DEP_3)
	v_mov_b32_e32 v8, v1
.LBB15_1167:
	s_and_not1_b32 vcc_lo, exec_lo, s10
	s_cbranch_vccnz .LBB15_1170
; %bb.1168:
	s_clause 0x1
	s_load_b96 s[4:6], s[2:3], 0x4
	s_load_b64 s[0:1], s[2:3], 0xc4
	s_cmp_lt_u32 s28, 2
	s_wait_kmcnt 0x0
	v_mul_hi_u32 v0, s5, v9
	s_delay_alu instid0(VALU_DEP_1) | instskip(NEXT) | instid1(VALU_DEP_1)
	v_add_nc_u32_e32 v0, v9, v0
	v_lshrrev_b32_e32 v1, s6, v0
	s_delay_alu instid0(VALU_DEP_1) | instskip(NEXT) | instid1(VALU_DEP_1)
	v_mul_lo_u32 v0, v1, s4
	v_sub_nc_u32_e32 v0, v9, v0
	s_delay_alu instid0(VALU_DEP_1)
	v_mul_lo_u32 v8, v0, s1
	v_mul_lo_u32 v0, v0, s0
	s_cbranch_scc1 .LBB15_1170
; %bb.1169:
	s_clause 0x1
	s_load_b96 s[4:6], s[2:3], 0x10
	s_load_b64 s[0:1], s[2:3], 0xcc
	s_wait_kmcnt 0x0
	v_mul_hi_u32 v3, s5, v1
	s_delay_alu instid0(VALU_DEP_1) | instskip(NEXT) | instid1(VALU_DEP_1)
	v_add_nc_u32_e32 v3, v1, v3
	v_lshrrev_b32_e32 v3, s6, v3
	s_delay_alu instid0(VALU_DEP_1) | instskip(NEXT) | instid1(VALU_DEP_1)
	v_mul_lo_u32 v3, v3, s4
	v_sub_nc_u32_e32 v1, v1, v3
	s_delay_alu instid0(VALU_DEP_1)
	v_mad_u32 v0, v1, s0, v0
	v_mad_u32 v8, v1, s1, v8
.LBB15_1170:
	v_mov_b32_e32 v15, 0
	s_load_b128 s[4:7], s[2:3], 0x148
	global_load_u8 v1, v15, s[2:3] offset:346
	s_wait_kmcnt 0x0
	v_add_nc_u64_e32 v[14:15], s[6:7], v[14:15]
	s_wait_loadcnt 0x0
	v_and_b32_e32 v3, 0xffff, v1
	v_readfirstlane_b32 s11, v1
	s_delay_alu instid0(VALU_DEP_2)
	v_cmp_gt_i32_e32 vcc_lo, 11, v3
	s_cbranch_vccnz .LBB15_1177
; %bb.1171:
	s_and_b32 s0, 0xffff, s11
	s_mov_b32 s12, 0
	s_cmp_gt_i32 s0, 25
	s_cbranch_scc0 .LBB15_1179
; %bb.1172:
	s_cmp_gt_i32 s0, 28
	s_cbranch_scc0 .LBB15_1180
; %bb.1173:
	;; [unrolled: 3-line block ×4, first 2 shown]
	s_cmp_eq_u32 s0, 46
	s_mov_b32 s10, 0
	s_cbranch_scc0 .LBB15_1185
; %bb.1176:
	global_load_b32 v1, v[14:15], off
	s_mov_b32 s1, 0
	s_mov_b32 s13, -1
	s_wait_loadcnt 0x0
	v_lshlrev_b32_e32 v1, 16, v1
	s_branch .LBB15_1187
.LBB15_1177:
	s_mov_b32 s13, 0
	s_mov_b32 s10, s8
                                        ; implicit-def: $vgpr1
	s_cbranch_execnz .LBB15_1250
.LBB15_1178:
	s_and_not1_b32 vcc_lo, exec_lo, s13
	s_cbranch_vccz .LBB15_1295
	s_branch .LBB15_2132
.LBB15_1179:
	s_mov_b32 s13, 0
	s_mov_b32 s1, 0
                                        ; implicit-def: $vgpr1
	s_cbranch_execnz .LBB15_1215
	s_branch .LBB15_1246
.LBB15_1180:
	s_mov_b32 s10, -1
	s_mov_b32 s13, 0
	s_mov_b32 s1, 0
                                        ; implicit-def: $vgpr1
	s_branch .LBB15_1196
.LBB15_1181:
	s_mov_b32 s13, 0
	s_mov_b32 s1, 0
                                        ; implicit-def: $vgpr1
	s_cbranch_execnz .LBB15_1192
	s_branch .LBB15_1195
.LBB15_1182:
	s_mov_b32 s10, -1
	s_mov_b32 s13, 0
	s_mov_b32 s1, 0
	s_branch .LBB15_1186
.LBB15_1183:
	s_and_not1_saveexec_b32 s9, s9
	s_cbranch_execz .LBB15_1019
.LBB15_1184:
	v_add_f32_e64 v2, 0x46000000, |v4|
	s_and_not1_b32 s8, s8, exec_lo
	s_delay_alu instid0(VALU_DEP_1) | instskip(NEXT) | instid1(VALU_DEP_1)
	v_and_b32_e32 v2, 0xff, v2
	v_cmp_ne_u32_e32 vcc_lo, 0, v2
	s_and_b32 s10, vcc_lo, exec_lo
	s_delay_alu instid0(SALU_CYCLE_1)
	s_or_b32 s8, s8, s10
	s_or_b32 exec_lo, exec_lo, s9
	v_mov_b32_e32 v3, 0
	s_and_saveexec_b32 s9, s8
	s_cbranch_execnz .LBB15_1020
	s_branch .LBB15_1021
.LBB15_1185:
	s_mov_b32 s1, -1
	s_mov_b32 s13, 0
.LBB15_1186:
                                        ; implicit-def: $vgpr1
.LBB15_1187:
	s_and_b32 vcc_lo, exec_lo, s10
	s_cbranch_vccz .LBB15_1190
; %bb.1188:
	s_cmp_eq_u32 s0, 44
	s_cbranch_scc0 .LBB15_1191
; %bb.1189:
	global_load_u8 v1, v[14:15], off
	s_mov_b32 s1, 0
	s_mov_b32 s13, -1
	s_wait_loadcnt 0x0
	v_lshlrev_b32_e32 v3, 23, v1
	v_cmp_ne_u32_e32 vcc_lo, 0xff, v1
	s_delay_alu instid0(VALU_DEP_2) | instskip(SKIP_1) | instid1(VALU_DEP_2)
	v_cndmask_b32_e32 v3, 0x7f800001, v3, vcc_lo
	v_cmp_ne_u32_e32 vcc_lo, 0, v1
	v_cndmask_b32_e32 v1, 0x400000, v3, vcc_lo
.LBB15_1190:
	s_branch .LBB15_1195
.LBB15_1191:
	s_mov_b32 s1, -1
                                        ; implicit-def: $vgpr1
	s_branch .LBB15_1195
.LBB15_1192:
	s_cmp_eq_u32 s0, 29
	s_cbranch_scc0 .LBB15_1194
; %bb.1193:
	global_load_b64 v[16:17], v[14:15], off
	s_mov_b32 s1, 0
	s_mov_b32 s13, -1
	s_mov_b32 s10, 0
	s_wait_loadcnt 0x0
	v_clz_i32_u32_e32 v1, v17
	s_delay_alu instid0(VALU_DEP_1) | instskip(NEXT) | instid1(VALU_DEP_1)
	v_min_u32_e32 v1, 32, v1
	v_lshlrev_b64_e32 v[16:17], v1, v[16:17]
	v_sub_nc_u32_e32 v1, 32, v1
	s_delay_alu instid0(VALU_DEP_2) | instskip(NEXT) | instid1(VALU_DEP_1)
	v_min_u32_e32 v3, 1, v16
	v_or_b32_e32 v3, v17, v3
	s_delay_alu instid0(VALU_DEP_1) | instskip(NEXT) | instid1(VALU_DEP_1)
	v_cvt_f32_u32_e32 v3, v3
	v_ldexp_f32 v1, v3, v1
	s_branch .LBB15_1196
.LBB15_1194:
	s_mov_b32 s1, -1
                                        ; implicit-def: $vgpr1
.LBB15_1195:
	s_mov_b32 s10, 0
.LBB15_1196:
	s_delay_alu instid0(SALU_CYCLE_1)
	s_and_b32 vcc_lo, exec_lo, s10
	s_cbranch_vccz .LBB15_1214
; %bb.1197:
	s_cmp_lt_i32 s0, 27
	s_cbranch_scc1 .LBB15_1200
; %bb.1198:
	s_cmp_gt_i32 s0, 27
	s_cbranch_scc0 .LBB15_1201
; %bb.1199:
	global_load_b32 v1, v[14:15], off
	s_mov_b32 s10, 0
	s_wait_loadcnt 0x0
	v_cvt_f32_u32_e32 v1, v1
	s_branch .LBB15_1202
.LBB15_1200:
	s_mov_b32 s10, -1
                                        ; implicit-def: $vgpr1
	s_branch .LBB15_1205
.LBB15_1201:
	s_mov_b32 s10, -1
                                        ; implicit-def: $vgpr1
.LBB15_1202:
	s_delay_alu instid0(SALU_CYCLE_1)
	s_and_not1_b32 vcc_lo, exec_lo, s10
	s_cbranch_vccnz .LBB15_1204
; %bb.1203:
	global_load_u16 v1, v[14:15], off
	s_wait_loadcnt 0x0
	v_cvt_f32_u32_e32 v1, v1
.LBB15_1204:
	s_mov_b32 s10, 0
.LBB15_1205:
	s_delay_alu instid0(SALU_CYCLE_1)
	s_and_not1_b32 vcc_lo, exec_lo, s10
	s_cbranch_vccnz .LBB15_1213
; %bb.1206:
	global_load_u8 v3, v[14:15], off
	s_mov_b32 s10, 0
	s_mov_b32 s13, exec_lo
	s_wait_loadcnt 0x0
	v_cmpx_lt_i16_e32 0x7f, v3
	s_xor_b32 s13, exec_lo, s13
	s_cbranch_execz .LBB15_1226
; %bb.1207:
	s_mov_b32 s10, -1
	s_mov_b32 s14, exec_lo
	v_cmpx_eq_u16_e32 0x80, v3
; %bb.1208:
	s_xor_b32 s10, exec_lo, -1
; %bb.1209:
	s_or_b32 exec_lo, exec_lo, s14
	s_delay_alu instid0(SALU_CYCLE_1)
	s_and_b32 s10, s10, exec_lo
	s_or_saveexec_b32 s13, s13
	v_mov_b32_e32 v1, 0x7f800001
	s_xor_b32 exec_lo, exec_lo, s13
	s_cbranch_execnz .LBB15_1227
.LBB15_1210:
	s_or_b32 exec_lo, exec_lo, s13
	s_and_saveexec_b32 s13, s10
	s_cbranch_execz .LBB15_1212
.LBB15_1211:
	v_and_b32_e32 v1, 0xffff, v3
	s_delay_alu instid0(VALU_DEP_1) | instskip(SKIP_1) | instid1(VALU_DEP_2)
	v_and_b32_e32 v5, 7, v1
	v_bfe_u32 v11, v1, 3, 4
	v_clz_i32_u32_e32 v7, v5
	s_delay_alu instid0(VALU_DEP_2) | instskip(NEXT) | instid1(VALU_DEP_2)
	v_cmp_eq_u32_e32 vcc_lo, 0, v11
	v_min_u32_e32 v7, 32, v7
	s_delay_alu instid0(VALU_DEP_1) | instskip(NEXT) | instid1(VALU_DEP_1)
	v_subrev_nc_u32_e32 v9, 28, v7
	v_dual_lshlrev_b32 v1, v9, v1 :: v_dual_sub_nc_u32 v7, 29, v7
	s_delay_alu instid0(VALU_DEP_1) | instskip(NEXT) | instid1(VALU_DEP_1)
	v_dual_lshlrev_b32 v3, 24, v3 :: v_dual_bitop2_b32 v1, 7, v1 bitop3:0x40
	v_dual_cndmask_b32 v1, v5, v1, vcc_lo :: v_dual_cndmask_b32 v7, v11, v7, vcc_lo
	s_delay_alu instid0(VALU_DEP_2) | instskip(NEXT) | instid1(VALU_DEP_2)
	v_and_b32_e32 v3, 0x80000000, v3
	v_lshlrev_b32_e32 v1, 20, v1
	s_delay_alu instid0(VALU_DEP_3) | instskip(NEXT) | instid1(VALU_DEP_1)
	v_lshl_add_u32 v5, v7, 23, 0x3b800000
	v_or3_b32 v1, v3, v5, v1
.LBB15_1212:
	s_or_b32 exec_lo, exec_lo, s13
.LBB15_1213:
	s_mov_b32 s13, -1
.LBB15_1214:
	s_branch .LBB15_1246
.LBB15_1215:
	s_cmp_gt_i32 s0, 22
	s_cbranch_scc0 .LBB15_1225
; %bb.1216:
	s_cmp_lt_i32 s0, 24
	s_cbranch_scc1 .LBB15_1228
; %bb.1217:
	s_cmp_gt_i32 s0, 24
	s_cbranch_scc0 .LBB15_1229
; %bb.1218:
	global_load_u8 v3, v[14:15], off
	s_mov_b32 s10, 0
	s_mov_b32 s12, exec_lo
	s_wait_loadcnt 0x0
	v_cmpx_lt_i16_e32 0x7f, v3
	s_xor_b32 s12, exec_lo, s12
	s_cbranch_execz .LBB15_1240
; %bb.1219:
	s_mov_b32 s10, -1
	s_mov_b32 s13, exec_lo
	v_cmpx_eq_u16_e32 0x80, v3
; %bb.1220:
	s_xor_b32 s10, exec_lo, -1
; %bb.1221:
	s_or_b32 exec_lo, exec_lo, s13
	s_delay_alu instid0(SALU_CYCLE_1)
	s_and_b32 s10, s10, exec_lo
	s_or_saveexec_b32 s12, s12
	v_mov_b32_e32 v1, 0x7f800001
	s_xor_b32 exec_lo, exec_lo, s12
	s_cbranch_execnz .LBB15_1241
.LBB15_1222:
	s_or_b32 exec_lo, exec_lo, s12
	s_and_saveexec_b32 s12, s10
	s_cbranch_execz .LBB15_1224
.LBB15_1223:
	v_and_b32_e32 v1, 0xffff, v3
	s_delay_alu instid0(VALU_DEP_1) | instskip(SKIP_1) | instid1(VALU_DEP_2)
	v_and_b32_e32 v5, 3, v1
	v_bfe_u32 v11, v1, 2, 5
	v_clz_i32_u32_e32 v7, v5
	s_delay_alu instid0(VALU_DEP_2) | instskip(NEXT) | instid1(VALU_DEP_2)
	v_cmp_eq_u32_e32 vcc_lo, 0, v11
	v_min_u32_e32 v7, 32, v7
	s_delay_alu instid0(VALU_DEP_1) | instskip(NEXT) | instid1(VALU_DEP_1)
	v_subrev_nc_u32_e32 v9, 29, v7
	v_dual_lshlrev_b32 v1, v9, v1 :: v_dual_sub_nc_u32 v7, 30, v7
	s_delay_alu instid0(VALU_DEP_1) | instskip(NEXT) | instid1(VALU_DEP_1)
	v_dual_lshlrev_b32 v3, 24, v3 :: v_dual_bitop2_b32 v1, 3, v1 bitop3:0x40
	v_dual_cndmask_b32 v1, v5, v1, vcc_lo :: v_dual_cndmask_b32 v7, v11, v7, vcc_lo
	s_delay_alu instid0(VALU_DEP_2) | instskip(NEXT) | instid1(VALU_DEP_2)
	v_and_b32_e32 v3, 0x80000000, v3
	v_lshlrev_b32_e32 v1, 21, v1
	s_delay_alu instid0(VALU_DEP_3) | instskip(NEXT) | instid1(VALU_DEP_1)
	v_lshl_add_u32 v5, v7, 23, 0x37800000
	v_or3_b32 v1, v3, v5, v1
.LBB15_1224:
	s_or_b32 exec_lo, exec_lo, s12
	s_mov_b32 s10, 0
	s_branch .LBB15_1230
.LBB15_1225:
                                        ; implicit-def: $vgpr1
	s_mov_b32 s12, 0
	s_branch .LBB15_1236
.LBB15_1226:
	s_or_saveexec_b32 s13, s13
	v_mov_b32_e32 v1, 0x7f800001
	s_xor_b32 exec_lo, exec_lo, s13
	s_cbranch_execz .LBB15_1210
.LBB15_1227:
	v_cmp_ne_u16_e32 vcc_lo, 0, v3
	v_mov_b32_e32 v1, 0
	s_and_not1_b32 s10, s10, exec_lo
	s_and_b32 s14, vcc_lo, exec_lo
	s_delay_alu instid0(SALU_CYCLE_1)
	s_or_b32 s10, s10, s14
	s_or_b32 exec_lo, exec_lo, s13
	s_and_saveexec_b32 s13, s10
	s_cbranch_execnz .LBB15_1211
	s_branch .LBB15_1212
.LBB15_1228:
	s_mov_b32 s10, -1
                                        ; implicit-def: $vgpr1
	s_branch .LBB15_1233
.LBB15_1229:
	s_mov_b32 s10, -1
                                        ; implicit-def: $vgpr1
.LBB15_1230:
	s_delay_alu instid0(SALU_CYCLE_1)
	s_and_b32 vcc_lo, exec_lo, s10
	s_cbranch_vccz .LBB15_1232
; %bb.1231:
	global_load_u8 v1, v[14:15], off
	s_wait_loadcnt 0x0
	v_lshlrev_b32_e32 v1, 24, v1
	s_delay_alu instid0(VALU_DEP_1) | instskip(NEXT) | instid1(VALU_DEP_1)
	v_and_b32_e32 v3, 0x7f000000, v1
	v_clz_i32_u32_e32 v5, v3
	v_add_nc_u32_e32 v9, 0x1000000, v3
	v_cmp_ne_u32_e32 vcc_lo, 0, v3
	s_delay_alu instid0(VALU_DEP_3) | instskip(NEXT) | instid1(VALU_DEP_1)
	v_min_u32_e32 v5, 32, v5
	v_sub_nc_u32_e64 v5, v5, 4 clamp
	s_delay_alu instid0(VALU_DEP_1) | instskip(NEXT) | instid1(VALU_DEP_1)
	v_dual_lshlrev_b32 v7, v5, v3 :: v_dual_lshlrev_b32 v5, 23, v5
	v_lshrrev_b32_e32 v7, 4, v7
	s_delay_alu instid0(VALU_DEP_1) | instskip(SKIP_1) | instid1(VALU_DEP_2)
	v_sub_nc_u32_e32 v5, v7, v5
	v_ashrrev_i32_e32 v7, 8, v9
	v_add_nc_u32_e32 v5, 0x3c000000, v5
	s_delay_alu instid0(VALU_DEP_1) | instskip(NEXT) | instid1(VALU_DEP_1)
	v_and_or_b32 v5, 0x7f800000, v7, v5
	v_cndmask_b32_e32 v3, 0, v5, vcc_lo
	s_delay_alu instid0(VALU_DEP_1)
	v_and_or_b32 v1, 0x80000000, v1, v3
.LBB15_1232:
	s_mov_b32 s10, 0
.LBB15_1233:
	s_delay_alu instid0(SALU_CYCLE_1)
	s_and_not1_b32 vcc_lo, exec_lo, s10
	s_cbranch_vccnz .LBB15_1235
; %bb.1234:
	global_load_u8 v1, v[14:15], off
	s_wait_loadcnt 0x0
	v_lshlrev_b32_e32 v3, 25, v1
	v_lshlrev_b16 v1, 8, v1
	s_delay_alu instid0(VALU_DEP_1) | instskip(SKIP_1) | instid1(VALU_DEP_2)
	v_and_or_b32 v7, 0x7f00, v1, 0.5
	v_bfe_i32 v1, v1, 0, 16
	v_add_f32_e32 v7, -0.5, v7
	v_lshrrev_b32_e32 v5, 4, v3
	v_cmp_gt_u32_e32 vcc_lo, 0x8000000, v3
	s_delay_alu instid0(VALU_DEP_2) | instskip(NEXT) | instid1(VALU_DEP_1)
	v_or_b32_e32 v5, 0x70000000, v5
	v_mul_f32_e32 v5, 0x7800000, v5
	s_delay_alu instid0(VALU_DEP_1) | instskip(NEXT) | instid1(VALU_DEP_1)
	v_cndmask_b32_e32 v3, v5, v7, vcc_lo
	v_and_or_b32 v1, 0x80000000, v1, v3
.LBB15_1235:
	s_mov_b32 s13, -1
	s_mov_b32 s12, 0
	s_cbranch_execnz .LBB15_1246
.LBB15_1236:
	s_cmp_gt_i32 s0, 14
	s_cbranch_scc0 .LBB15_1239
; %bb.1237:
	s_cmp_eq_u32 s0, 15
	s_cbranch_scc0 .LBB15_1242
; %bb.1238:
	global_load_u16 v1, v[14:15], off
	s_mov_b32 s1, 0
	s_mov_b32 s13, -1
	s_wait_loadcnt 0x0
	v_lshlrev_b32_e32 v1, 16, v1
	s_branch .LBB15_1243
.LBB15_1239:
	s_mov_b32 s10, -1
                                        ; implicit-def: $vgpr1
	s_branch .LBB15_1244
.LBB15_1240:
	s_or_saveexec_b32 s12, s12
	v_mov_b32_e32 v1, 0x7f800001
	s_xor_b32 exec_lo, exec_lo, s12
	s_cbranch_execz .LBB15_1222
.LBB15_1241:
	v_cmp_ne_u16_e32 vcc_lo, 0, v3
	v_mov_b32_e32 v1, 0
	s_and_not1_b32 s10, s10, exec_lo
	s_and_b32 s13, vcc_lo, exec_lo
	s_delay_alu instid0(SALU_CYCLE_1)
	s_or_b32 s10, s10, s13
	s_or_b32 exec_lo, exec_lo, s12
	s_and_saveexec_b32 s12, s10
	s_cbranch_execnz .LBB15_1223
	s_branch .LBB15_1224
.LBB15_1242:
	s_mov_b32 s1, -1
                                        ; implicit-def: $vgpr1
.LBB15_1243:
	s_mov_b32 s10, 0
.LBB15_1244:
	s_delay_alu instid0(SALU_CYCLE_1)
	s_and_b32 vcc_lo, exec_lo, s10
	s_cbranch_vccz .LBB15_1246
; %bb.1245:
	s_cmp_lg_u32 s0, 11
	s_mov_b32 s12, -1
	s_cselect_b32 s1, -1, 0
.LBB15_1246:
	s_delay_alu instid0(SALU_CYCLE_1)
	s_and_b32 vcc_lo, exec_lo, s1
	s_mov_b32 s10, s8
	s_cbranch_vccnz .LBB15_1311
; %bb.1247:
	s_and_not1_b32 vcc_lo, exec_lo, s12
	s_cbranch_vccnz .LBB15_1249
.LBB15_1248:
	global_load_u8 v1, v[14:15], off
	s_mov_b32 s13, -1
	s_wait_loadcnt 0x0
	v_cmp_ne_u16_e32 vcc_lo, 0, v1
	v_cndmask_b32_e64 v1, 0, 1.0, vcc_lo
.LBB15_1249:
	s_branch .LBB15_1178
.LBB15_1250:
	s_and_b32 s0, 0xffff, s11
	s_delay_alu instid0(SALU_CYCLE_1)
	s_cmp_lt_i32 s0, 5
	s_cbranch_scc1 .LBB15_1255
; %bb.1251:
	s_cmp_lt_i32 s0, 8
	s_cbranch_scc1 .LBB15_1256
; %bb.1252:
	;; [unrolled: 3-line block ×3, first 2 shown]
	s_cmp_gt_i32 s0, 9
	s_cbranch_scc0 .LBB15_1258
; %bb.1254:
	global_load_b64 v[16:17], v[14:15], off
	s_mov_b32 s1, 0
	s_wait_loadcnt 0x0
	v_cvt_f32_f64_e32 v1, v[16:17]
	s_branch .LBB15_1259
.LBB15_1255:
                                        ; implicit-def: $vgpr1
	s_branch .LBB15_1276
.LBB15_1256:
                                        ; implicit-def: $vgpr1
	s_branch .LBB15_1265
.LBB15_1257:
	s_mov_b32 s1, -1
                                        ; implicit-def: $vgpr1
	s_branch .LBB15_1262
.LBB15_1258:
	s_mov_b32 s1, -1
                                        ; implicit-def: $vgpr1
.LBB15_1259:
	s_delay_alu instid0(SALU_CYCLE_1)
	s_and_not1_b32 vcc_lo, exec_lo, s1
	s_cbranch_vccnz .LBB15_1261
; %bb.1260:
	global_load_b32 v1, v[14:15], off
.LBB15_1261:
	s_mov_b32 s1, 0
.LBB15_1262:
	s_delay_alu instid0(SALU_CYCLE_1)
	s_and_not1_b32 vcc_lo, exec_lo, s1
	s_cbranch_vccnz .LBB15_1264
; %bb.1263:
	s_wait_loadcnt 0x0
	global_load_b32 v1, v[14:15], off
	s_wait_loadcnt 0x0
	v_cvt_f32_f16_e32 v1, v1
.LBB15_1264:
	s_cbranch_execnz .LBB15_1275
.LBB15_1265:
	s_cmp_lt_i32 s0, 6
	s_cbranch_scc1 .LBB15_1268
; %bb.1266:
	s_cmp_gt_i32 s0, 6
	s_cbranch_scc0 .LBB15_1269
; %bb.1267:
	global_load_b64 v[16:17], v[14:15], off
	s_mov_b32 s1, 0
	s_wait_loadcnt 0x0
	v_cvt_f32_f64_e32 v1, v[16:17]
	s_branch .LBB15_1270
.LBB15_1268:
	s_mov_b32 s1, -1
                                        ; implicit-def: $vgpr1
	s_branch .LBB15_1273
.LBB15_1269:
	s_mov_b32 s1, -1
                                        ; implicit-def: $vgpr1
.LBB15_1270:
	s_delay_alu instid0(SALU_CYCLE_1)
	s_and_not1_b32 vcc_lo, exec_lo, s1
	s_cbranch_vccnz .LBB15_1272
; %bb.1271:
	s_wait_loadcnt 0x0
	global_load_b32 v1, v[14:15], off
.LBB15_1272:
	s_mov_b32 s1, 0
.LBB15_1273:
	s_delay_alu instid0(SALU_CYCLE_1)
	s_and_not1_b32 vcc_lo, exec_lo, s1
	s_cbranch_vccnz .LBB15_1275
; %bb.1274:
	s_wait_loadcnt 0x0
	global_load_u16 v1, v[14:15], off
	s_wait_loadcnt 0x0
	v_cvt_f32_f16_e32 v1, v1
.LBB15_1275:
	s_cbranch_execnz .LBB15_1294
.LBB15_1276:
	s_cmp_lt_i32 s0, 2
	s_cbranch_scc1 .LBB15_1280
; %bb.1277:
	s_cmp_lt_i32 s0, 3
	s_cbranch_scc1 .LBB15_1281
; %bb.1278:
	s_cmp_gt_i32 s0, 3
	s_cbranch_scc0 .LBB15_1282
; %bb.1279:
	global_load_b64 v[16:17], v[14:15], off
	s_mov_b32 s1, 0
	s_wait_loadcnt 0x0
	v_xor_b32_e32 v1, v16, v17
	v_cls_i32_e32 v3, v17
	s_delay_alu instid0(VALU_DEP_2) | instskip(NEXT) | instid1(VALU_DEP_1)
	v_ashrrev_i32_e32 v1, 31, v1
	v_add_nc_u32_e32 v1, 32, v1
	s_delay_alu instid0(VALU_DEP_1) | instskip(NEXT) | instid1(VALU_DEP_1)
	v_add_min_u32_e64 v1, v3, -1, v1
	v_lshlrev_b64_e32 v[16:17], v1, v[16:17]
	v_sub_nc_u32_e32 v1, 32, v1
	s_delay_alu instid0(VALU_DEP_2) | instskip(NEXT) | instid1(VALU_DEP_1)
	v_min_u32_e32 v3, 1, v16
	v_or_b32_e32 v3, v17, v3
	s_delay_alu instid0(VALU_DEP_1) | instskip(NEXT) | instid1(VALU_DEP_1)
	v_cvt_f32_i32_e32 v3, v3
	v_ldexp_f32 v1, v3, v1
	s_branch .LBB15_1283
.LBB15_1280:
                                        ; implicit-def: $vgpr1
	s_branch .LBB15_1289
.LBB15_1281:
	s_mov_b32 s1, -1
                                        ; implicit-def: $vgpr1
	s_branch .LBB15_1286
.LBB15_1282:
	s_mov_b32 s1, -1
                                        ; implicit-def: $vgpr1
.LBB15_1283:
	s_delay_alu instid0(SALU_CYCLE_1)
	s_and_not1_b32 vcc_lo, exec_lo, s1
	s_cbranch_vccnz .LBB15_1285
; %bb.1284:
	s_wait_loadcnt 0x0
	global_load_b32 v1, v[14:15], off
	s_wait_loadcnt 0x0
	v_cvt_f32_i32_e32 v1, v1
.LBB15_1285:
	s_mov_b32 s1, 0
.LBB15_1286:
	s_delay_alu instid0(SALU_CYCLE_1)
	s_and_not1_b32 vcc_lo, exec_lo, s1
	s_cbranch_vccnz .LBB15_1288
; %bb.1287:
	s_wait_loadcnt 0x0
	global_load_i16 v1, v[14:15], off
	s_wait_loadcnt 0x0
	v_cvt_f32_i32_e32 v1, v1
.LBB15_1288:
	s_cbranch_execnz .LBB15_1294
.LBB15_1289:
	s_cmp_gt_i32 s0, 0
	s_mov_b32 s0, 0
	s_cbranch_scc0 .LBB15_1291
; %bb.1290:
	s_wait_loadcnt 0x0
	global_load_i8 v1, v[14:15], off
	s_wait_loadcnt 0x0
	v_cvt_f32_i32_e32 v1, v1
	s_branch .LBB15_1292
.LBB15_1291:
	s_mov_b32 s0, -1
                                        ; implicit-def: $vgpr1
.LBB15_1292:
	s_delay_alu instid0(SALU_CYCLE_1)
	s_and_not1_b32 vcc_lo, exec_lo, s0
	s_cbranch_vccnz .LBB15_1294
; %bb.1293:
	s_wait_loadcnt 0x0
	global_load_u8 v1, v[14:15], off
	s_wait_loadcnt 0x0
	v_cvt_f32_ubyte0_e32 v1, v1
.LBB15_1294:
.LBB15_1295:
	s_wait_loadcnt 0x0
	s_delay_alu instid0(VALU_DEP_1)
	v_and_b32_e32 v5, 0x7fffffff, v1
                                        ; implicit-def: $vgpr15
                                        ; implicit-def: $vgpr14
	s_mov_b32 s1, exec_lo
	s_wait_xcnt 0x0
	v_cmpx_ngt_f32_e64 0x48000000, |v1|
	s_xor_b32 s12, exec_lo, s1
	s_cbranch_execz .LBB15_1297
; %bb.1296:
	s_mov_b32 s0, 0x7fffff
	v_mov_b32_e32 v15, 0
	v_and_or_b32 v14, v5, s0, 0x800000
	s_mov_b64 s[0:1], 0xfe5163ab
	v_lshrrev_b32_e32 v3, 23, v5
	s_delay_alu instid0(VALU_DEP_2) | instskip(NEXT) | instid1(VALU_DEP_1)
	v_mul_u64_e32 v[16:17], s[0:1], v[14:15]
	v_dual_mov_b32 v18, v17 :: v_dual_mov_b32 v19, v15
	v_dual_mov_b32 v21, v15 :: v_dual_mov_b32 v23, v15
	v_mov_b32_e32 v25, v15
	s_delay_alu instid0(VALU_DEP_3) | instskip(NEXT) | instid1(VALU_DEP_1)
	v_mad_nc_u64_u32 v[18:19], 0x3c439041, v14, v[18:19]
	v_mov_b32_e32 v20, v19
	s_delay_alu instid0(VALU_DEP_1) | instskip(NEXT) | instid1(VALU_DEP_1)
	v_mad_nc_u64_u32 v[20:21], 0xdb629599, v14, v[20:21]
	v_mov_b32_e32 v22, v21
	s_delay_alu instid0(VALU_DEP_1) | instskip(NEXT) | instid1(VALU_DEP_1)
	;; [unrolled: 3-line block ×3, first 2 shown]
	v_mad_nc_u64_u32 v[24:25], 0xfc2757d1, v14, v[24:25]
	v_dual_mov_b32 v27, v15 :: v_dual_mov_b32 v26, v25
	s_delay_alu instid0(VALU_DEP_1) | instskip(NEXT) | instid1(VALU_DEP_1)
	v_mad_nc_u64_u32 v[26:27], 0x4e441529, v14, v[26:27]
	v_dual_mov_b32 v28, v27 :: v_dual_add_nc_u32 v3, 0xffffff88, v3
	s_delay_alu instid0(VALU_DEP_1) | instskip(SKIP_2) | instid1(VALU_DEP_2)
	v_cmp_lt_u32_e32 vcc_lo, 63, v3
	v_mov_b32_e32 v29, v15
	v_cndmask_b32_e64 v7, 0, 0xffffffc0, vcc_lo
	v_mad_nc_u64_u32 v[14:15], 0xa2f9836e, v14, v[28:29]
	v_dual_cndmask_b32 v9, v26, v22 :: v_dual_cndmask_b32 v16, v20, v16
	s_delay_alu instid0(VALU_DEP_3) | instskip(NEXT) | instid1(VALU_DEP_1)
	v_add_nc_u32_e32 v3, v7, v3
	v_cmp_lt_u32_e64 s0, 31, v3
	s_delay_alu instid0(VALU_DEP_4) | instskip(SKIP_1) | instid1(VALU_DEP_3)
	v_cndmask_b32_e32 v11, v14, v24, vcc_lo
	v_cndmask_b32_e32 v14, v24, v20, vcc_lo
	v_cndmask_b32_e64 v7, 0, 0xffffffe0, s0
	s_delay_alu instid0(VALU_DEP_1) | instskip(NEXT) | instid1(VALU_DEP_1)
	v_add_nc_u32_e32 v3, v7, v3
	v_cmp_lt_u32_e64 s1, 31, v3
	s_delay_alu instid0(VALU_DEP_1) | instskip(NEXT) | instid1(VALU_DEP_1)
	v_cndmask_b32_e64 v7, 0, 0xffffffe0, s1
	v_dual_add_nc_u32 v3, v7, v3 :: v_dual_cndmask_b32 v7, v22, v18, vcc_lo
	v_cndmask_b32_e32 v13, v15, v26, vcc_lo
	v_dual_cndmask_b32 v15, v11, v9, s0 :: v_dual_cndmask_b32 v9, v9, v14, s0
	s_delay_alu instid0(VALU_DEP_3) | instskip(NEXT) | instid1(VALU_DEP_4)
	v_cmp_eq_u32_e32 vcc_lo, 0, v3
	v_cndmask_b32_e64 v14, v14, v7, s0
	s_delay_alu instid0(VALU_DEP_4) | instskip(SKIP_1) | instid1(VALU_DEP_2)
	v_cndmask_b32_e64 v11, v13, v11, s0
	v_dual_sub_nc_u32 v13, 32, v3 :: v_dual_cndmask_b32 v7, v7, v16, s0
	v_cndmask_b32_e64 v11, v11, v15, s1
	s_delay_alu instid0(VALU_DEP_4) | instskip(NEXT) | instid1(VALU_DEP_1)
	v_dual_cndmask_b32 v15, v15, v9, s1 :: v_dual_cndmask_b32 v9, v9, v14, s1
	v_alignbit_b32 v17, v11, v15, v13
	s_delay_alu instid0(VALU_DEP_2) | instskip(NEXT) | instid1(VALU_DEP_2)
	v_alignbit_b32 v18, v15, v9, v13
	v_cndmask_b32_e32 v3, v17, v11, vcc_lo
	s_delay_alu instid0(VALU_DEP_2) | instskip(NEXT) | instid1(VALU_DEP_2)
	v_cndmask_b32_e32 v11, v18, v15, vcc_lo
	v_bfe_u32 v15, v3, 29, 1
	s_delay_alu instid0(VALU_DEP_1) | instskip(SKIP_1) | instid1(VALU_DEP_4)
	v_sub_nc_u32_e32 v16, 0, v15
	v_cndmask_b32_e64 v7, v14, v7, s1
	v_alignbit_b32 v14, v3, v11, 30
	s_delay_alu instid0(VALU_DEP_1) | instskip(NEXT) | instid1(VALU_DEP_3)
	v_xor_b32_e32 v14, v14, v16
	v_alignbit_b32 v13, v9, v7, v13
	s_delay_alu instid0(VALU_DEP_1) | instskip(NEXT) | instid1(VALU_DEP_3)
	v_cndmask_b32_e32 v9, v13, v9, vcc_lo
	v_clz_i32_u32_e32 v13, v14
	s_delay_alu instid0(VALU_DEP_2) | instskip(NEXT) | instid1(VALU_DEP_2)
	v_alignbit_b32 v7, v9, v7, 30
	v_min_u32_e32 v13, 32, v13
	s_delay_alu instid0(VALU_DEP_2) | instskip(SKIP_1) | instid1(VALU_DEP_1)
	v_xor_b32_e32 v7, v7, v16
	v_alignbit_b32 v11, v11, v9, 30
	v_dual_lshlrev_b32 v17, 23, v13 :: v_dual_bitop2_b32 v9, v11, v16 bitop3:0x14
	v_dual_sub_nc_u32 v11, 31, v13 :: v_dual_lshrrev_b32 v16, 29, v3
	v_lshrrev_b32_e32 v3, 30, v3
	s_delay_alu instid0(VALU_DEP_2) | instskip(SKIP_1) | instid1(VALU_DEP_3)
	v_alignbit_b32 v14, v14, v9, v11
	v_alignbit_b32 v7, v9, v7, v11
	v_dual_lshlrev_b32 v9, 31, v16 :: v_dual_add_nc_u32 v15, v15, v3
	s_delay_alu instid0(VALU_DEP_2) | instskip(NEXT) | instid1(VALU_DEP_2)
	v_alignbit_b32 v11, v14, v7, 9
	v_dual_lshrrev_b32 v14, 9, v14 :: v_dual_bitop2_b32 v16, 0.5, v9 bitop3:0x54
	s_delay_alu instid0(VALU_DEP_2) | instskip(NEXT) | instid1(VALU_DEP_2)
	v_clz_i32_u32_e32 v18, v11
	v_sub_nc_u32_e32 v16, v16, v17
	v_or_b32_e32 v9, 0x33000000, v9
	s_delay_alu instid0(VALU_DEP_3) | instskip(NEXT) | instid1(VALU_DEP_1)
	v_min_u32_e32 v17, 32, v18
	v_add_lshl_u32 v13, v17, v13, 23
	s_delay_alu instid0(VALU_DEP_4) | instskip(SKIP_1) | instid1(VALU_DEP_3)
	v_or_b32_e32 v14, v14, v16
	v_not_b32_e32 v16, v17
	v_sub_nc_u32_e32 v9, v9, v13
	s_delay_alu instid0(VALU_DEP_2) | instskip(NEXT) | instid1(VALU_DEP_1)
	v_alignbit_b32 v7, v11, v7, v16
	v_dual_mul_f32 v18, 0x3fc90fda, v14 :: v_dual_lshrrev_b32 v7, 9, v7
	s_delay_alu instid0(VALU_DEP_1) | instskip(NEXT) | instid1(VALU_DEP_2)
	v_fma_f32 v11, 0x3fc90fda, v14, -v18
	v_or_b32_e32 v7, v9, v7
	s_delay_alu instid0(VALU_DEP_2) | instskip(NEXT) | instid1(VALU_DEP_1)
	v_fmamk_f32 v11, v14, 0x33a22168, v11
	v_fmac_f32_e32 v11, 0x3fc90fda, v7
	s_delay_alu instid0(VALU_DEP_1)
	v_add_f32_e32 v14, v18, v11
.LBB15_1297:
	s_and_not1_saveexec_b32 s0, s12
; %bb.1298:
	v_mul_f32_e64 v3, 0x3f22f983, |v1|
	s_delay_alu instid0(VALU_DEP_1) | instskip(NEXT) | instid1(VALU_DEP_1)
	v_rndne_f32_e32 v3, v3
	v_fma_f32 v7, 0xbfc90fda, v3, |v1|
	v_cvt_i32_f32_e32 v15, v3
	s_delay_alu instid0(VALU_DEP_2) | instskip(NEXT) | instid1(VALU_DEP_1)
	v_fmamk_f32 v7, v3, 0xb3a22168, v7
	v_fmamk_f32 v14, v3, 0xa7c234c4, v7
; %bb.1299:
	s_or_b32 exec_lo, exec_lo, s0
	v_mov_b32_e32 v13, 0
	s_and_b32 s11, 0xffff, s11
	s_delay_alu instid0(SALU_CYCLE_1) | instskip(NEXT) | instid1(VALU_DEP_1)
	s_cmp_lt_i32 s11, 11
	v_add_nc_u64_e32 v[12:13], s[6:7], v[12:13]
	s_cbranch_scc1 .LBB15_1306
; %bb.1300:
	s_cmp_gt_i32 s11, 25
	s_mov_b32 s1, 0
	s_cbranch_scc0 .LBB15_1308
; %bb.1301:
	s_cmp_gt_i32 s11, 28
	s_cbranch_scc0 .LBB15_1309
; %bb.1302:
	s_cmp_gt_i32 s11, 43
	;; [unrolled: 3-line block ×3, first 2 shown]
	s_cbranch_scc0 .LBB15_1312
; %bb.1304:
	s_cmp_eq_u32 s11, 46
	s_mov_b32 s13, 0
	s_cbranch_scc0 .LBB15_1315
; %bb.1305:
	global_load_b32 v3, v[12:13], off
	s_mov_b32 s0, 0
	s_mov_b32 s12, -1
	s_wait_loadcnt 0x0
	v_lshlrev_b32_e32 v3, 16, v3
	s_branch .LBB15_1317
.LBB15_1306:
	s_mov_b32 s12, 0
                                        ; implicit-def: $vgpr3
	s_cbranch_execnz .LBB15_1382
.LBB15_1307:
	s_and_not1_b32 vcc_lo, exec_lo, s12
	s_cbranch_vccz .LBB15_1429
	s_branch .LBB15_2132
.LBB15_1308:
	s_mov_b32 s12, 0
	s_mov_b32 s0, 0
                                        ; implicit-def: $vgpr3
	s_cbranch_execnz .LBB15_1346
	s_branch .LBB15_1378
.LBB15_1309:
	s_mov_b32 s13, -1
	s_mov_b32 s12, 0
	s_mov_b32 s0, 0
                                        ; implicit-def: $vgpr3
	s_branch .LBB15_1327
.LBB15_1310:
	s_mov_b32 s13, -1
	s_mov_b32 s12, 0
	s_mov_b32 s0, 0
                                        ; implicit-def: $vgpr3
	s_branch .LBB15_1322
.LBB15_1311:
	s_or_b32 s10, s8, exec_lo
	s_trap 2
	s_cbranch_execz .LBB15_1248
	s_branch .LBB15_1249
.LBB15_1312:
	s_mov_b32 s13, -1
	s_mov_b32 s12, 0
	s_mov_b32 s0, 0
	s_branch .LBB15_1316
.LBB15_1313:
	s_and_not1_saveexec_b32 s10, s10
	s_cbranch_execz .LBB15_1031
.LBB15_1314:
	v_add_f32_e64 v2, 0x42800000, |v4|
	s_and_not1_b32 s9, s9, exec_lo
	s_delay_alu instid0(VALU_DEP_1) | instskip(NEXT) | instid1(VALU_DEP_1)
	v_and_b32_e32 v2, 0xff, v2
	v_cmp_ne_u32_e32 vcc_lo, 0, v2
	s_and_b32 s11, vcc_lo, exec_lo
	s_delay_alu instid0(SALU_CYCLE_1)
	s_or_b32 s9, s9, s11
	s_or_b32 exec_lo, exec_lo, s10
	v_mov_b32_e32 v3, 0
	s_and_saveexec_b32 s10, s9
	s_cbranch_execnz .LBB15_1032
	s_branch .LBB15_1033
.LBB15_1315:
	s_mov_b32 s0, -1
	s_mov_b32 s12, 0
.LBB15_1316:
                                        ; implicit-def: $vgpr3
.LBB15_1317:
	s_and_b32 vcc_lo, exec_lo, s13
	s_cbranch_vccz .LBB15_1321
; %bb.1318:
	s_cmp_eq_u32 s11, 44
	s_cbranch_scc0 .LBB15_1320
; %bb.1319:
	global_load_u8 v3, v[12:13], off
	s_mov_b32 s0, 0
	s_mov_b32 s12, -1
	s_wait_loadcnt 0x0
	v_lshlrev_b32_e32 v7, 23, v3
	v_cmp_ne_u32_e32 vcc_lo, 0xff, v3
	s_delay_alu instid0(VALU_DEP_2) | instskip(SKIP_1) | instid1(VALU_DEP_2)
	v_cndmask_b32_e32 v7, 0x7f800001, v7, vcc_lo
	v_cmp_ne_u32_e32 vcc_lo, 0, v3
	v_cndmask_b32_e32 v3, 0x400000, v7, vcc_lo
	s_branch .LBB15_1321
.LBB15_1320:
	s_mov_b32 s0, -1
                                        ; implicit-def: $vgpr3
.LBB15_1321:
	s_mov_b32 s13, 0
.LBB15_1322:
	s_delay_alu instid0(SALU_CYCLE_1)
	s_and_b32 vcc_lo, exec_lo, s13
	s_cbranch_vccz .LBB15_1326
; %bb.1323:
	s_cmp_eq_u32 s11, 29
	s_cbranch_scc0 .LBB15_1325
; %bb.1324:
	global_load_b64 v[16:17], v[12:13], off
	s_mov_b32 s0, 0
	s_mov_b32 s12, -1
	s_mov_b32 s13, 0
	s_wait_loadcnt 0x0
	v_clz_i32_u32_e32 v3, v17
	s_delay_alu instid0(VALU_DEP_1) | instskip(NEXT) | instid1(VALU_DEP_1)
	v_min_u32_e32 v3, 32, v3
	v_lshlrev_b64_e32 v[16:17], v3, v[16:17]
	v_sub_nc_u32_e32 v3, 32, v3
	s_delay_alu instid0(VALU_DEP_2) | instskip(NEXT) | instid1(VALU_DEP_1)
	v_min_u32_e32 v7, 1, v16
	v_or_b32_e32 v7, v17, v7
	s_delay_alu instid0(VALU_DEP_1) | instskip(NEXT) | instid1(VALU_DEP_1)
	v_cvt_f32_u32_e32 v7, v7
	v_ldexp_f32 v3, v7, v3
	s_branch .LBB15_1327
.LBB15_1325:
	s_mov_b32 s0, -1
                                        ; implicit-def: $vgpr3
.LBB15_1326:
	s_mov_b32 s13, 0
.LBB15_1327:
	s_delay_alu instid0(SALU_CYCLE_1)
	s_and_b32 vcc_lo, exec_lo, s13
	s_cbranch_vccz .LBB15_1345
; %bb.1328:
	s_cmp_lt_i32 s11, 27
	s_cbranch_scc1 .LBB15_1331
; %bb.1329:
	s_cmp_gt_i32 s11, 27
	s_cbranch_scc0 .LBB15_1332
; %bb.1330:
	global_load_b32 v3, v[12:13], off
	s_mov_b32 s12, 0
	s_wait_loadcnt 0x0
	v_cvt_f32_u32_e32 v3, v3
	s_branch .LBB15_1333
.LBB15_1331:
	s_mov_b32 s12, -1
                                        ; implicit-def: $vgpr3
	s_branch .LBB15_1336
.LBB15_1332:
	s_mov_b32 s12, -1
                                        ; implicit-def: $vgpr3
.LBB15_1333:
	s_delay_alu instid0(SALU_CYCLE_1)
	s_and_not1_b32 vcc_lo, exec_lo, s12
	s_cbranch_vccnz .LBB15_1335
; %bb.1334:
	global_load_u16 v3, v[12:13], off
	s_wait_loadcnt 0x0
	v_cvt_f32_u32_e32 v3, v3
.LBB15_1335:
	s_mov_b32 s12, 0
.LBB15_1336:
	s_delay_alu instid0(SALU_CYCLE_1)
	s_and_not1_b32 vcc_lo, exec_lo, s12
	s_cbranch_vccnz .LBB15_1344
; %bb.1337:
	global_load_u8 v7, v[12:13], off
	s_mov_b32 s12, 0
	s_mov_b32 s13, exec_lo
	s_wait_loadcnt 0x0
	v_cmpx_lt_i16_e32 0x7f, v7
	s_xor_b32 s13, exec_lo, s13
	s_cbranch_execz .LBB15_1357
; %bb.1338:
	s_mov_b32 s12, -1
	s_mov_b32 s14, exec_lo
	v_cmpx_eq_u16_e32 0x80, v7
; %bb.1339:
	s_xor_b32 s12, exec_lo, -1
; %bb.1340:
	s_or_b32 exec_lo, exec_lo, s14
	s_delay_alu instid0(SALU_CYCLE_1)
	s_and_b32 s12, s12, exec_lo
	s_or_saveexec_b32 s13, s13
	v_mov_b32_e32 v3, 0x7f800001
	s_xor_b32 exec_lo, exec_lo, s13
	s_cbranch_execnz .LBB15_1358
.LBB15_1341:
	s_or_b32 exec_lo, exec_lo, s13
	s_and_saveexec_b32 s13, s12
	s_cbranch_execz .LBB15_1343
.LBB15_1342:
	v_and_b32_e32 v3, 0xffff, v7
	v_lshlrev_b32_e32 v7, 24, v7
	s_delay_alu instid0(VALU_DEP_2) | instskip(SKIP_1) | instid1(VALU_DEP_3)
	v_and_b32_e32 v9, 7, v3
	v_bfe_u32 v17, v3, 3, 4
	v_and_b32_e32 v7, 0x80000000, v7
	s_delay_alu instid0(VALU_DEP_3) | instskip(NEXT) | instid1(VALU_DEP_3)
	v_clz_i32_u32_e32 v11, v9
	v_cmp_eq_u32_e32 vcc_lo, 0, v17
	s_delay_alu instid0(VALU_DEP_2) | instskip(NEXT) | instid1(VALU_DEP_1)
	v_min_u32_e32 v11, 32, v11
	v_subrev_nc_u32_e32 v16, 28, v11
	v_sub_nc_u32_e32 v11, 29, v11
	s_delay_alu instid0(VALU_DEP_2) | instskip(NEXT) | instid1(VALU_DEP_2)
	v_lshlrev_b32_e32 v3, v16, v3
	v_cndmask_b32_e32 v11, v17, v11, vcc_lo
	s_delay_alu instid0(VALU_DEP_2) | instskip(NEXT) | instid1(VALU_DEP_1)
	v_and_b32_e32 v3, 7, v3
	v_cndmask_b32_e32 v3, v9, v3, vcc_lo
	s_delay_alu instid0(VALU_DEP_3) | instskip(NEXT) | instid1(VALU_DEP_2)
	v_lshl_add_u32 v9, v11, 23, 0x3b800000
	v_lshlrev_b32_e32 v3, 20, v3
	s_delay_alu instid0(VALU_DEP_1)
	v_or3_b32 v3, v7, v9, v3
.LBB15_1343:
	s_or_b32 exec_lo, exec_lo, s13
.LBB15_1344:
	s_mov_b32 s12, -1
.LBB15_1345:
	s_branch .LBB15_1378
.LBB15_1346:
	s_cmp_gt_i32 s11, 22
	s_cbranch_scc0 .LBB15_1356
; %bb.1347:
	s_cmp_lt_i32 s11, 24
	s_cbranch_scc1 .LBB15_1359
; %bb.1348:
	s_cmp_gt_i32 s11, 24
	s_cbranch_scc0 .LBB15_1360
; %bb.1349:
	global_load_u8 v7, v[12:13], off
	s_mov_b32 s12, exec_lo
	s_wait_loadcnt 0x0
	v_cmpx_lt_i16_e32 0x7f, v7
	s_xor_b32 s12, exec_lo, s12
	s_cbranch_execz .LBB15_1372
; %bb.1350:
	s_mov_b32 s1, -1
	s_mov_b32 s13, exec_lo
	v_cmpx_eq_u16_e32 0x80, v7
; %bb.1351:
	s_xor_b32 s1, exec_lo, -1
; %bb.1352:
	s_or_b32 exec_lo, exec_lo, s13
	s_delay_alu instid0(SALU_CYCLE_1)
	s_and_b32 s1, s1, exec_lo
	s_or_saveexec_b32 s12, s12
	v_mov_b32_e32 v3, 0x7f800001
	s_xor_b32 exec_lo, exec_lo, s12
	s_cbranch_execnz .LBB15_1373
.LBB15_1353:
	s_or_b32 exec_lo, exec_lo, s12
	s_and_saveexec_b32 s12, s1
	s_cbranch_execz .LBB15_1355
.LBB15_1354:
	v_and_b32_e32 v3, 0xffff, v7
	v_lshlrev_b32_e32 v7, 24, v7
	s_delay_alu instid0(VALU_DEP_2) | instskip(SKIP_1) | instid1(VALU_DEP_3)
	v_and_b32_e32 v9, 3, v3
	v_bfe_u32 v17, v3, 2, 5
	v_and_b32_e32 v7, 0x80000000, v7
	s_delay_alu instid0(VALU_DEP_3) | instskip(NEXT) | instid1(VALU_DEP_3)
	v_clz_i32_u32_e32 v11, v9
	v_cmp_eq_u32_e32 vcc_lo, 0, v17
	s_delay_alu instid0(VALU_DEP_2) | instskip(NEXT) | instid1(VALU_DEP_1)
	v_min_u32_e32 v11, 32, v11
	v_subrev_nc_u32_e32 v16, 29, v11
	v_sub_nc_u32_e32 v11, 30, v11
	s_delay_alu instid0(VALU_DEP_2) | instskip(NEXT) | instid1(VALU_DEP_2)
	v_lshlrev_b32_e32 v3, v16, v3
	v_cndmask_b32_e32 v11, v17, v11, vcc_lo
	s_delay_alu instid0(VALU_DEP_2) | instskip(NEXT) | instid1(VALU_DEP_1)
	v_and_b32_e32 v3, 3, v3
	v_cndmask_b32_e32 v3, v9, v3, vcc_lo
	s_delay_alu instid0(VALU_DEP_3) | instskip(NEXT) | instid1(VALU_DEP_2)
	v_lshl_add_u32 v9, v11, 23, 0x37800000
	v_lshlrev_b32_e32 v3, 21, v3
	s_delay_alu instid0(VALU_DEP_1)
	v_or3_b32 v3, v7, v9, v3
.LBB15_1355:
	s_or_b32 exec_lo, exec_lo, s12
	s_mov_b32 s1, 0
	s_branch .LBB15_1361
.LBB15_1356:
	s_mov_b32 s1, -1
                                        ; implicit-def: $vgpr3
	s_branch .LBB15_1367
.LBB15_1357:
	s_or_saveexec_b32 s13, s13
	v_mov_b32_e32 v3, 0x7f800001
	s_xor_b32 exec_lo, exec_lo, s13
	s_cbranch_execz .LBB15_1341
.LBB15_1358:
	v_cmp_ne_u16_e32 vcc_lo, 0, v7
	v_mov_b32_e32 v3, 0
	s_and_not1_b32 s12, s12, exec_lo
	s_and_b32 s14, vcc_lo, exec_lo
	s_delay_alu instid0(SALU_CYCLE_1)
	s_or_b32 s12, s12, s14
	s_or_b32 exec_lo, exec_lo, s13
	s_and_saveexec_b32 s13, s12
	s_cbranch_execnz .LBB15_1342
	s_branch .LBB15_1343
.LBB15_1359:
	s_mov_b32 s1, -1
                                        ; implicit-def: $vgpr3
	s_branch .LBB15_1364
.LBB15_1360:
	s_mov_b32 s1, -1
                                        ; implicit-def: $vgpr3
.LBB15_1361:
	s_delay_alu instid0(SALU_CYCLE_1)
	s_and_b32 vcc_lo, exec_lo, s1
	s_cbranch_vccz .LBB15_1363
; %bb.1362:
	global_load_u8 v3, v[12:13], off
	s_wait_loadcnt 0x0
	v_lshlrev_b32_e32 v3, 24, v3
	s_delay_alu instid0(VALU_DEP_1) | instskip(NEXT) | instid1(VALU_DEP_1)
	v_and_b32_e32 v7, 0x7f000000, v3
	v_clz_i32_u32_e32 v9, v7
	v_cmp_ne_u32_e32 vcc_lo, 0, v7
	v_add_nc_u32_e32 v16, 0x1000000, v7
	s_delay_alu instid0(VALU_DEP_3) | instskip(NEXT) | instid1(VALU_DEP_1)
	v_min_u32_e32 v9, 32, v9
	v_sub_nc_u32_e64 v9, v9, 4 clamp
	s_delay_alu instid0(VALU_DEP_1) | instskip(NEXT) | instid1(VALU_DEP_1)
	v_dual_lshlrev_b32 v11, v9, v7 :: v_dual_lshlrev_b32 v9, 23, v9
	v_lshrrev_b32_e32 v11, 4, v11
	s_delay_alu instid0(VALU_DEP_1) | instskip(NEXT) | instid1(VALU_DEP_1)
	v_dual_sub_nc_u32 v9, v11, v9 :: v_dual_ashrrev_i32 v11, 8, v16
	v_add_nc_u32_e32 v9, 0x3c000000, v9
	s_delay_alu instid0(VALU_DEP_1) | instskip(NEXT) | instid1(VALU_DEP_1)
	v_and_or_b32 v9, 0x7f800000, v11, v9
	v_cndmask_b32_e32 v7, 0, v9, vcc_lo
	s_delay_alu instid0(VALU_DEP_1)
	v_and_or_b32 v3, 0x80000000, v3, v7
.LBB15_1363:
	s_mov_b32 s1, 0
.LBB15_1364:
	s_delay_alu instid0(SALU_CYCLE_1)
	s_and_not1_b32 vcc_lo, exec_lo, s1
	s_cbranch_vccnz .LBB15_1366
; %bb.1365:
	global_load_u8 v3, v[12:13], off
	s_wait_loadcnt 0x0
	v_lshlrev_b32_e32 v7, 25, v3
	v_lshlrev_b16 v3, 8, v3
	s_delay_alu instid0(VALU_DEP_2) | instskip(NEXT) | instid1(VALU_DEP_2)
	v_lshrrev_b32_e32 v9, 4, v7
	v_and_or_b32 v11, 0x7f00, v3, 0.5
	v_cmp_gt_u32_e32 vcc_lo, 0x8000000, v7
	v_bfe_i32 v3, v3, 0, 16
	s_delay_alu instid0(VALU_DEP_4) | instskip(NEXT) | instid1(VALU_DEP_4)
	v_or_b32_e32 v9, 0x70000000, v9
	v_add_f32_e32 v11, -0.5, v11
	s_delay_alu instid0(VALU_DEP_2) | instskip(NEXT) | instid1(VALU_DEP_1)
	v_mul_f32_e32 v9, 0x7800000, v9
	v_cndmask_b32_e32 v7, v9, v11, vcc_lo
	s_delay_alu instid0(VALU_DEP_1)
	v_and_or_b32 v3, 0x80000000, v3, v7
.LBB15_1366:
	s_mov_b32 s1, 0
	s_mov_b32 s12, -1
.LBB15_1367:
	s_and_not1_b32 vcc_lo, exec_lo, s1
	s_mov_b32 s1, 0
	s_cbranch_vccnz .LBB15_1378
; %bb.1368:
	s_cmp_gt_i32 s11, 14
	s_cbranch_scc0 .LBB15_1371
; %bb.1369:
	s_cmp_eq_u32 s11, 15
	s_cbranch_scc0 .LBB15_1374
; %bb.1370:
	global_load_u16 v3, v[12:13], off
	s_mov_b32 s0, 0
	s_mov_b32 s12, -1
	s_wait_loadcnt 0x0
	v_lshlrev_b32_e32 v3, 16, v3
	s_branch .LBB15_1376
.LBB15_1371:
	s_mov_b32 s1, -1
	s_branch .LBB15_1375
.LBB15_1372:
	s_or_saveexec_b32 s12, s12
	v_mov_b32_e32 v3, 0x7f800001
	s_xor_b32 exec_lo, exec_lo, s12
	s_cbranch_execz .LBB15_1353
.LBB15_1373:
	v_cmp_ne_u16_e32 vcc_lo, 0, v7
	v_mov_b32_e32 v3, 0
	s_and_not1_b32 s1, s1, exec_lo
	s_and_b32 s13, vcc_lo, exec_lo
	s_delay_alu instid0(SALU_CYCLE_1)
	s_or_b32 s1, s1, s13
	s_or_b32 exec_lo, exec_lo, s12
	s_and_saveexec_b32 s12, s1
	s_cbranch_execnz .LBB15_1354
	s_branch .LBB15_1355
.LBB15_1374:
	s_mov_b32 s0, -1
.LBB15_1375:
                                        ; implicit-def: $vgpr3
.LBB15_1376:
	s_and_b32 vcc_lo, exec_lo, s1
	s_mov_b32 s1, 0
	s_cbranch_vccz .LBB15_1378
; %bb.1377:
	s_cmp_lg_u32 s11, 11
	s_mov_b32 s1, -1
	s_cselect_b32 s0, -1, 0
.LBB15_1378:
	s_delay_alu instid0(SALU_CYCLE_1)
	s_and_b32 vcc_lo, exec_lo, s0
	s_cbranch_vccnz .LBB15_1445
; %bb.1379:
	s_and_not1_b32 vcc_lo, exec_lo, s1
	s_cbranch_vccnz .LBB15_1381
.LBB15_1380:
	global_load_u8 v3, v[12:13], off
	s_mov_b32 s12, -1
	s_wait_loadcnt 0x0
	v_cmp_ne_u16_e32 vcc_lo, 0, v3
	v_cndmask_b32_e64 v3, 0, 1.0, vcc_lo
.LBB15_1381:
	s_branch .LBB15_1307
.LBB15_1382:
	s_cmp_lt_i32 s11, 5
	s_cbranch_scc1 .LBB15_1387
; %bb.1383:
	s_cmp_lt_i32 s11, 8
	s_cbranch_scc1 .LBB15_1388
; %bb.1384:
	;; [unrolled: 3-line block ×3, first 2 shown]
	s_cmp_gt_i32 s11, 9
	s_cbranch_scc0 .LBB15_1390
; %bb.1386:
	global_load_b64 v[16:17], v[12:13], off
	s_mov_b32 s0, 0
	s_wait_loadcnt 0x0
	v_cvt_f32_f64_e32 v3, v[16:17]
	s_branch .LBB15_1391
.LBB15_1387:
                                        ; implicit-def: $vgpr3
	s_branch .LBB15_1409
.LBB15_1388:
	s_mov_b32 s0, -1
                                        ; implicit-def: $vgpr3
	s_branch .LBB15_1397
.LBB15_1389:
	s_mov_b32 s0, -1
                                        ; implicit-def: $vgpr3
	s_branch .LBB15_1394
.LBB15_1390:
	s_mov_b32 s0, -1
                                        ; implicit-def: $vgpr3
.LBB15_1391:
	s_delay_alu instid0(SALU_CYCLE_1)
	s_and_not1_b32 vcc_lo, exec_lo, s0
	s_cbranch_vccnz .LBB15_1393
; %bb.1392:
	global_load_b32 v3, v[12:13], off
.LBB15_1393:
	s_mov_b32 s0, 0
.LBB15_1394:
	s_delay_alu instid0(SALU_CYCLE_1)
	s_and_not1_b32 vcc_lo, exec_lo, s0
	s_cbranch_vccnz .LBB15_1396
; %bb.1395:
	s_wait_loadcnt 0x0
	global_load_b32 v3, v[12:13], off
	s_wait_loadcnt 0x0
	v_cvt_f32_f16_e32 v3, v3
.LBB15_1396:
	s_mov_b32 s0, 0
.LBB15_1397:
	s_delay_alu instid0(SALU_CYCLE_1)
	s_and_not1_b32 vcc_lo, exec_lo, s0
	s_cbranch_vccnz .LBB15_1408
; %bb.1398:
	s_cmp_lt_i32 s11, 6
	s_cbranch_scc1 .LBB15_1401
; %bb.1399:
	s_cmp_gt_i32 s11, 6
	s_cbranch_scc0 .LBB15_1402
; %bb.1400:
	global_load_b64 v[16:17], v[12:13], off
	s_mov_b32 s0, 0
	s_wait_loadcnt 0x0
	v_cvt_f32_f64_e32 v3, v[16:17]
	s_branch .LBB15_1403
.LBB15_1401:
	s_mov_b32 s0, -1
                                        ; implicit-def: $vgpr3
	s_branch .LBB15_1406
.LBB15_1402:
	s_mov_b32 s0, -1
                                        ; implicit-def: $vgpr3
.LBB15_1403:
	s_delay_alu instid0(SALU_CYCLE_1)
	s_and_not1_b32 vcc_lo, exec_lo, s0
	s_cbranch_vccnz .LBB15_1405
; %bb.1404:
	s_wait_loadcnt 0x0
	global_load_b32 v3, v[12:13], off
.LBB15_1405:
	s_mov_b32 s0, 0
.LBB15_1406:
	s_delay_alu instid0(SALU_CYCLE_1)
	s_and_not1_b32 vcc_lo, exec_lo, s0
	s_cbranch_vccnz .LBB15_1408
; %bb.1407:
	s_wait_loadcnt 0x0
	global_load_u16 v3, v[12:13], off
	s_wait_loadcnt 0x0
	v_cvt_f32_f16_e32 v3, v3
.LBB15_1408:
	s_cbranch_execnz .LBB15_1428
.LBB15_1409:
	s_cmp_lt_i32 s11, 2
	s_cbranch_scc1 .LBB15_1413
; %bb.1410:
	s_cmp_lt_i32 s11, 3
	s_cbranch_scc1 .LBB15_1414
; %bb.1411:
	s_cmp_gt_i32 s11, 3
	s_cbranch_scc0 .LBB15_1415
; %bb.1412:
	global_load_b64 v[16:17], v[12:13], off
	s_mov_b32 s0, 0
	s_wait_loadcnt 0x0
	v_xor_b32_e32 v3, v16, v17
	v_cls_i32_e32 v7, v17
	s_delay_alu instid0(VALU_DEP_2) | instskip(NEXT) | instid1(VALU_DEP_1)
	v_ashrrev_i32_e32 v3, 31, v3
	v_add_nc_u32_e32 v3, 32, v3
	s_delay_alu instid0(VALU_DEP_1) | instskip(NEXT) | instid1(VALU_DEP_1)
	v_add_min_u32_e64 v3, v7, -1, v3
	v_lshlrev_b64_e32 v[16:17], v3, v[16:17]
	v_sub_nc_u32_e32 v3, 32, v3
	s_delay_alu instid0(VALU_DEP_2) | instskip(NEXT) | instid1(VALU_DEP_1)
	v_min_u32_e32 v7, 1, v16
	v_or_b32_e32 v7, v17, v7
	s_delay_alu instid0(VALU_DEP_1) | instskip(NEXT) | instid1(VALU_DEP_1)
	v_cvt_f32_i32_e32 v7, v7
	v_ldexp_f32 v3, v7, v3
	s_branch .LBB15_1416
.LBB15_1413:
	s_mov_b32 s0, -1
                                        ; implicit-def: $vgpr3
	s_branch .LBB15_1422
.LBB15_1414:
	s_mov_b32 s0, -1
                                        ; implicit-def: $vgpr3
	s_branch .LBB15_1419
.LBB15_1415:
	s_mov_b32 s0, -1
                                        ; implicit-def: $vgpr3
.LBB15_1416:
	s_delay_alu instid0(SALU_CYCLE_1)
	s_and_not1_b32 vcc_lo, exec_lo, s0
	s_cbranch_vccnz .LBB15_1418
; %bb.1417:
	s_wait_loadcnt 0x0
	global_load_b32 v3, v[12:13], off
	s_wait_loadcnt 0x0
	v_cvt_f32_i32_e32 v3, v3
.LBB15_1418:
	s_mov_b32 s0, 0
.LBB15_1419:
	s_delay_alu instid0(SALU_CYCLE_1)
	s_and_not1_b32 vcc_lo, exec_lo, s0
	s_cbranch_vccnz .LBB15_1421
; %bb.1420:
	s_wait_loadcnt 0x0
	global_load_i16 v3, v[12:13], off
	s_wait_loadcnt 0x0
	v_cvt_f32_i32_e32 v3, v3
.LBB15_1421:
	s_mov_b32 s0, 0
.LBB15_1422:
	s_delay_alu instid0(SALU_CYCLE_1)
	s_and_not1_b32 vcc_lo, exec_lo, s0
	s_cbranch_vccnz .LBB15_1428
; %bb.1423:
	s_cmp_gt_i32 s11, 0
	s_mov_b32 s0, 0
	s_cbranch_scc0 .LBB15_1425
; %bb.1424:
	s_wait_loadcnt 0x0
	global_load_i8 v3, v[12:13], off
	s_wait_loadcnt 0x0
	v_cvt_f32_i32_e32 v3, v3
	s_branch .LBB15_1426
.LBB15_1425:
	s_mov_b32 s0, -1
                                        ; implicit-def: $vgpr3
.LBB15_1426:
	s_delay_alu instid0(SALU_CYCLE_1)
	s_and_not1_b32 vcc_lo, exec_lo, s0
	s_cbranch_vccnz .LBB15_1428
; %bb.1427:
	s_wait_loadcnt 0x0
	global_load_u8 v3, v[12:13], off
	s_wait_loadcnt 0x0
	v_cvt_f32_ubyte0_e32 v3, v3
.LBB15_1428:
.LBB15_1429:
	s_wait_loadcnt 0x0
	s_delay_alu instid0(VALU_DEP_1)
	v_and_b32_e32 v13, 0x7fffffff, v3
                                        ; implicit-def: $vgpr17
                                        ; implicit-def: $vgpr16
	s_mov_b32 s1, exec_lo
	v_cmpx_ngt_f32_e64 0x48000000, |v3|
	s_xor_b32 s12, exec_lo, s1
	s_cbranch_execz .LBB15_1431
; %bb.1430:
	s_mov_b32 s0, 0x7fffff
	v_mov_b32_e32 v17, 0
	v_and_or_b32 v16, v13, s0, 0x800000
	s_mov_b64 s[0:1], 0xfe5163ab
	v_lshrrev_b32_e32 v7, 23, v13
	s_delay_alu instid0(VALU_DEP_2) | instskip(NEXT) | instid1(VALU_DEP_1)
	v_mul_u64_e32 v[18:19], s[0:1], v[16:17]
	v_dual_mov_b32 v20, v19 :: v_dual_mov_b32 v21, v17
	v_dual_mov_b32 v23, v17 :: v_dual_mov_b32 v25, v17
	v_mov_b32_e32 v27, v17
	s_delay_alu instid0(VALU_DEP_3) | instskip(NEXT) | instid1(VALU_DEP_1)
	v_mad_nc_u64_u32 v[20:21], 0x3c439041, v16, v[20:21]
	v_mov_b32_e32 v22, v21
	s_delay_alu instid0(VALU_DEP_1) | instskip(NEXT) | instid1(VALU_DEP_1)
	v_mad_nc_u64_u32 v[22:23], 0xdb629599, v16, v[22:23]
	v_mov_b32_e32 v24, v23
	s_delay_alu instid0(VALU_DEP_1) | instskip(NEXT) | instid1(VALU_DEP_1)
	;; [unrolled: 3-line block ×3, first 2 shown]
	v_mad_nc_u64_u32 v[26:27], 0xfc2757d1, v16, v[26:27]
	v_dual_mov_b32 v29, v17 :: v_dual_mov_b32 v28, v27
	s_delay_alu instid0(VALU_DEP_1) | instskip(NEXT) | instid1(VALU_DEP_1)
	v_mad_nc_u64_u32 v[28:29], 0x4e441529, v16, v[28:29]
	v_dual_mov_b32 v30, v29 :: v_dual_add_nc_u32 v7, 0xffffff88, v7
	s_delay_alu instid0(VALU_DEP_1) | instskip(SKIP_2) | instid1(VALU_DEP_2)
	v_cmp_lt_u32_e32 vcc_lo, 63, v7
	v_mov_b32_e32 v31, v17
	v_cndmask_b32_e64 v9, 0, 0xffffffc0, vcc_lo
	v_mad_nc_u64_u32 v[16:17], 0xa2f9836e, v16, v[30:31]
	v_dual_cndmask_b32 v11, v28, v24 :: v_dual_cndmask_b32 v18, v22, v18
	s_delay_alu instid0(VALU_DEP_3) | instskip(NEXT) | instid1(VALU_DEP_1)
	v_add_nc_u32_e32 v7, v9, v7
	v_cmp_lt_u32_e64 s0, 31, v7
	s_delay_alu instid0(VALU_DEP_4) | instskip(SKIP_1) | instid1(VALU_DEP_3)
	v_dual_cndmask_b32 v12, v16, v26, vcc_lo :: v_dual_cndmask_b32 v16, v17, v28, vcc_lo
	v_cndmask_b32_e32 v17, v26, v22, vcc_lo
	v_cndmask_b32_e64 v9, 0, 0xffffffe0, s0
	s_delay_alu instid0(VALU_DEP_3) | instskip(NEXT) | instid1(VALU_DEP_3)
	v_cndmask_b32_e64 v19, v12, v11, s0
	v_dual_cndmask_b32 v12, v16, v12, s0 :: v_dual_cndmask_b32 v11, v11, v17, s0
	s_delay_alu instid0(VALU_DEP_3) | instskip(NEXT) | instid1(VALU_DEP_1)
	v_add_nc_u32_e32 v7, v9, v7
	v_cmp_lt_u32_e64 s1, 31, v7
	s_delay_alu instid0(VALU_DEP_1) | instskip(NEXT) | instid1(VALU_DEP_1)
	v_cndmask_b32_e64 v9, 0, 0xffffffe0, s1
	v_dual_add_nc_u32 v7, v9, v7 :: v_dual_cndmask_b32 v9, v24, v20, vcc_lo
	s_delay_alu instid0(VALU_DEP_1) | instskip(SKIP_3) | instid1(VALU_DEP_4)
	v_dual_sub_nc_u32 v16, 32, v7 :: v_dual_cndmask_b32 v17, v17, v9, s0
	v_cndmask_b32_e64 v12, v12, v19, s1
	v_cndmask_b32_e64 v19, v19, v11, s1
	v_cmp_eq_u32_e32 vcc_lo, 0, v7
	v_dual_cndmask_b32 v9, v9, v18, s0 :: v_dual_cndmask_b32 v11, v11, v17, s1
	s_delay_alu instid0(VALU_DEP_3) | instskip(NEXT) | instid1(VALU_DEP_2)
	v_alignbit_b32 v20, v12, v19, v16
	v_alignbit_b32 v21, v19, v11, v16
	s_delay_alu instid0(VALU_DEP_2) | instskip(NEXT) | instid1(VALU_DEP_1)
	v_cndmask_b32_e32 v7, v20, v12, vcc_lo
	v_bfe_u32 v18, v7, 29, 1
	s_delay_alu instid0(VALU_DEP_1) | instskip(SKIP_1) | instid1(VALU_DEP_2)
	v_dual_cndmask_b32 v12, v21, v19 :: v_dual_sub_nc_u32 v19, 0, v18
	v_cndmask_b32_e64 v9, v17, v9, s1
	v_alignbit_b32 v17, v7, v12, 30
	s_delay_alu instid0(VALU_DEP_1) | instskip(NEXT) | instid1(VALU_DEP_3)
	v_xor_b32_e32 v17, v17, v19
	v_alignbit_b32 v16, v11, v9, v16
	s_delay_alu instid0(VALU_DEP_1) | instskip(NEXT) | instid1(VALU_DEP_3)
	v_cndmask_b32_e32 v11, v16, v11, vcc_lo
	v_clz_i32_u32_e32 v16, v17
	s_delay_alu instid0(VALU_DEP_2) | instskip(NEXT) | instid1(VALU_DEP_2)
	v_alignbit_b32 v12, v12, v11, 30
	v_min_u32_e32 v16, 32, v16
	v_alignbit_b32 v9, v11, v9, 30
	s_delay_alu instid0(VALU_DEP_2) | instskip(NEXT) | instid1(VALU_DEP_2)
	v_dual_lshlrev_b32 v20, 23, v16 :: v_dual_bitop2_b32 v11, v12, v19 bitop3:0x14
	v_dual_sub_nc_u32 v12, 31, v16 :: v_dual_bitop2_b32 v9, v9, v19 bitop3:0x14
	s_delay_alu instid0(VALU_DEP_1) | instskip(SKIP_1) | instid1(VALU_DEP_3)
	v_alignbit_b32 v17, v17, v11, v12
	v_lshrrev_b32_e32 v19, 29, v7
	v_alignbit_b32 v9, v11, v9, v12
	v_lshrrev_b32_e32 v7, 30, v7
	s_delay_alu instid0(VALU_DEP_2) | instskip(NEXT) | instid1(VALU_DEP_4)
	v_alignbit_b32 v12, v17, v9, 9
	v_dual_lshrrev_b32 v17, 9, v17 :: v_dual_lshlrev_b32 v11, 31, v19
	s_delay_alu instid0(VALU_DEP_2) | instskip(NEXT) | instid1(VALU_DEP_2)
	v_clz_i32_u32_e32 v21, v12
	v_or_b32_e32 v19, 0.5, v11
	v_or_b32_e32 v11, 0x33000000, v11
	s_delay_alu instid0(VALU_DEP_2) | instskip(NEXT) | instid1(VALU_DEP_4)
	v_sub_nc_u32_e32 v19, v19, v20
	v_min_u32_e32 v20, 32, v21
	s_delay_alu instid0(VALU_DEP_2) | instskip(NEXT) | instid1(VALU_DEP_2)
	v_or_b32_e32 v17, v17, v19
	v_not_b32_e32 v19, v20
	v_add_lshl_u32 v16, v20, v16, 23
	s_delay_alu instid0(VALU_DEP_3) | instskip(NEXT) | instid1(VALU_DEP_3)
	v_mul_f32_e32 v21, 0x3fc90fda, v17
	v_alignbit_b32 v9, v12, v9, v19
	s_delay_alu instid0(VALU_DEP_3) | instskip(NEXT) | instid1(VALU_DEP_3)
	v_sub_nc_u32_e32 v11, v11, v16
	v_fma_f32 v12, 0x3fc90fda, v17, -v21
	s_delay_alu instid0(VALU_DEP_1) | instskip(NEXT) | instid1(VALU_DEP_1)
	v_dual_fmamk_f32 v12, v17, 0x33a22168, v12 :: v_dual_lshrrev_b32 v9, 9, v9
	v_dual_add_nc_u32 v17, v18, v7 :: v_dual_bitop2_b32 v9, v11, v9 bitop3:0x54
	s_delay_alu instid0(VALU_DEP_1) | instskip(NEXT) | instid1(VALU_DEP_1)
	v_fmac_f32_e32 v12, 0x3fc90fda, v9
	v_add_f32_e32 v16, v21, v12
.LBB15_1431:
	s_and_not1_saveexec_b32 s0, s12
; %bb.1432:
	v_mul_f32_e64 v7, 0x3f22f983, |v3|
	s_delay_alu instid0(VALU_DEP_1) | instskip(NEXT) | instid1(VALU_DEP_1)
	v_rndne_f32_e32 v7, v7
	v_fma_f32 v9, 0xbfc90fda, v7, |v3|
	v_cvt_i32_f32_e32 v17, v7
	s_delay_alu instid0(VALU_DEP_2) | instskip(NEXT) | instid1(VALU_DEP_1)
	v_fmamk_f32 v9, v7, 0xb3a22168, v9
	v_fmamk_f32 v16, v7, 0xa7c234c4, v9
; %bb.1433:
	s_or_b32 exec_lo, exec_lo, s0
	v_mov_b32_e32 v11, 0
	s_cmp_lt_i32 s11, 11
	s_delay_alu instid0(VALU_DEP_1)
	v_add_nc_u64_e32 v[10:11], s[6:7], v[10:11]
	s_cbranch_scc1 .LBB15_1440
; %bb.1434:
	s_cmp_gt_i32 s11, 25
	s_mov_b32 s1, 0
	s_cbranch_scc0 .LBB15_1442
; %bb.1435:
	s_cmp_gt_i32 s11, 28
	s_cbranch_scc0 .LBB15_1443
; %bb.1436:
	s_cmp_gt_i32 s11, 43
	;; [unrolled: 3-line block ×3, first 2 shown]
	s_cbranch_scc0 .LBB15_1446
; %bb.1438:
	s_cmp_eq_u32 s11, 46
	s_mov_b32 s13, 0
	s_cbranch_scc0 .LBB15_1447
; %bb.1439:
	global_load_b32 v7, v[10:11], off
	s_mov_b32 s0, 0
	s_mov_b32 s12, -1
	s_wait_loadcnt 0x0
	v_lshlrev_b32_e32 v12, 16, v7
	s_branch .LBB15_1449
.LBB15_1440:
	s_mov_b32 s12, 0
                                        ; implicit-def: $vgpr12
	s_cbranch_execnz .LBB15_1515
.LBB15_1441:
	s_and_not1_b32 vcc_lo, exec_lo, s12
	s_cbranch_vccz .LBB15_1563
	s_branch .LBB15_2132
.LBB15_1442:
	s_mov_b32 s13, -1
	s_mov_b32 s12, 0
	s_mov_b32 s0, 0
                                        ; implicit-def: $vgpr12
	s_branch .LBB15_1478
.LBB15_1443:
	s_mov_b32 s13, -1
	s_mov_b32 s12, 0
	s_mov_b32 s0, 0
                                        ; implicit-def: $vgpr12
	s_branch .LBB15_1459
.LBB15_1444:
	s_mov_b32 s13, -1
	s_mov_b32 s12, 0
	s_mov_b32 s0, 0
                                        ; implicit-def: $vgpr12
	s_branch .LBB15_1454
.LBB15_1445:
	s_or_b32 s10, s10, exec_lo
	s_trap 2
	s_cbranch_execz .LBB15_1380
	s_branch .LBB15_1381
.LBB15_1446:
	s_mov_b32 s13, -1
	s_mov_b32 s12, 0
	s_mov_b32 s0, 0
	s_branch .LBB15_1448
.LBB15_1447:
	s_mov_b32 s0, -1
	s_mov_b32 s12, 0
.LBB15_1448:
                                        ; implicit-def: $vgpr12
.LBB15_1449:
	s_and_b32 vcc_lo, exec_lo, s13
	s_cbranch_vccz .LBB15_1453
; %bb.1450:
	s_cmp_eq_u32 s11, 44
	s_cbranch_scc0 .LBB15_1452
; %bb.1451:
	global_load_u8 v7, v[10:11], off
	s_mov_b32 s0, 0
	s_mov_b32 s12, -1
	s_wait_loadcnt 0x0
	v_lshlrev_b32_e32 v9, 23, v7
	v_cmp_ne_u32_e32 vcc_lo, 0xff, v7
	s_delay_alu instid0(VALU_DEP_2) | instskip(SKIP_1) | instid1(VALU_DEP_2)
	v_cndmask_b32_e32 v9, 0x7f800001, v9, vcc_lo
	v_cmp_ne_u32_e32 vcc_lo, 0, v7
	v_cndmask_b32_e32 v12, 0x400000, v9, vcc_lo
	s_branch .LBB15_1453
.LBB15_1452:
	s_mov_b32 s0, -1
                                        ; implicit-def: $vgpr12
.LBB15_1453:
	s_mov_b32 s13, 0
.LBB15_1454:
	s_delay_alu instid0(SALU_CYCLE_1)
	s_and_b32 vcc_lo, exec_lo, s13
	s_cbranch_vccz .LBB15_1458
; %bb.1455:
	s_cmp_eq_u32 s11, 29
	s_cbranch_scc0 .LBB15_1457
; %bb.1456:
	global_load_b64 v[18:19], v[10:11], off
	s_mov_b32 s0, 0
	s_mov_b32 s12, -1
	s_mov_b32 s13, 0
	s_wait_loadcnt 0x0
	v_clz_i32_u32_e32 v7, v19
	s_delay_alu instid0(VALU_DEP_1) | instskip(NEXT) | instid1(VALU_DEP_1)
	v_min_u32_e32 v7, 32, v7
	v_lshlrev_b64_e32 v[18:19], v7, v[18:19]
	v_sub_nc_u32_e32 v7, 32, v7
	s_delay_alu instid0(VALU_DEP_2) | instskip(NEXT) | instid1(VALU_DEP_1)
	v_min_u32_e32 v9, 1, v18
	v_or_b32_e32 v9, v19, v9
	s_delay_alu instid0(VALU_DEP_1) | instskip(NEXT) | instid1(VALU_DEP_1)
	v_cvt_f32_u32_e32 v9, v9
	v_ldexp_f32 v12, v9, v7
	s_branch .LBB15_1459
.LBB15_1457:
	s_mov_b32 s0, -1
                                        ; implicit-def: $vgpr12
.LBB15_1458:
	s_mov_b32 s13, 0
.LBB15_1459:
	s_delay_alu instid0(SALU_CYCLE_1)
	s_and_b32 vcc_lo, exec_lo, s13
	s_cbranch_vccz .LBB15_1477
; %bb.1460:
	s_cmp_lt_i32 s11, 27
	s_cbranch_scc1 .LBB15_1463
; %bb.1461:
	s_cmp_gt_i32 s11, 27
	s_cbranch_scc0 .LBB15_1464
; %bb.1462:
	global_load_b32 v7, v[10:11], off
	s_mov_b32 s12, 0
	s_wait_loadcnt 0x0
	v_cvt_f32_u32_e32 v12, v7
	s_branch .LBB15_1465
.LBB15_1463:
	s_mov_b32 s12, -1
                                        ; implicit-def: $vgpr12
	s_branch .LBB15_1468
.LBB15_1464:
	s_mov_b32 s12, -1
                                        ; implicit-def: $vgpr12
.LBB15_1465:
	s_delay_alu instid0(SALU_CYCLE_1)
	s_and_not1_b32 vcc_lo, exec_lo, s12
	s_cbranch_vccnz .LBB15_1467
; %bb.1466:
	global_load_u16 v7, v[10:11], off
	s_wait_loadcnt 0x0
	v_cvt_f32_u32_e32 v12, v7
.LBB15_1467:
	s_mov_b32 s12, 0
.LBB15_1468:
	s_delay_alu instid0(SALU_CYCLE_1)
	s_and_not1_b32 vcc_lo, exec_lo, s12
	s_cbranch_vccnz .LBB15_1476
; %bb.1469:
	global_load_u8 v7, v[10:11], off
	s_mov_b32 s12, 0
	s_mov_b32 s13, exec_lo
	s_wait_loadcnt 0x0
	v_cmpx_lt_i16_e32 0x7f, v7
	s_xor_b32 s13, exec_lo, s13
	s_cbranch_execz .LBB15_1490
; %bb.1470:
	s_mov_b32 s12, -1
	s_mov_b32 s14, exec_lo
	v_cmpx_eq_u16_e32 0x80, v7
; %bb.1471:
	s_xor_b32 s12, exec_lo, -1
; %bb.1472:
	s_or_b32 exec_lo, exec_lo, s14
	s_delay_alu instid0(SALU_CYCLE_1)
	s_and_b32 s12, s12, exec_lo
	s_or_saveexec_b32 s13, s13
	v_mov_b32_e32 v12, 0x7f800001
	s_xor_b32 exec_lo, exec_lo, s13
	s_cbranch_execnz .LBB15_1491
.LBB15_1473:
	s_or_b32 exec_lo, exec_lo, s13
	s_and_saveexec_b32 s13, s12
	s_cbranch_execz .LBB15_1475
.LBB15_1474:
	v_and_b32_e32 v9, 0xffff, v7
	s_delay_alu instid0(VALU_DEP_1) | instskip(SKIP_1) | instid1(VALU_DEP_2)
	v_and_b32_e32 v12, 7, v9
	v_bfe_u32 v20, v9, 3, 4
	v_clz_i32_u32_e32 v18, v12
	s_delay_alu instid0(VALU_DEP_2) | instskip(NEXT) | instid1(VALU_DEP_2)
	v_cmp_eq_u32_e32 vcc_lo, 0, v20
	v_min_u32_e32 v18, 32, v18
	s_delay_alu instid0(VALU_DEP_1) | instskip(NEXT) | instid1(VALU_DEP_1)
	v_subrev_nc_u32_e32 v19, 28, v18
	v_dual_lshlrev_b32 v9, v19, v9 :: v_dual_sub_nc_u32 v18, 29, v18
	s_delay_alu instid0(VALU_DEP_1) | instskip(NEXT) | instid1(VALU_DEP_2)
	v_dual_lshlrev_b32 v7, 24, v7 :: v_dual_bitop2_b32 v9, 7, v9 bitop3:0x40
	v_cndmask_b32_e32 v18, v20, v18, vcc_lo
	s_delay_alu instid0(VALU_DEP_2) | instskip(NEXT) | instid1(VALU_DEP_3)
	v_cndmask_b32_e32 v9, v12, v9, vcc_lo
	v_and_b32_e32 v7, 0x80000000, v7
	s_delay_alu instid0(VALU_DEP_3) | instskip(NEXT) | instid1(VALU_DEP_3)
	v_lshl_add_u32 v12, v18, 23, 0x3b800000
	v_lshlrev_b32_e32 v9, 20, v9
	s_delay_alu instid0(VALU_DEP_1)
	v_or3_b32 v12, v7, v12, v9
.LBB15_1475:
	s_or_b32 exec_lo, exec_lo, s13
.LBB15_1476:
	s_mov_b32 s12, -1
.LBB15_1477:
	s_mov_b32 s13, 0
.LBB15_1478:
	s_delay_alu instid0(SALU_CYCLE_1)
	s_and_b32 vcc_lo, exec_lo, s13
	s_cbranch_vccz .LBB15_1511
; %bb.1479:
	s_cmp_gt_i32 s11, 22
	s_cbranch_scc0 .LBB15_1489
; %bb.1480:
	s_cmp_lt_i32 s11, 24
	s_cbranch_scc1 .LBB15_1492
; %bb.1481:
	s_cmp_gt_i32 s11, 24
	s_cbranch_scc0 .LBB15_1493
; %bb.1482:
	global_load_u8 v7, v[10:11], off
	s_mov_b32 s12, exec_lo
	s_wait_loadcnt 0x0
	v_cmpx_lt_i16_e32 0x7f, v7
	s_xor_b32 s12, exec_lo, s12
	s_cbranch_execz .LBB15_1505
; %bb.1483:
	s_mov_b32 s1, -1
	s_mov_b32 s13, exec_lo
	v_cmpx_eq_u16_e32 0x80, v7
; %bb.1484:
	s_xor_b32 s1, exec_lo, -1
; %bb.1485:
	s_or_b32 exec_lo, exec_lo, s13
	s_delay_alu instid0(SALU_CYCLE_1)
	s_and_b32 s1, s1, exec_lo
	s_or_saveexec_b32 s12, s12
	v_mov_b32_e32 v12, 0x7f800001
	s_xor_b32 exec_lo, exec_lo, s12
	s_cbranch_execnz .LBB15_1506
.LBB15_1486:
	s_or_b32 exec_lo, exec_lo, s12
	s_and_saveexec_b32 s12, s1
	s_cbranch_execz .LBB15_1488
.LBB15_1487:
	v_and_b32_e32 v9, 0xffff, v7
	s_delay_alu instid0(VALU_DEP_1) | instskip(SKIP_1) | instid1(VALU_DEP_2)
	v_and_b32_e32 v12, 3, v9
	v_bfe_u32 v20, v9, 2, 5
	v_clz_i32_u32_e32 v18, v12
	s_delay_alu instid0(VALU_DEP_2) | instskip(NEXT) | instid1(VALU_DEP_2)
	v_cmp_eq_u32_e32 vcc_lo, 0, v20
	v_min_u32_e32 v18, 32, v18
	s_delay_alu instid0(VALU_DEP_1) | instskip(NEXT) | instid1(VALU_DEP_1)
	v_subrev_nc_u32_e32 v19, 29, v18
	v_dual_lshlrev_b32 v9, v19, v9 :: v_dual_sub_nc_u32 v18, 30, v18
	s_delay_alu instid0(VALU_DEP_1) | instskip(NEXT) | instid1(VALU_DEP_2)
	v_dual_lshlrev_b32 v7, 24, v7 :: v_dual_bitop2_b32 v9, 3, v9 bitop3:0x40
	v_cndmask_b32_e32 v18, v20, v18, vcc_lo
	s_delay_alu instid0(VALU_DEP_2) | instskip(NEXT) | instid1(VALU_DEP_3)
	v_cndmask_b32_e32 v9, v12, v9, vcc_lo
	v_and_b32_e32 v7, 0x80000000, v7
	s_delay_alu instid0(VALU_DEP_3) | instskip(NEXT) | instid1(VALU_DEP_3)
	v_lshl_add_u32 v12, v18, 23, 0x37800000
	v_lshlrev_b32_e32 v9, 21, v9
	s_delay_alu instid0(VALU_DEP_1)
	v_or3_b32 v12, v7, v12, v9
.LBB15_1488:
	s_or_b32 exec_lo, exec_lo, s12
	s_mov_b32 s1, 0
	s_branch .LBB15_1494
.LBB15_1489:
	s_mov_b32 s1, -1
                                        ; implicit-def: $vgpr12
	s_branch .LBB15_1500
.LBB15_1490:
	s_or_saveexec_b32 s13, s13
	v_mov_b32_e32 v12, 0x7f800001
	s_xor_b32 exec_lo, exec_lo, s13
	s_cbranch_execz .LBB15_1473
.LBB15_1491:
	v_cmp_ne_u16_e32 vcc_lo, 0, v7
	v_mov_b32_e32 v12, 0
	s_and_not1_b32 s12, s12, exec_lo
	s_and_b32 s14, vcc_lo, exec_lo
	s_delay_alu instid0(SALU_CYCLE_1)
	s_or_b32 s12, s12, s14
	s_or_b32 exec_lo, exec_lo, s13
	s_and_saveexec_b32 s13, s12
	s_cbranch_execnz .LBB15_1474
	s_branch .LBB15_1475
.LBB15_1492:
	s_mov_b32 s1, -1
                                        ; implicit-def: $vgpr12
	s_branch .LBB15_1497
.LBB15_1493:
	s_mov_b32 s1, -1
                                        ; implicit-def: $vgpr12
.LBB15_1494:
	s_delay_alu instid0(SALU_CYCLE_1)
	s_and_b32 vcc_lo, exec_lo, s1
	s_cbranch_vccz .LBB15_1496
; %bb.1495:
	global_load_u8 v7, v[10:11], off
	s_wait_loadcnt 0x0
	v_lshlrev_b32_e32 v7, 24, v7
	s_delay_alu instid0(VALU_DEP_1) | instskip(NEXT) | instid1(VALU_DEP_1)
	v_and_b32_e32 v9, 0x7f000000, v7
	v_clz_i32_u32_e32 v12, v9
	v_add_nc_u32_e32 v19, 0x1000000, v9
	v_cmp_ne_u32_e32 vcc_lo, 0, v9
	s_delay_alu instid0(VALU_DEP_3) | instskip(NEXT) | instid1(VALU_DEP_1)
	v_min_u32_e32 v12, 32, v12
	v_sub_nc_u32_e64 v12, v12, 4 clamp
	s_delay_alu instid0(VALU_DEP_1) | instskip(NEXT) | instid1(VALU_DEP_1)
	v_dual_lshlrev_b32 v18, v12, v9 :: v_dual_lshlrev_b32 v12, 23, v12
	v_lshrrev_b32_e32 v18, 4, v18
	s_delay_alu instid0(VALU_DEP_1) | instskip(NEXT) | instid1(VALU_DEP_1)
	v_dual_sub_nc_u32 v12, v18, v12 :: v_dual_ashrrev_i32 v18, 8, v19
	v_add_nc_u32_e32 v12, 0x3c000000, v12
	s_delay_alu instid0(VALU_DEP_1) | instskip(NEXT) | instid1(VALU_DEP_1)
	v_and_or_b32 v12, 0x7f800000, v18, v12
	v_cndmask_b32_e32 v9, 0, v12, vcc_lo
	s_delay_alu instid0(VALU_DEP_1)
	v_and_or_b32 v12, 0x80000000, v7, v9
.LBB15_1496:
	s_mov_b32 s1, 0
.LBB15_1497:
	s_delay_alu instid0(SALU_CYCLE_1)
	s_and_not1_b32 vcc_lo, exec_lo, s1
	s_cbranch_vccnz .LBB15_1499
; %bb.1498:
	global_load_u8 v7, v[10:11], off
	s_wait_loadcnt 0x0
	v_lshlrev_b32_e32 v9, 25, v7
	v_lshlrev_b16 v7, 8, v7
	s_delay_alu instid0(VALU_DEP_1) | instskip(SKIP_1) | instid1(VALU_DEP_2)
	v_and_or_b32 v18, 0x7f00, v7, 0.5
	v_bfe_i32 v7, v7, 0, 16
	v_dual_add_f32 v18, -0.5, v18 :: v_dual_lshrrev_b32 v12, 4, v9
	v_cmp_gt_u32_e32 vcc_lo, 0x8000000, v9
	s_delay_alu instid0(VALU_DEP_2) | instskip(NEXT) | instid1(VALU_DEP_1)
	v_or_b32_e32 v12, 0x70000000, v12
	v_mul_f32_e32 v12, 0x7800000, v12
	s_delay_alu instid0(VALU_DEP_1) | instskip(NEXT) | instid1(VALU_DEP_1)
	v_cndmask_b32_e32 v9, v12, v18, vcc_lo
	v_and_or_b32 v12, 0x80000000, v7, v9
.LBB15_1499:
	s_mov_b32 s1, 0
	s_mov_b32 s12, -1
.LBB15_1500:
	s_and_not1_b32 vcc_lo, exec_lo, s1
	s_mov_b32 s1, 0
	s_cbranch_vccnz .LBB15_1511
; %bb.1501:
	s_cmp_gt_i32 s11, 14
	s_cbranch_scc0 .LBB15_1504
; %bb.1502:
	s_cmp_eq_u32 s11, 15
	s_cbranch_scc0 .LBB15_1507
; %bb.1503:
	global_load_u16 v7, v[10:11], off
	s_mov_b32 s0, 0
	s_mov_b32 s12, -1
	s_wait_loadcnt 0x0
	v_lshlrev_b32_e32 v12, 16, v7
	s_branch .LBB15_1509
.LBB15_1504:
	s_mov_b32 s1, -1
	s_branch .LBB15_1508
.LBB15_1505:
	s_or_saveexec_b32 s12, s12
	v_mov_b32_e32 v12, 0x7f800001
	s_xor_b32 exec_lo, exec_lo, s12
	s_cbranch_execz .LBB15_1486
.LBB15_1506:
	v_cmp_ne_u16_e32 vcc_lo, 0, v7
	v_mov_b32_e32 v12, 0
	s_and_not1_b32 s1, s1, exec_lo
	s_and_b32 s13, vcc_lo, exec_lo
	s_delay_alu instid0(SALU_CYCLE_1)
	s_or_b32 s1, s1, s13
	s_or_b32 exec_lo, exec_lo, s12
	s_and_saveexec_b32 s12, s1
	s_cbranch_execnz .LBB15_1487
	s_branch .LBB15_1488
.LBB15_1507:
	s_mov_b32 s0, -1
.LBB15_1508:
                                        ; implicit-def: $vgpr12
.LBB15_1509:
	s_and_b32 vcc_lo, exec_lo, s1
	s_mov_b32 s1, 0
	s_cbranch_vccz .LBB15_1511
; %bb.1510:
	s_cmp_lg_u32 s11, 11
	s_mov_b32 s1, -1
	s_cselect_b32 s0, -1, 0
.LBB15_1511:
	s_delay_alu instid0(SALU_CYCLE_1)
	s_and_b32 vcc_lo, exec_lo, s0
	s_cbranch_vccnz .LBB15_1578
; %bb.1512:
	s_and_not1_b32 vcc_lo, exec_lo, s1
	s_cbranch_vccnz .LBB15_1514
.LBB15_1513:
	global_load_u8 v7, v[10:11], off
	s_mov_b32 s12, -1
	s_wait_loadcnt 0x0
	v_cmp_ne_u16_e32 vcc_lo, 0, v7
	v_cndmask_b32_e64 v12, 0, 1.0, vcc_lo
.LBB15_1514:
	s_branch .LBB15_1441
.LBB15_1515:
	s_cmp_lt_i32 s11, 5
	s_cbranch_scc1 .LBB15_1520
; %bb.1516:
	s_cmp_lt_i32 s11, 8
	s_cbranch_scc1 .LBB15_1521
; %bb.1517:
	;; [unrolled: 3-line block ×3, first 2 shown]
	s_cmp_gt_i32 s11, 9
	s_cbranch_scc0 .LBB15_1523
; %bb.1519:
	global_load_b64 v[18:19], v[10:11], off
	s_mov_b32 s0, 0
	s_wait_loadcnt 0x0
	v_cvt_f32_f64_e32 v12, v[18:19]
	s_branch .LBB15_1524
.LBB15_1520:
	s_mov_b32 s0, -1
                                        ; implicit-def: $vgpr12
	s_branch .LBB15_1542
.LBB15_1521:
	s_mov_b32 s0, -1
                                        ; implicit-def: $vgpr12
	s_branch .LBB15_1530
.LBB15_1522:
	s_mov_b32 s0, -1
                                        ; implicit-def: $vgpr12
	s_branch .LBB15_1527
.LBB15_1523:
	s_mov_b32 s0, -1
                                        ; implicit-def: $vgpr12
.LBB15_1524:
	s_delay_alu instid0(SALU_CYCLE_1)
	s_and_not1_b32 vcc_lo, exec_lo, s0
	s_cbranch_vccnz .LBB15_1526
; %bb.1525:
	global_load_b32 v12, v[10:11], off
.LBB15_1526:
	s_mov_b32 s0, 0
.LBB15_1527:
	s_delay_alu instid0(SALU_CYCLE_1)
	s_and_not1_b32 vcc_lo, exec_lo, s0
	s_cbranch_vccnz .LBB15_1529
; %bb.1528:
	global_load_b32 v7, v[10:11], off
	s_wait_loadcnt 0x0
	v_cvt_f32_f16_e32 v12, v7
.LBB15_1529:
	s_mov_b32 s0, 0
.LBB15_1530:
	s_delay_alu instid0(SALU_CYCLE_1)
	s_and_not1_b32 vcc_lo, exec_lo, s0
	s_cbranch_vccnz .LBB15_1541
; %bb.1531:
	s_cmp_lt_i32 s11, 6
	s_cbranch_scc1 .LBB15_1534
; %bb.1532:
	s_cmp_gt_i32 s11, 6
	s_cbranch_scc0 .LBB15_1535
; %bb.1533:
	global_load_b64 v[18:19], v[10:11], off
	s_mov_b32 s0, 0
	s_wait_loadcnt 0x0
	v_cvt_f32_f64_e32 v12, v[18:19]
	s_branch .LBB15_1536
.LBB15_1534:
	s_mov_b32 s0, -1
                                        ; implicit-def: $vgpr12
	s_branch .LBB15_1539
.LBB15_1535:
	s_mov_b32 s0, -1
                                        ; implicit-def: $vgpr12
.LBB15_1536:
	s_delay_alu instid0(SALU_CYCLE_1)
	s_and_not1_b32 vcc_lo, exec_lo, s0
	s_cbranch_vccnz .LBB15_1538
; %bb.1537:
	s_wait_loadcnt 0x0
	global_load_b32 v12, v[10:11], off
.LBB15_1538:
	s_mov_b32 s0, 0
.LBB15_1539:
	s_delay_alu instid0(SALU_CYCLE_1)
	s_and_not1_b32 vcc_lo, exec_lo, s0
	s_cbranch_vccnz .LBB15_1541
; %bb.1540:
	global_load_u16 v7, v[10:11], off
	s_wait_loadcnt 0x0
	v_cvt_f32_f16_e32 v12, v7
.LBB15_1541:
	s_mov_b32 s0, 0
.LBB15_1542:
	s_delay_alu instid0(SALU_CYCLE_1)
	s_and_not1_b32 vcc_lo, exec_lo, s0
	s_cbranch_vccnz .LBB15_1562
; %bb.1543:
	s_cmp_lt_i32 s11, 2
	s_cbranch_scc1 .LBB15_1547
; %bb.1544:
	s_cmp_lt_i32 s11, 3
	s_cbranch_scc1 .LBB15_1548
; %bb.1545:
	s_cmp_gt_i32 s11, 3
	s_cbranch_scc0 .LBB15_1549
; %bb.1546:
	global_load_b64 v[18:19], v[10:11], off
	s_mov_b32 s0, 0
	s_wait_loadcnt 0x0
	v_xor_b32_e32 v7, v18, v19
	v_cls_i32_e32 v9, v19
	s_delay_alu instid0(VALU_DEP_2) | instskip(NEXT) | instid1(VALU_DEP_1)
	v_ashrrev_i32_e32 v7, 31, v7
	v_add_nc_u32_e32 v7, 32, v7
	s_delay_alu instid0(VALU_DEP_1) | instskip(NEXT) | instid1(VALU_DEP_1)
	v_add_min_u32_e64 v7, v9, -1, v7
	v_lshlrev_b64_e32 v[18:19], v7, v[18:19]
	v_sub_nc_u32_e32 v7, 32, v7
	s_delay_alu instid0(VALU_DEP_2) | instskip(NEXT) | instid1(VALU_DEP_1)
	v_min_u32_e32 v9, 1, v18
	v_or_b32_e32 v9, v19, v9
	s_delay_alu instid0(VALU_DEP_1) | instskip(NEXT) | instid1(VALU_DEP_1)
	v_cvt_f32_i32_e32 v9, v9
	v_ldexp_f32 v12, v9, v7
	s_branch .LBB15_1550
.LBB15_1547:
	s_mov_b32 s0, -1
                                        ; implicit-def: $vgpr12
	s_branch .LBB15_1556
.LBB15_1548:
	s_mov_b32 s0, -1
                                        ; implicit-def: $vgpr12
	s_branch .LBB15_1553
.LBB15_1549:
	s_mov_b32 s0, -1
                                        ; implicit-def: $vgpr12
.LBB15_1550:
	s_delay_alu instid0(SALU_CYCLE_1)
	s_and_not1_b32 vcc_lo, exec_lo, s0
	s_cbranch_vccnz .LBB15_1552
; %bb.1551:
	global_load_b32 v7, v[10:11], off
	s_wait_loadcnt 0x0
	v_cvt_f32_i32_e32 v12, v7
.LBB15_1552:
	s_mov_b32 s0, 0
.LBB15_1553:
	s_delay_alu instid0(SALU_CYCLE_1)
	s_and_not1_b32 vcc_lo, exec_lo, s0
	s_cbranch_vccnz .LBB15_1555
; %bb.1554:
	global_load_i16 v7, v[10:11], off
	s_wait_loadcnt 0x0
	v_cvt_f32_i32_e32 v12, v7
.LBB15_1555:
	s_mov_b32 s0, 0
.LBB15_1556:
	s_delay_alu instid0(SALU_CYCLE_1)
	s_and_not1_b32 vcc_lo, exec_lo, s0
	s_cbranch_vccnz .LBB15_1562
; %bb.1557:
	s_cmp_gt_i32 s11, 0
	s_mov_b32 s0, 0
	s_cbranch_scc0 .LBB15_1559
; %bb.1558:
	global_load_i8 v7, v[10:11], off
	s_wait_loadcnt 0x0
	v_cvt_f32_i32_e32 v12, v7
	s_branch .LBB15_1560
.LBB15_1559:
	s_mov_b32 s0, -1
                                        ; implicit-def: $vgpr12
.LBB15_1560:
	s_delay_alu instid0(SALU_CYCLE_1)
	s_and_not1_b32 vcc_lo, exec_lo, s0
	s_cbranch_vccnz .LBB15_1562
; %bb.1561:
	global_load_u8 v7, v[10:11], off
	s_wait_loadcnt 0x0
	v_cvt_f32_ubyte0_e32 v12, v7
.LBB15_1562:
.LBB15_1563:
	s_wait_loadcnt 0x0
	s_delay_alu instid0(VALU_DEP_1)
	v_and_b32_e32 v11, 0x7fffffff, v12
                                        ; implicit-def: $vgpr19
                                        ; implicit-def: $vgpr18
	s_mov_b32 s1, exec_lo
	v_cmpx_ngt_f32_e64 0x48000000, |v12|
	s_xor_b32 s12, exec_lo, s1
	s_cbranch_execz .LBB15_1565
; %bb.1564:
	s_mov_b32 s0, 0x7fffff
	v_mov_b32_e32 v19, 0
	v_and_or_b32 v18, v11, s0, 0x800000
	s_mov_b64 s[0:1], 0xfe5163ab
	v_lshrrev_b32_e32 v7, 23, v11
	s_delay_alu instid0(VALU_DEP_2) | instskip(NEXT) | instid1(VALU_DEP_1)
	v_mul_u64_e32 v[20:21], s[0:1], v[18:19]
	v_dual_mov_b32 v22, v21 :: v_dual_mov_b32 v23, v19
	v_dual_mov_b32 v25, v19 :: v_dual_mov_b32 v27, v19
	;; [unrolled: 1-line block ×3, first 2 shown]
	s_delay_alu instid0(VALU_DEP_3) | instskip(NEXT) | instid1(VALU_DEP_1)
	v_mad_nc_u64_u32 v[22:23], 0x3c439041, v18, v[22:23]
	v_mov_b32_e32 v24, v23
	s_delay_alu instid0(VALU_DEP_1) | instskip(NEXT) | instid1(VALU_DEP_1)
	v_mad_nc_u64_u32 v[24:25], 0xdb629599, v18, v[24:25]
	v_mov_b32_e32 v26, v25
	s_delay_alu instid0(VALU_DEP_1) | instskip(NEXT) | instid1(VALU_DEP_1)
	;; [unrolled: 3-line block ×3, first 2 shown]
	v_mad_nc_u64_u32 v[28:29], 0xfc2757d1, v18, v[28:29]
	v_dual_mov_b32 v31, v19 :: v_dual_mov_b32 v30, v29
	s_delay_alu instid0(VALU_DEP_1) | instskip(NEXT) | instid1(VALU_DEP_1)
	v_mad_nc_u64_u32 v[30:31], 0x4e441529, v18, v[30:31]
	v_dual_mov_b32 v32, v31 :: v_dual_add_nc_u32 v7, 0xffffff88, v7
	s_delay_alu instid0(VALU_DEP_1) | instskip(NEXT) | instid1(VALU_DEP_2)
	v_cmp_lt_u32_e32 vcc_lo, 63, v7
	v_mad_nc_u64_u32 v[18:19], 0xa2f9836e, v18, v[32:33]
	v_cndmask_b32_e64 v9, 0, 0xffffffc0, vcc_lo
	v_dual_cndmask_b32 v10, v30, v26, vcc_lo :: v_dual_cndmask_b32 v20, v24, v20, vcc_lo
	s_delay_alu instid0(VALU_DEP_2) | instskip(NEXT) | instid1(VALU_DEP_1)
	v_add_nc_u32_e32 v7, v9, v7
	v_cmp_lt_u32_e64 s0, 31, v7
	v_dual_cndmask_b32 v18, v18, v28 :: v_dual_cndmask_b32 v19, v19, v30
	s_delay_alu instid0(VALU_DEP_2) | instskip(NEXT) | instid1(VALU_DEP_1)
	v_cndmask_b32_e64 v9, 0, 0xffffffe0, s0
	v_add_nc_u32_e32 v7, v9, v7
	s_delay_alu instid0(VALU_DEP_1) | instskip(NEXT) | instid1(VALU_DEP_1)
	v_cmp_lt_u32_e64 s1, 31, v7
	v_cndmask_b32_e64 v9, 0, 0xffffffe0, s1
	s_delay_alu instid0(VALU_DEP_1) | instskip(SKIP_2) | instid1(VALU_DEP_3)
	v_dual_cndmask_b32 v21, v28, v24, vcc_lo :: v_dual_add_nc_u32 v7, v9, v7
	v_cndmask_b32_e32 v9, v26, v22, vcc_lo
	v_cndmask_b32_e64 v22, v18, v10, s0
	v_dual_cndmask_b32 v18, v19, v18, s0 :: v_dual_cndmask_b32 v10, v10, v21, s0
	s_delay_alu instid0(VALU_DEP_3) | instskip(SKIP_1) | instid1(VALU_DEP_3)
	v_dual_sub_nc_u32 v19, 32, v7 :: v_dual_cndmask_b32 v21, v21, v9, s0
	v_cmp_eq_u32_e32 vcc_lo, 0, v7
	v_cndmask_b32_e64 v18, v18, v22, s1
	s_delay_alu instid0(VALU_DEP_4) | instskip(NEXT) | instid1(VALU_DEP_1)
	v_dual_cndmask_b32 v22, v22, v10, s1 :: v_dual_cndmask_b32 v9, v9, v20, s0
	v_alignbit_b32 v23, v18, v22, v19
	v_cndmask_b32_e64 v10, v10, v21, s1
	s_delay_alu instid0(VALU_DEP_2) | instskip(NEXT) | instid1(VALU_DEP_2)
	v_dual_cndmask_b32 v9, v21, v9, s1 :: v_dual_cndmask_b32 v7, v23, v18, vcc_lo
	v_alignbit_b32 v24, v22, v10, v19
	s_delay_alu instid0(VALU_DEP_2) | instskip(NEXT) | instid1(VALU_DEP_3)
	v_alignbit_b32 v19, v10, v9, v19
	v_bfe_u32 v20, v7, 29, 1
	s_delay_alu instid0(VALU_DEP_3) | instskip(NEXT) | instid1(VALU_DEP_2)
	v_cndmask_b32_e32 v18, v24, v22, vcc_lo
	v_dual_cndmask_b32 v10, v19, v10, vcc_lo :: v_dual_sub_nc_u32 v22, 0, v20
	s_delay_alu instid0(VALU_DEP_2) | instskip(NEXT) | instid1(VALU_DEP_2)
	v_alignbit_b32 v21, v7, v18, 30
	v_alignbit_b32 v18, v18, v10, 30
	;; [unrolled: 1-line block ×3, first 2 shown]
	s_delay_alu instid0(VALU_DEP_3) | instskip(NEXT) | instid1(VALU_DEP_3)
	v_xor_b32_e32 v21, v21, v22
	v_xor_b32_e32 v10, v18, v22
	s_delay_alu instid0(VALU_DEP_3) | instskip(SKIP_1) | instid1(VALU_DEP_4)
	v_dual_lshrrev_b32 v22, 29, v7 :: v_dual_bitop2_b32 v9, v9, v22 bitop3:0x14
	v_lshrrev_b32_e32 v7, 30, v7
	v_clz_i32_u32_e32 v19, v21
	s_delay_alu instid0(VALU_DEP_1) | instskip(NEXT) | instid1(VALU_DEP_1)
	v_min_u32_e32 v19, 32, v19
	v_dual_sub_nc_u32 v18, 31, v19 :: v_dual_lshlrev_b32 v23, 23, v19
	s_delay_alu instid0(VALU_DEP_1) | instskip(SKIP_2) | instid1(VALU_DEP_2)
	v_alignbit_b32 v21, v21, v10, v18
	v_alignbit_b32 v9, v10, v9, v18
	v_lshlrev_b32_e32 v10, 31, v22
	v_alignbit_b32 v18, v21, v9, 9
	s_delay_alu instid0(VALU_DEP_2) | instskip(SKIP_1) | instid1(VALU_DEP_3)
	v_dual_lshrrev_b32 v21, 9, v21 :: v_dual_bitop2_b32 v22, 0.5, v10 bitop3:0x54
	v_or_b32_e32 v10, 0x33000000, v10
	v_clz_i32_u32_e32 v24, v18
	s_delay_alu instid0(VALU_DEP_3) | instskip(NEXT) | instid1(VALU_DEP_2)
	v_sub_nc_u32_e32 v22, v22, v23
	v_min_u32_e32 v23, 32, v24
	s_delay_alu instid0(VALU_DEP_1) | instskip(NEXT) | instid1(VALU_DEP_3)
	v_add_lshl_u32 v19, v23, v19, 23
	v_or_b32_e32 v21, v21, v22
	v_not_b32_e32 v22, v23
	s_delay_alu instid0(VALU_DEP_3) | instskip(NEXT) | instid1(VALU_DEP_3)
	v_sub_nc_u32_e32 v10, v10, v19
	v_mul_f32_e32 v24, 0x3fc90fda, v21
	s_delay_alu instid0(VALU_DEP_3) | instskip(SKIP_1) | instid1(VALU_DEP_3)
	v_alignbit_b32 v9, v18, v9, v22
	v_add_nc_u32_e32 v19, v20, v7
	v_fma_f32 v18, 0x3fc90fda, v21, -v24
	s_delay_alu instid0(VALU_DEP_1) | instskip(NEXT) | instid1(VALU_DEP_1)
	v_dual_fmamk_f32 v18, v21, 0x33a22168, v18 :: v_dual_lshrrev_b32 v9, 9, v9
	v_or_b32_e32 v9, v10, v9
	s_delay_alu instid0(VALU_DEP_1) | instskip(NEXT) | instid1(VALU_DEP_1)
	v_fmac_f32_e32 v18, 0x3fc90fda, v9
	v_add_f32_e32 v18, v24, v18
.LBB15_1565:
	s_and_not1_saveexec_b32 s0, s12
; %bb.1566:
	v_mul_f32_e64 v7, 0x3f22f983, |v12|
	s_delay_alu instid0(VALU_DEP_1) | instskip(NEXT) | instid1(VALU_DEP_1)
	v_rndne_f32_e32 v7, v7
	v_fma_f32 v9, 0xbfc90fda, v7, |v12|
	v_cvt_i32_f32_e32 v19, v7
	s_delay_alu instid0(VALU_DEP_2) | instskip(NEXT) | instid1(VALU_DEP_1)
	v_fmamk_f32 v9, v7, 0xb3a22168, v9
	v_fmamk_f32 v18, v7, 0xa7c234c4, v9
; %bb.1567:
	s_or_b32 exec_lo, exec_lo, s0
	v_mov_b32_e32 v9, 0
	s_cmp_lt_i32 s11, 11
	s_delay_alu instid0(VALU_DEP_1)
	v_add_nc_u64_e32 v[8:9], s[6:7], v[8:9]
	s_cbranch_scc1 .LBB15_1574
; %bb.1568:
	s_cmp_gt_i32 s11, 25
	s_mov_b32 s1, 0
	s_cbranch_scc0 .LBB15_1575
; %bb.1569:
	s_cmp_gt_i32 s11, 28
	s_cbranch_scc0 .LBB15_1576
; %bb.1570:
	s_cmp_gt_i32 s11, 43
	;; [unrolled: 3-line block ×3, first 2 shown]
	s_cbranch_scc0 .LBB15_1579
; %bb.1572:
	s_cmp_eq_u32 s11, 46
	s_mov_b32 s7, 0
	s_cbranch_scc0 .LBB15_1580
; %bb.1573:
	global_load_b32 v7, v[8:9], off
	s_mov_b32 s0, 0
	s_mov_b32 s6, -1
	s_wait_loadcnt 0x0
	v_lshlrev_b32_e32 v10, 16, v7
	s_branch .LBB15_1582
.LBB15_1574:
	s_mov_b32 s0, -1
	s_mov_b32 s6, 0
                                        ; implicit-def: $vgpr10
	s_branch .LBB15_1648
.LBB15_1575:
	s_mov_b32 s7, -1
	s_mov_b32 s6, 0
	s_mov_b32 s0, 0
                                        ; implicit-def: $vgpr10
	s_branch .LBB15_1611
.LBB15_1576:
	s_mov_b32 s7, -1
	s_mov_b32 s6, 0
	s_mov_b32 s0, 0
                                        ; implicit-def: $vgpr10
	s_branch .LBB15_1592
.LBB15_1577:
	s_mov_b32 s7, -1
	s_mov_b32 s6, 0
	s_mov_b32 s0, 0
                                        ; implicit-def: $vgpr10
	s_branch .LBB15_1587
.LBB15_1578:
	s_or_b32 s10, s10, exec_lo
	s_trap 2
	s_cbranch_execz .LBB15_1513
	s_branch .LBB15_1514
.LBB15_1579:
	s_mov_b32 s7, -1
	s_mov_b32 s6, 0
	s_mov_b32 s0, 0
	s_branch .LBB15_1581
.LBB15_1580:
	s_mov_b32 s0, -1
	s_mov_b32 s6, 0
.LBB15_1581:
                                        ; implicit-def: $vgpr10
.LBB15_1582:
	s_and_b32 vcc_lo, exec_lo, s7
	s_cbranch_vccz .LBB15_1586
; %bb.1583:
	s_cmp_eq_u32 s11, 44
	s_cbranch_scc0 .LBB15_1585
; %bb.1584:
	global_load_u8 v7, v[8:9], off
	s_mov_b32 s0, 0
	s_mov_b32 s6, -1
	s_wait_loadcnt 0x0
	v_lshlrev_b32_e32 v10, 23, v7
	v_cmp_ne_u32_e32 vcc_lo, 0xff, v7
	s_delay_alu instid0(VALU_DEP_2) | instskip(SKIP_1) | instid1(VALU_DEP_2)
	v_cndmask_b32_e32 v10, 0x7f800001, v10, vcc_lo
	v_cmp_ne_u32_e32 vcc_lo, 0, v7
	v_cndmask_b32_e32 v10, 0x400000, v10, vcc_lo
	s_branch .LBB15_1586
.LBB15_1585:
	s_mov_b32 s0, -1
                                        ; implicit-def: $vgpr10
.LBB15_1586:
	s_mov_b32 s7, 0
.LBB15_1587:
	s_delay_alu instid0(SALU_CYCLE_1)
	s_and_b32 vcc_lo, exec_lo, s7
	s_cbranch_vccz .LBB15_1591
; %bb.1588:
	s_cmp_eq_u32 s11, 29
	s_cbranch_scc0 .LBB15_1590
; %bb.1589:
	global_load_b64 v[20:21], v[8:9], off
	s_mov_b32 s0, 0
	s_mov_b32 s6, -1
	s_mov_b32 s7, 0
	s_wait_loadcnt 0x0
	v_clz_i32_u32_e32 v7, v21
	s_delay_alu instid0(VALU_DEP_1) | instskip(NEXT) | instid1(VALU_DEP_1)
	v_min_u32_e32 v7, 32, v7
	v_lshlrev_b64_e32 v[20:21], v7, v[20:21]
	v_sub_nc_u32_e32 v7, 32, v7
	s_delay_alu instid0(VALU_DEP_2) | instskip(NEXT) | instid1(VALU_DEP_1)
	v_min_u32_e32 v10, 1, v20
	v_or_b32_e32 v10, v21, v10
	s_delay_alu instid0(VALU_DEP_1) | instskip(NEXT) | instid1(VALU_DEP_1)
	v_cvt_f32_u32_e32 v10, v10
	v_ldexp_f32 v10, v10, v7
	s_branch .LBB15_1592
.LBB15_1590:
	s_mov_b32 s0, -1
                                        ; implicit-def: $vgpr10
.LBB15_1591:
	s_mov_b32 s7, 0
.LBB15_1592:
	s_delay_alu instid0(SALU_CYCLE_1)
	s_and_b32 vcc_lo, exec_lo, s7
	s_cbranch_vccz .LBB15_1610
; %bb.1593:
	s_cmp_lt_i32 s11, 27
	s_cbranch_scc1 .LBB15_1596
; %bb.1594:
	s_cmp_gt_i32 s11, 27
	s_cbranch_scc0 .LBB15_1597
; %bb.1595:
	global_load_b32 v7, v[8:9], off
	s_mov_b32 s6, 0
	s_wait_loadcnt 0x0
	v_cvt_f32_u32_e32 v10, v7
	s_branch .LBB15_1598
.LBB15_1596:
	s_mov_b32 s6, -1
                                        ; implicit-def: $vgpr10
	s_branch .LBB15_1601
.LBB15_1597:
	s_mov_b32 s6, -1
                                        ; implicit-def: $vgpr10
.LBB15_1598:
	s_delay_alu instid0(SALU_CYCLE_1)
	s_and_not1_b32 vcc_lo, exec_lo, s6
	s_cbranch_vccnz .LBB15_1600
; %bb.1599:
	global_load_u16 v7, v[8:9], off
	s_wait_loadcnt 0x0
	v_cvt_f32_u32_e32 v10, v7
.LBB15_1600:
	s_mov_b32 s6, 0
.LBB15_1601:
	s_delay_alu instid0(SALU_CYCLE_1)
	s_and_not1_b32 vcc_lo, exec_lo, s6
	s_cbranch_vccnz .LBB15_1609
; %bb.1602:
	global_load_u8 v7, v[8:9], off
	s_mov_b32 s6, 0
	s_mov_b32 s7, exec_lo
	s_wait_loadcnt 0x0
	v_cmpx_lt_i16_e32 0x7f, v7
	s_xor_b32 s7, exec_lo, s7
	s_cbranch_execz .LBB15_1623
; %bb.1603:
	s_mov_b32 s6, -1
	s_mov_b32 s12, exec_lo
	v_cmpx_eq_u16_e32 0x80, v7
; %bb.1604:
	s_xor_b32 s6, exec_lo, -1
; %bb.1605:
	s_or_b32 exec_lo, exec_lo, s12
	s_delay_alu instid0(SALU_CYCLE_1)
	s_and_b32 s6, s6, exec_lo
	s_or_saveexec_b32 s7, s7
	v_mov_b32_e32 v10, 0x7f800001
	s_xor_b32 exec_lo, exec_lo, s7
	s_cbranch_execnz .LBB15_1624
.LBB15_1606:
	s_or_b32 exec_lo, exec_lo, s7
	s_and_saveexec_b32 s7, s6
	s_cbranch_execz .LBB15_1608
.LBB15_1607:
	v_and_b32_e32 v10, 0xffff, v7
	s_delay_alu instid0(VALU_DEP_1) | instskip(SKIP_1) | instid1(VALU_DEP_2)
	v_and_b32_e32 v20, 7, v10
	v_bfe_u32 v23, v10, 3, 4
	v_clz_i32_u32_e32 v21, v20
	s_delay_alu instid0(VALU_DEP_2) | instskip(NEXT) | instid1(VALU_DEP_2)
	v_cmp_eq_u32_e32 vcc_lo, 0, v23
	v_min_u32_e32 v21, 32, v21
	s_delay_alu instid0(VALU_DEP_1) | instskip(NEXT) | instid1(VALU_DEP_1)
	v_subrev_nc_u32_e32 v22, 28, v21
	v_dual_lshlrev_b32 v10, v22, v10 :: v_dual_sub_nc_u32 v21, 29, v21
	s_delay_alu instid0(VALU_DEP_1) | instskip(NEXT) | instid1(VALU_DEP_1)
	v_dual_lshlrev_b32 v7, 24, v7 :: v_dual_bitop2_b32 v10, 7, v10 bitop3:0x40
	v_dual_cndmask_b32 v21, v23, v21 :: v_dual_cndmask_b32 v10, v20, v10
	s_delay_alu instid0(VALU_DEP_2) | instskip(NEXT) | instid1(VALU_DEP_2)
	v_and_b32_e32 v7, 0x80000000, v7
	v_lshl_add_u32 v20, v21, 23, 0x3b800000
	s_delay_alu instid0(VALU_DEP_3) | instskip(NEXT) | instid1(VALU_DEP_1)
	v_lshlrev_b32_e32 v10, 20, v10
	v_or3_b32 v10, v7, v20, v10
.LBB15_1608:
	s_or_b32 exec_lo, exec_lo, s7
.LBB15_1609:
	s_mov_b32 s6, -1
.LBB15_1610:
	s_mov_b32 s7, 0
.LBB15_1611:
	s_delay_alu instid0(SALU_CYCLE_1)
	s_and_b32 vcc_lo, exec_lo, s7
	s_cbranch_vccz .LBB15_1644
; %bb.1612:
	s_cmp_gt_i32 s11, 22
	s_cbranch_scc0 .LBB15_1622
; %bb.1613:
	s_cmp_lt_i32 s11, 24
	s_cbranch_scc1 .LBB15_1625
; %bb.1614:
	s_cmp_gt_i32 s11, 24
	s_cbranch_scc0 .LBB15_1626
; %bb.1615:
	global_load_u8 v7, v[8:9], off
	s_mov_b32 s6, exec_lo
	s_wait_loadcnt 0x0
	v_cmpx_lt_i16_e32 0x7f, v7
	s_xor_b32 s6, exec_lo, s6
	s_cbranch_execz .LBB15_1638
; %bb.1616:
	s_mov_b32 s1, -1
	s_mov_b32 s7, exec_lo
	v_cmpx_eq_u16_e32 0x80, v7
; %bb.1617:
	s_xor_b32 s1, exec_lo, -1
; %bb.1618:
	s_or_b32 exec_lo, exec_lo, s7
	s_delay_alu instid0(SALU_CYCLE_1)
	s_and_b32 s1, s1, exec_lo
	s_or_saveexec_b32 s6, s6
	v_mov_b32_e32 v10, 0x7f800001
	s_xor_b32 exec_lo, exec_lo, s6
	s_cbranch_execnz .LBB15_1639
.LBB15_1619:
	s_or_b32 exec_lo, exec_lo, s6
	s_and_saveexec_b32 s6, s1
	s_cbranch_execz .LBB15_1621
.LBB15_1620:
	v_and_b32_e32 v10, 0xffff, v7
	s_delay_alu instid0(VALU_DEP_1) | instskip(SKIP_1) | instid1(VALU_DEP_2)
	v_and_b32_e32 v20, 3, v10
	v_bfe_u32 v23, v10, 2, 5
	v_clz_i32_u32_e32 v21, v20
	s_delay_alu instid0(VALU_DEP_2) | instskip(NEXT) | instid1(VALU_DEP_2)
	v_cmp_eq_u32_e32 vcc_lo, 0, v23
	v_min_u32_e32 v21, 32, v21
	s_delay_alu instid0(VALU_DEP_1) | instskip(NEXT) | instid1(VALU_DEP_1)
	v_subrev_nc_u32_e32 v22, 29, v21
	v_dual_lshlrev_b32 v10, v22, v10 :: v_dual_sub_nc_u32 v21, 30, v21
	s_delay_alu instid0(VALU_DEP_1) | instskip(NEXT) | instid1(VALU_DEP_1)
	v_dual_lshlrev_b32 v7, 24, v7 :: v_dual_bitop2_b32 v10, 3, v10 bitop3:0x40
	v_dual_cndmask_b32 v21, v23, v21 :: v_dual_cndmask_b32 v10, v20, v10
	s_delay_alu instid0(VALU_DEP_2) | instskip(NEXT) | instid1(VALU_DEP_2)
	v_and_b32_e32 v7, 0x80000000, v7
	v_lshl_add_u32 v20, v21, 23, 0x37800000
	s_delay_alu instid0(VALU_DEP_3) | instskip(NEXT) | instid1(VALU_DEP_1)
	v_lshlrev_b32_e32 v10, 21, v10
	v_or3_b32 v10, v7, v20, v10
.LBB15_1621:
	s_or_b32 exec_lo, exec_lo, s6
	s_mov_b32 s1, 0
	s_branch .LBB15_1627
.LBB15_1622:
	s_mov_b32 s1, -1
                                        ; implicit-def: $vgpr10
	s_branch .LBB15_1633
.LBB15_1623:
	s_or_saveexec_b32 s7, s7
	v_mov_b32_e32 v10, 0x7f800001
	s_xor_b32 exec_lo, exec_lo, s7
	s_cbranch_execz .LBB15_1606
.LBB15_1624:
	v_cmp_ne_u16_e32 vcc_lo, 0, v7
	v_mov_b32_e32 v10, 0
	s_and_not1_b32 s6, s6, exec_lo
	s_and_b32 s12, vcc_lo, exec_lo
	s_delay_alu instid0(SALU_CYCLE_1)
	s_or_b32 s6, s6, s12
	s_or_b32 exec_lo, exec_lo, s7
	s_and_saveexec_b32 s7, s6
	s_cbranch_execnz .LBB15_1607
	s_branch .LBB15_1608
.LBB15_1625:
	s_mov_b32 s1, -1
                                        ; implicit-def: $vgpr10
	s_branch .LBB15_1630
.LBB15_1626:
	s_mov_b32 s1, -1
                                        ; implicit-def: $vgpr10
.LBB15_1627:
	s_delay_alu instid0(SALU_CYCLE_1)
	s_and_b32 vcc_lo, exec_lo, s1
	s_cbranch_vccz .LBB15_1629
; %bb.1628:
	global_load_u8 v7, v[8:9], off
	s_wait_loadcnt 0x0
	v_lshlrev_b32_e32 v7, 24, v7
	s_delay_alu instid0(VALU_DEP_1) | instskip(NEXT) | instid1(VALU_DEP_1)
	v_and_b32_e32 v10, 0x7f000000, v7
	v_clz_i32_u32_e32 v20, v10
	v_add_nc_u32_e32 v22, 0x1000000, v10
	v_cmp_ne_u32_e32 vcc_lo, 0, v10
	s_delay_alu instid0(VALU_DEP_3) | instskip(NEXT) | instid1(VALU_DEP_1)
	v_min_u32_e32 v20, 32, v20
	v_sub_nc_u32_e64 v20, v20, 4 clamp
	s_delay_alu instid0(VALU_DEP_1) | instskip(NEXT) | instid1(VALU_DEP_1)
	v_dual_lshlrev_b32 v21, v20, v10 :: v_dual_lshlrev_b32 v20, 23, v20
	v_lshrrev_b32_e32 v21, 4, v21
	s_delay_alu instid0(VALU_DEP_1) | instskip(NEXT) | instid1(VALU_DEP_1)
	v_dual_sub_nc_u32 v20, v21, v20 :: v_dual_ashrrev_i32 v21, 8, v22
	v_add_nc_u32_e32 v20, 0x3c000000, v20
	s_delay_alu instid0(VALU_DEP_1) | instskip(NEXT) | instid1(VALU_DEP_1)
	v_and_or_b32 v20, 0x7f800000, v21, v20
	v_cndmask_b32_e32 v10, 0, v20, vcc_lo
	s_delay_alu instid0(VALU_DEP_1)
	v_and_or_b32 v10, 0x80000000, v7, v10
.LBB15_1629:
	s_mov_b32 s1, 0
.LBB15_1630:
	s_delay_alu instid0(SALU_CYCLE_1)
	s_and_not1_b32 vcc_lo, exec_lo, s1
	s_cbranch_vccnz .LBB15_1632
; %bb.1631:
	global_load_u8 v7, v[8:9], off
	s_wait_loadcnt 0x0
	v_lshlrev_b32_e32 v10, 25, v7
	v_lshlrev_b16 v7, 8, v7
	s_delay_alu instid0(VALU_DEP_1) | instskip(SKIP_1) | instid1(VALU_DEP_2)
	v_and_or_b32 v21, 0x7f00, v7, 0.5
	v_bfe_i32 v7, v7, 0, 16
	v_dual_add_f32 v21, -0.5, v21 :: v_dual_lshrrev_b32 v20, 4, v10
	v_cmp_gt_u32_e32 vcc_lo, 0x8000000, v10
	s_delay_alu instid0(VALU_DEP_2) | instskip(NEXT) | instid1(VALU_DEP_1)
	v_or_b32_e32 v20, 0x70000000, v20
	v_mul_f32_e32 v20, 0x7800000, v20
	s_delay_alu instid0(VALU_DEP_1) | instskip(NEXT) | instid1(VALU_DEP_1)
	v_cndmask_b32_e32 v10, v20, v21, vcc_lo
	v_and_or_b32 v10, 0x80000000, v7, v10
.LBB15_1632:
	s_mov_b32 s1, 0
	s_mov_b32 s6, -1
.LBB15_1633:
	s_and_not1_b32 vcc_lo, exec_lo, s1
	s_mov_b32 s1, 0
	s_cbranch_vccnz .LBB15_1644
; %bb.1634:
	s_cmp_gt_i32 s11, 14
	s_cbranch_scc0 .LBB15_1637
; %bb.1635:
	s_cmp_eq_u32 s11, 15
	s_cbranch_scc0 .LBB15_1640
; %bb.1636:
	global_load_u16 v7, v[8:9], off
	s_mov_b32 s0, 0
	s_mov_b32 s6, -1
	s_wait_loadcnt 0x0
	v_lshlrev_b32_e32 v10, 16, v7
	s_branch .LBB15_1642
.LBB15_1637:
	s_mov_b32 s1, -1
	s_branch .LBB15_1641
.LBB15_1638:
	s_or_saveexec_b32 s6, s6
	v_mov_b32_e32 v10, 0x7f800001
	s_xor_b32 exec_lo, exec_lo, s6
	s_cbranch_execz .LBB15_1619
.LBB15_1639:
	v_cmp_ne_u16_e32 vcc_lo, 0, v7
	v_mov_b32_e32 v10, 0
	s_and_not1_b32 s1, s1, exec_lo
	s_and_b32 s7, vcc_lo, exec_lo
	s_delay_alu instid0(SALU_CYCLE_1)
	s_or_b32 s1, s1, s7
	s_or_b32 exec_lo, exec_lo, s6
	s_and_saveexec_b32 s6, s1
	s_cbranch_execnz .LBB15_1620
	s_branch .LBB15_1621
.LBB15_1640:
	s_mov_b32 s0, -1
.LBB15_1641:
                                        ; implicit-def: $vgpr10
.LBB15_1642:
	s_and_b32 vcc_lo, exec_lo, s1
	s_mov_b32 s1, 0
	s_cbranch_vccz .LBB15_1644
; %bb.1643:
	s_cmp_lg_u32 s11, 11
	s_mov_b32 s1, -1
	s_cselect_b32 s0, -1, 0
.LBB15_1644:
	s_delay_alu instid0(SALU_CYCLE_1)
	s_and_b32 vcc_lo, exec_lo, s0
	s_cbranch_vccnz .LBB15_2177
; %bb.1645:
	s_and_not1_b32 vcc_lo, exec_lo, s1
	s_cbranch_vccnz .LBB15_1647
.LBB15_1646:
	global_load_u8 v7, v[8:9], off
	s_mov_b32 s6, -1
	s_wait_loadcnt 0x0
	v_cmp_ne_u16_e32 vcc_lo, 0, v7
	v_cndmask_b32_e64 v10, 0, 1.0, vcc_lo
.LBB15_1647:
	s_mov_b32 s0, 0
.LBB15_1648:
	s_delay_alu instid0(SALU_CYCLE_1)
	s_and_b32 vcc_lo, exec_lo, s0
	s_cbranch_vccz .LBB15_1697
; %bb.1649:
	s_cmp_lt_i32 s11, 5
	s_cbranch_scc1 .LBB15_1654
; %bb.1650:
	s_cmp_lt_i32 s11, 8
	s_cbranch_scc1 .LBB15_1655
	;; [unrolled: 3-line block ×3, first 2 shown]
; %bb.1652:
	s_cmp_gt_i32 s11, 9
	s_cbranch_scc0 .LBB15_1657
; %bb.1653:
	global_load_b64 v[20:21], v[8:9], off
	s_mov_b32 s0, 0
	s_wait_loadcnt 0x0
	v_cvt_f32_f64_e32 v10, v[20:21]
	s_branch .LBB15_1658
.LBB15_1654:
	s_mov_b32 s0, -1
                                        ; implicit-def: $vgpr10
	s_branch .LBB15_1676
.LBB15_1655:
	s_mov_b32 s0, -1
                                        ; implicit-def: $vgpr10
	s_branch .LBB15_1664
.LBB15_1656:
	s_mov_b32 s0, -1
                                        ; implicit-def: $vgpr10
	s_branch .LBB15_1661
.LBB15_1657:
	s_mov_b32 s0, -1
                                        ; implicit-def: $vgpr10
.LBB15_1658:
	s_delay_alu instid0(SALU_CYCLE_1)
	s_and_not1_b32 vcc_lo, exec_lo, s0
	s_cbranch_vccnz .LBB15_1660
; %bb.1659:
	global_load_b32 v10, v[8:9], off
.LBB15_1660:
	s_mov_b32 s0, 0
.LBB15_1661:
	s_delay_alu instid0(SALU_CYCLE_1)
	s_and_not1_b32 vcc_lo, exec_lo, s0
	s_cbranch_vccnz .LBB15_1663
; %bb.1662:
	global_load_b32 v7, v[8:9], off
	s_wait_loadcnt 0x0
	v_cvt_f32_f16_e32 v10, v7
.LBB15_1663:
	s_mov_b32 s0, 0
.LBB15_1664:
	s_delay_alu instid0(SALU_CYCLE_1)
	s_and_not1_b32 vcc_lo, exec_lo, s0
	s_cbranch_vccnz .LBB15_1675
; %bb.1665:
	s_cmp_lt_i32 s11, 6
	s_cbranch_scc1 .LBB15_1668
; %bb.1666:
	s_cmp_gt_i32 s11, 6
	s_cbranch_scc0 .LBB15_1669
; %bb.1667:
	global_load_b64 v[20:21], v[8:9], off
	s_mov_b32 s0, 0
	s_wait_loadcnt 0x0
	v_cvt_f32_f64_e32 v10, v[20:21]
	s_branch .LBB15_1670
.LBB15_1668:
	s_mov_b32 s0, -1
                                        ; implicit-def: $vgpr10
	s_branch .LBB15_1673
.LBB15_1669:
	s_mov_b32 s0, -1
                                        ; implicit-def: $vgpr10
.LBB15_1670:
	s_delay_alu instid0(SALU_CYCLE_1)
	s_and_not1_b32 vcc_lo, exec_lo, s0
	s_cbranch_vccnz .LBB15_1672
; %bb.1671:
	s_wait_loadcnt 0x0
	global_load_b32 v10, v[8:9], off
.LBB15_1672:
	s_mov_b32 s0, 0
.LBB15_1673:
	s_delay_alu instid0(SALU_CYCLE_1)
	s_and_not1_b32 vcc_lo, exec_lo, s0
	s_cbranch_vccnz .LBB15_1675
; %bb.1674:
	global_load_u16 v7, v[8:9], off
	s_wait_loadcnt 0x0
	v_cvt_f32_f16_e32 v10, v7
.LBB15_1675:
	s_mov_b32 s0, 0
.LBB15_1676:
	s_delay_alu instid0(SALU_CYCLE_1)
	s_and_not1_b32 vcc_lo, exec_lo, s0
	s_cbranch_vccnz .LBB15_1696
; %bb.1677:
	s_cmp_lt_i32 s11, 2
	s_cbranch_scc1 .LBB15_1681
; %bb.1678:
	s_cmp_lt_i32 s11, 3
	s_cbranch_scc1 .LBB15_1682
; %bb.1679:
	s_cmp_gt_i32 s11, 3
	s_cbranch_scc0 .LBB15_1683
; %bb.1680:
	global_load_b64 v[20:21], v[8:9], off
	s_mov_b32 s0, 0
	s_wait_loadcnt 0x0
	v_xor_b32_e32 v7, v20, v21
	v_cls_i32_e32 v10, v21
	s_delay_alu instid0(VALU_DEP_2) | instskip(NEXT) | instid1(VALU_DEP_1)
	v_ashrrev_i32_e32 v7, 31, v7
	v_add_nc_u32_e32 v7, 32, v7
	s_delay_alu instid0(VALU_DEP_1) | instskip(NEXT) | instid1(VALU_DEP_1)
	v_add_min_u32_e64 v7, v10, -1, v7
	v_lshlrev_b64_e32 v[20:21], v7, v[20:21]
	v_sub_nc_u32_e32 v7, 32, v7
	s_delay_alu instid0(VALU_DEP_2) | instskip(NEXT) | instid1(VALU_DEP_1)
	v_min_u32_e32 v10, 1, v20
	v_or_b32_e32 v10, v21, v10
	s_delay_alu instid0(VALU_DEP_1) | instskip(NEXT) | instid1(VALU_DEP_1)
	v_cvt_f32_i32_e32 v10, v10
	v_ldexp_f32 v10, v10, v7
	s_branch .LBB15_1684
.LBB15_1681:
	s_mov_b32 s0, -1
                                        ; implicit-def: $vgpr10
	s_branch .LBB15_1690
.LBB15_1682:
	s_mov_b32 s0, -1
                                        ; implicit-def: $vgpr10
	s_branch .LBB15_1687
.LBB15_1683:
	s_mov_b32 s0, -1
                                        ; implicit-def: $vgpr10
.LBB15_1684:
	s_delay_alu instid0(SALU_CYCLE_1)
	s_and_not1_b32 vcc_lo, exec_lo, s0
	s_cbranch_vccnz .LBB15_1686
; %bb.1685:
	global_load_b32 v7, v[8:9], off
	s_wait_loadcnt 0x0
	v_cvt_f32_i32_e32 v10, v7
.LBB15_1686:
	s_mov_b32 s0, 0
.LBB15_1687:
	s_delay_alu instid0(SALU_CYCLE_1)
	s_and_not1_b32 vcc_lo, exec_lo, s0
	s_cbranch_vccnz .LBB15_1689
; %bb.1688:
	global_load_i16 v7, v[8:9], off
	s_wait_loadcnt 0x0
	v_cvt_f32_i32_e32 v10, v7
.LBB15_1689:
	s_mov_b32 s0, 0
.LBB15_1690:
	s_delay_alu instid0(SALU_CYCLE_1)
	s_and_not1_b32 vcc_lo, exec_lo, s0
	s_cbranch_vccnz .LBB15_1696
; %bb.1691:
	s_cmp_gt_i32 s11, 0
	s_mov_b32 s0, 0
	s_cbranch_scc0 .LBB15_1693
; %bb.1692:
	global_load_i8 v7, v[8:9], off
	s_wait_loadcnt 0x0
	v_cvt_f32_i32_e32 v10, v7
	s_branch .LBB15_1694
.LBB15_1693:
	s_mov_b32 s0, -1
                                        ; implicit-def: $vgpr10
.LBB15_1694:
	s_delay_alu instid0(SALU_CYCLE_1)
	s_and_not1_b32 vcc_lo, exec_lo, s0
	s_cbranch_vccnz .LBB15_1696
; %bb.1695:
	global_load_u8 v7, v[8:9], off
	s_wait_loadcnt 0x0
	v_cvt_f32_ubyte0_e32 v10, v7
.LBB15_1696:
	s_mov_b32 s6, -1
.LBB15_1697:
	s_delay_alu instid0(SALU_CYCLE_1)
	s_and_not1_b32 vcc_lo, exec_lo, s6
	s_cbranch_vccnz .LBB15_2132
; %bb.1698:
	s_wait_loadcnt 0x0
	s_delay_alu instid0(VALU_DEP_1)
	v_and_b32_e32 v20, 0x7fffffff, v10
                                        ; implicit-def: $vgpr22
                                        ; implicit-def: $vgpr21
	s_mov_b32 s1, exec_lo
	s_wait_xcnt 0x0
	v_cmpx_ngt_f32_e64 0x48000000, |v10|
	s_xor_b32 s6, exec_lo, s1
	s_cbranch_execz .LBB15_1700
; %bb.1699:
	s_mov_b32 s0, 0x7fffff
	v_mov_b32_e32 v9, 0
	v_and_or_b32 v8, v20, s0, 0x800000
	s_mov_b64 s[0:1], 0xfe5163ab
	v_lshrrev_b32_e32 v7, 23, v20
	s_delay_alu instid0(VALU_DEP_2) | instskip(NEXT) | instid1(VALU_DEP_1)
	v_mul_u64_e32 v[22:23], s[0:1], v[8:9]
	v_dual_mov_b32 v24, v23 :: v_dual_mov_b32 v25, v9
	v_dual_mov_b32 v27, v9 :: v_dual_mov_b32 v29, v9
	v_mov_b32_e32 v31, v9
	s_delay_alu instid0(VALU_DEP_3) | instskip(NEXT) | instid1(VALU_DEP_1)
	v_mad_nc_u64_u32 v[24:25], 0x3c439041, v8, v[24:25]
	v_mov_b32_e32 v26, v25
	s_delay_alu instid0(VALU_DEP_1) | instskip(NEXT) | instid1(VALU_DEP_1)
	v_mad_nc_u64_u32 v[26:27], 0xdb629599, v8, v[26:27]
	v_mov_b32_e32 v28, v27
	s_delay_alu instid0(VALU_DEP_1) | instskip(NEXT) | instid1(VALU_DEP_1)
	;; [unrolled: 3-line block ×3, first 2 shown]
	v_mad_nc_u64_u32 v[30:31], 0xfc2757d1, v8, v[30:31]
	v_dual_mov_b32 v33, v9 :: v_dual_mov_b32 v32, v31
	s_delay_alu instid0(VALU_DEP_1) | instskip(NEXT) | instid1(VALU_DEP_1)
	v_mad_nc_u64_u32 v[32:33], 0x4e441529, v8, v[32:33]
	v_dual_mov_b32 v34, v33 :: v_dual_add_nc_u32 v7, 0xffffff88, v7
	s_delay_alu instid0(VALU_DEP_1) | instskip(SKIP_2) | instid1(VALU_DEP_2)
	v_cmp_lt_u32_e32 vcc_lo, 63, v7
	v_mov_b32_e32 v35, v9
	v_cndmask_b32_e64 v21, 0, 0xffffffc0, vcc_lo
	v_mad_nc_u64_u32 v[8:9], 0xa2f9836e, v8, v[34:35]
	v_dual_cndmask_b32 v23, v32, v28, vcc_lo :: v_dual_cndmask_b32 v25, v30, v26, vcc_lo
	s_delay_alu instid0(VALU_DEP_3) | instskip(NEXT) | instid1(VALU_DEP_1)
	v_dual_cndmask_b32 v22, v26, v22 :: v_dual_add_nc_u32 v7, v21, v7
	v_cmp_lt_u32_e64 s0, 31, v7
	s_delay_alu instid0(VALU_DEP_4) | instskip(NEXT) | instid1(VALU_DEP_2)
	v_dual_cndmask_b32 v8, v8, v30 :: v_dual_cndmask_b32 v9, v9, v32
	v_cndmask_b32_e64 v21, 0, 0xffffffe0, s0
	s_delay_alu instid0(VALU_DEP_1) | instskip(NEXT) | instid1(VALU_DEP_1)
	v_add_nc_u32_e32 v7, v21, v7
	v_cmp_lt_u32_e64 s1, 31, v7
	s_delay_alu instid0(VALU_DEP_1) | instskip(NEXT) | instid1(VALU_DEP_1)
	v_cndmask_b32_e64 v21, 0, 0xffffffe0, s1
	v_dual_add_nc_u32 v7, v21, v7 :: v_dual_cndmask_b32 v21, v28, v24, vcc_lo
	v_dual_cndmask_b32 v24, v8, v23, s0 :: v_dual_cndmask_b32 v8, v9, v8, s0
	s_delay_alu instid0(VALU_DEP_2) | instskip(NEXT) | instid1(VALU_DEP_3)
	v_dual_cndmask_b32 v9, v23, v25, s0 :: v_dual_sub_nc_u32 v23, 32, v7
	v_cndmask_b32_e64 v25, v25, v21, s0
	v_cmp_eq_u32_e32 vcc_lo, 0, v7
	s_delay_alu instid0(VALU_DEP_4) | instskip(NEXT) | instid1(VALU_DEP_4)
	v_cndmask_b32_e64 v8, v8, v24, s1
	v_cndmask_b32_e64 v24, v24, v9, s1
	s_delay_alu instid0(VALU_DEP_4) | instskip(NEXT) | instid1(VALU_DEP_2)
	v_cndmask_b32_e64 v9, v9, v25, s1
	v_alignbit_b32 v27, v8, v24, v23
	s_delay_alu instid0(VALU_DEP_2) | instskip(NEXT) | instid1(VALU_DEP_2)
	v_alignbit_b32 v26, v24, v9, v23
	v_dual_cndmask_b32 v7, v27, v8, vcc_lo :: v_dual_cndmask_b32 v8, v21, v22, s0
	s_delay_alu instid0(VALU_DEP_1) | instskip(NEXT) | instid1(VALU_DEP_3)
	v_bfe_u32 v22, v7, 29, 1
	v_cndmask_b32_e32 v21, v26, v24, vcc_lo
	s_delay_alu instid0(VALU_DEP_2) | instskip(NEXT) | instid1(VALU_DEP_2)
	v_dual_cndmask_b32 v8, v25, v8, s1 :: v_dual_sub_nc_u32 v25, 0, v22
	v_alignbit_b32 v24, v7, v21, 30
	s_delay_alu instid0(VALU_DEP_1) | instskip(NEXT) | instid1(VALU_DEP_3)
	v_xor_b32_e32 v24, v24, v25
	v_alignbit_b32 v23, v9, v8, v23
	s_delay_alu instid0(VALU_DEP_1) | instskip(NEXT) | instid1(VALU_DEP_3)
	v_cndmask_b32_e32 v9, v23, v9, vcc_lo
	v_clz_i32_u32_e32 v23, v24
	s_delay_alu instid0(VALU_DEP_2) | instskip(NEXT) | instid1(VALU_DEP_2)
	v_alignbit_b32 v21, v21, v9, 30
	v_min_u32_e32 v23, 32, v23
	v_alignbit_b32 v8, v9, v8, 30
	s_delay_alu instid0(VALU_DEP_2) | instskip(NEXT) | instid1(VALU_DEP_2)
	v_dual_sub_nc_u32 v21, 31, v23 :: v_dual_bitop2_b32 v9, v21, v25 bitop3:0x14
	v_dual_lshrrev_b32 v25, 29, v7 :: v_dual_bitop2_b32 v8, v8, v25 bitop3:0x14
	v_lshlrev_b32_e32 v26, 23, v23
	v_lshrrev_b32_e32 v7, 30, v7
	s_delay_alu instid0(VALU_DEP_4) | instskip(NEXT) | instid1(VALU_DEP_4)
	v_alignbit_b32 v24, v24, v9, v21
	v_alignbit_b32 v8, v9, v8, v21
	s_delay_alu instid0(VALU_DEP_3) | instskip(NEXT) | instid1(VALU_DEP_2)
	v_dual_lshlrev_b32 v9, 31, v25 :: v_dual_add_nc_u32 v22, v22, v7
	v_alignbit_b32 v21, v24, v8, 9
	s_delay_alu instid0(VALU_DEP_2) | instskip(SKIP_1) | instid1(VALU_DEP_3)
	v_dual_lshrrev_b32 v24, 9, v24 :: v_dual_bitop2_b32 v25, 0.5, v9 bitop3:0x54
	v_or_b32_e32 v9, 0x33000000, v9
	v_clz_i32_u32_e32 v27, v21
	s_delay_alu instid0(VALU_DEP_3) | instskip(NEXT) | instid1(VALU_DEP_2)
	v_sub_nc_u32_e32 v25, v25, v26
	v_min_u32_e32 v26, 32, v27
	s_delay_alu instid0(VALU_DEP_1) | instskip(NEXT) | instid1(VALU_DEP_3)
	v_add_lshl_u32 v23, v26, v23, 23
	v_or_b32_e32 v24, v24, v25
	v_not_b32_e32 v25, v26
	s_delay_alu instid0(VALU_DEP_3) | instskip(NEXT) | instid1(VALU_DEP_3)
	v_sub_nc_u32_e32 v9, v9, v23
	v_mul_f32_e32 v27, 0x3fc90fda, v24
	s_delay_alu instid0(VALU_DEP_3) | instskip(NEXT) | instid1(VALU_DEP_2)
	v_alignbit_b32 v8, v21, v8, v25
	v_fma_f32 v21, 0x3fc90fda, v24, -v27
	s_delay_alu instid0(VALU_DEP_1) | instskip(NEXT) | instid1(VALU_DEP_1)
	v_dual_fmamk_f32 v21, v24, 0x33a22168, v21 :: v_dual_lshrrev_b32 v8, 9, v8
	v_or_b32_e32 v8, v9, v8
	s_delay_alu instid0(VALU_DEP_1) | instskip(NEXT) | instid1(VALU_DEP_1)
	v_fmac_f32_e32 v21, 0x3fc90fda, v8
	v_add_f32_e32 v21, v27, v21
.LBB15_1700:
	s_and_not1_saveexec_b32 s0, s6
; %bb.1701:
	v_mul_f32_e64 v7, 0x3f22f983, |v10|
	s_delay_alu instid0(VALU_DEP_1) | instskip(NEXT) | instid1(VALU_DEP_1)
	v_rndne_f32_e32 v7, v7
	v_fma_f32 v8, 0xbfc90fda, v7, |v10|
	v_cvt_i32_f32_e32 v22, v7
	s_delay_alu instid0(VALU_DEP_2) | instskip(NEXT) | instid1(VALU_DEP_1)
	v_fmamk_f32 v8, v7, 0xb3a22168, v8
	v_fmamk_f32 v21, v7, 0xa7c234c4, v8
; %bb.1702:
	s_or_b32 exec_lo, exec_lo, s0
	v_dual_mov_b32 v7, 0 :: v_dual_mul_f32 v9, v14, v14
	s_mov_b32 s0, 0xb94c1982
	s_mov_b32 s6, 0
	v_xor_b32_e32 v5, v5, v1
	global_load_u8 v8, v7, s[2:3] offset:345
	v_fmaak_f32 v23, s0, v9, 0x3c0881c4
	s_mov_b32 s0, 0x37d75334
	s_wait_xcnt 0x0
	v_add_nc_u64_e32 v[6:7], s[4:5], v[6:7]
	s_delay_alu instid0(VALU_DEP_2) | instskip(SKIP_2) | instid1(VALU_DEP_2)
	v_fmaak_f32 v23, v9, v23, 0xbe2aaa9d
	v_fmaak_f32 v24, s0, v9, 0xbab64f3b
	v_cmp_class_f32_e64 s0, v1, 0x1f8
	v_dual_mul_f32 v23, v9, v23 :: v_dual_fmaak_f32 v24, v9, v24, 0x3d2aabf7
	s_delay_alu instid0(VALU_DEP_1) | instskip(SKIP_1) | instid1(VALU_DEP_1)
	v_fmac_f32_e32 v14, v14, v23
	v_dual_lshlrev_b32 v15, 30, v15 :: v_dual_bitop2_b32 v23, 1, v15 bitop3:0x40
	v_cmp_eq_u32_e32 vcc_lo, 0, v23
	s_delay_alu instid0(VALU_DEP_4) | instskip(NEXT) | instid1(VALU_DEP_1)
	v_fmaak_f32 v24, v9, v24, 0xbf000004
	v_fma_f32 v9, v9, v24, 1.0
	s_delay_alu instid0(VALU_DEP_1) | instskip(SKIP_1) | instid1(VALU_DEP_1)
	v_cndmask_b32_e32 v9, v9, v14, vcc_lo
	v_and_b32_e32 v14, 0x80000000, v15
	v_xor3_b32 v5, v5, v14, v9
	s_wait_loadcnt 0x0
	v_and_b32_e32 v15, 0xffff, v8
	v_readfirstlane_b32 s1, v8
	s_delay_alu instid0(VALU_DEP_3)
	v_cndmask_b32_e64 v8, 0x7fc00000, v5, s0
	s_mov_b32 s0, -1
	v_cmp_gt_i32_e32 vcc_lo, 11, v15
	s_cbranch_vccnz .LBB15_1781
; %bb.1703:
	s_and_b32 s2, 0xffff, s1
	s_mov_b32 s7, -1
	s_mov_b32 s3, 0
	s_cmp_gt_i32 s2, 25
	s_mov_b32 s0, 0
	s_cbranch_scc0 .LBB15_1736
; %bb.1704:
	s_cmp_gt_i32 s2, 28
	s_cbranch_scc0 .LBB15_1719
; %bb.1705:
	s_cmp_gt_i32 s2, 43
	;; [unrolled: 3-line block ×3, first 2 shown]
	s_cbranch_scc0 .LBB15_1709
; %bb.1707:
	s_mov_b32 s0, -1
	s_mov_b32 s7, 0
	s_cmp_eq_u32 s2, 46
	s_cbranch_scc0 .LBB15_1709
; %bb.1708:
	v_bfe_u32 v1, v8, 16, 1
	v_cmp_o_f32_e32 vcc_lo, v8, v8
	s_mov_b32 s0, 0
	s_mov_b32 s6, -1
	s_delay_alu instid0(VALU_DEP_2) | instskip(NEXT) | instid1(VALU_DEP_1)
	v_add3_u32 v1, v8, v1, 0x7fff
	v_lshrrev_b32_e32 v1, 16, v1
	s_delay_alu instid0(VALU_DEP_1)
	v_cndmask_b32_e32 v1, 0x7fc0, v1, vcc_lo
	global_store_b32 v[6:7], v1, off
.LBB15_1709:
	s_and_b32 vcc_lo, exec_lo, s7
	s_cbranch_vccz .LBB15_1714
; %bb.1710:
	s_cmp_eq_u32 s2, 44
	s_mov_b32 s0, -1
	s_cbranch_scc0 .LBB15_1714
; %bb.1711:
	v_bfe_u32 v5, v8, 23, 8
	s_wait_xcnt 0x0
	v_mov_b32_e32 v1, 0xff
	s_mov_b32 s6, exec_lo
	s_delay_alu instid0(VALU_DEP_2)
	v_cmpx_ne_u32_e32 0xff, v5
	s_cbranch_execz .LBB15_1713
; %bb.1712:
	v_and_b32_e32 v1, 0x400000, v8
	v_and_or_b32 v5, 0x3fffff, v8, v5
	s_delay_alu instid0(VALU_DEP_2) | instskip(NEXT) | instid1(VALU_DEP_2)
	v_cmp_ne_u32_e32 vcc_lo, 0, v1
	v_cmp_ne_u32_e64 s0, 0, v5
	v_lshrrev_b32_e32 v1, 23, v8
	s_and_b32 s0, vcc_lo, s0
	s_delay_alu instid0(SALU_CYCLE_1) | instskip(NEXT) | instid1(VALU_DEP_1)
	v_cndmask_b32_e64 v5, 0, 1, s0
	v_add_nc_u32_e32 v1, v1, v5
.LBB15_1713:
	s_or_b32 exec_lo, exec_lo, s6
	s_mov_b32 s0, 0
	s_mov_b32 s6, -1
	global_store_b8 v[6:7], v1, off
.LBB15_1714:
	s_mov_b32 s7, 0
.LBB15_1715:
	s_delay_alu instid0(SALU_CYCLE_1)
	s_and_b32 vcc_lo, exec_lo, s7
	s_cbranch_vccz .LBB15_1718
; %bb.1716:
	s_cmp_eq_u32 s2, 29
	s_mov_b32 s0, -1
	s_cbranch_scc0 .LBB15_1718
; %bb.1717:
	s_wait_xcnt 0x0
	v_trunc_f32_e32 v1, v8
	s_mov_b32 s0, 0
	s_mov_b32 s6, -1
	s_delay_alu instid0(VALU_DEP_1) | instskip(NEXT) | instid1(VALU_DEP_1)
	v_mul_f32_e32 v5, 0x2f800000, v1
	v_floor_f32_e32 v5, v5
	s_delay_alu instid0(VALU_DEP_1) | instskip(SKIP_1) | instid1(VALU_DEP_2)
	v_fmamk_f32 v1, v5, 0xcf800000, v1
	v_cvt_u32_f32_e32 v15, v5
	v_cvt_u32_f32_e32 v14, v1
	global_store_b64 v[6:7], v[14:15], off
.LBB15_1718:
	s_mov_b32 s7, 0
.LBB15_1719:
	s_delay_alu instid0(SALU_CYCLE_1)
	s_and_b32 vcc_lo, exec_lo, s7
	s_cbranch_vccz .LBB15_1735
; %bb.1720:
	s_cmp_lt_i32 s2, 27
	s_mov_b32 s6, -1
	s_cbranch_scc1 .LBB15_1726
; %bb.1721:
	s_wait_xcnt 0x0
	v_cvt_u32_f32_e32 v1, v8
	s_cmp_gt_i32 s2, 27
	s_cbranch_scc0 .LBB15_1723
; %bb.1722:
	s_mov_b32 s6, 0
	global_store_b32 v[6:7], v1, off
.LBB15_1723:
	s_and_not1_b32 vcc_lo, exec_lo, s6
	s_cbranch_vccnz .LBB15_1725
; %bb.1724:
	global_store_b16 v[6:7], v1, off
.LBB15_1725:
	s_mov_b32 s6, 0
.LBB15_1726:
	s_delay_alu instid0(SALU_CYCLE_1)
	s_and_not1_b32 vcc_lo, exec_lo, s6
	s_cbranch_vccnz .LBB15_1734
; %bb.1727:
	s_wait_xcnt 0x0
	v_and_b32_e32 v1, 0x7fffffff, v8
	v_mov_b32_e32 v5, 0x80
	s_mov_b32 s6, exec_lo
	s_delay_alu instid0(VALU_DEP_2)
	v_cmpx_gt_u32_e32 0x43800000, v1
	s_cbranch_execz .LBB15_1733
; %bb.1728:
	v_cmp_lt_u32_e32 vcc_lo, 0x3bffffff, v1
	s_mov_b32 s7, 0
                                        ; implicit-def: $vgpr1
	s_and_saveexec_b32 s11, vcc_lo
	s_delay_alu instid0(SALU_CYCLE_1)
	s_xor_b32 s11, exec_lo, s11
	s_cbranch_execz .LBB15_2178
; %bb.1729:
	v_bfe_u32 v1, v8, 20, 1
	s_mov_b32 s7, exec_lo
	s_delay_alu instid0(VALU_DEP_1) | instskip(NEXT) | instid1(VALU_DEP_1)
	v_add3_u32 v1, v8, v1, 0x487ffff
	v_lshrrev_b32_e32 v1, 20, v1
	s_and_not1_saveexec_b32 s11, s11
	s_cbranch_execnz .LBB15_2179
.LBB15_1730:
	s_or_b32 exec_lo, exec_lo, s11
	v_mov_b32_e32 v5, 0
	s_and_saveexec_b32 s11, s7
.LBB15_1731:
	v_lshrrev_b32_e32 v5, 24, v8
	s_delay_alu instid0(VALU_DEP_1)
	v_and_or_b32 v5, 0x80, v5, v1
.LBB15_1732:
	s_or_b32 exec_lo, exec_lo, s11
.LBB15_1733:
	s_delay_alu instid0(SALU_CYCLE_1)
	s_or_b32 exec_lo, exec_lo, s6
	global_store_b8 v[6:7], v5, off
.LBB15_1734:
	s_mov_b32 s6, -1
.LBB15_1735:
	s_mov_b32 s7, 0
.LBB15_1736:
	s_delay_alu instid0(SALU_CYCLE_1)
	s_and_b32 vcc_lo, exec_lo, s7
	s_cbranch_vccz .LBB15_1776
; %bb.1737:
	s_cmp_gt_i32 s2, 22
	s_mov_b32 s3, -1
	s_cbranch_scc0 .LBB15_1769
; %bb.1738:
	s_cmp_lt_i32 s2, 24
	s_cbranch_scc1 .LBB15_1758
; %bb.1739:
	s_cmp_gt_i32 s2, 24
	s_cbranch_scc0 .LBB15_1747
; %bb.1740:
	s_wait_xcnt 0x0
	v_and_b32_e32 v1, 0x7fffffff, v8
	v_mov_b32_e32 v5, 0x80
	s_mov_b32 s3, exec_lo
	s_delay_alu instid0(VALU_DEP_2)
	v_cmpx_gt_u32_e32 0x47800000, v1
	s_cbranch_execz .LBB15_1746
; %bb.1741:
	v_cmp_lt_u32_e32 vcc_lo, 0x37ffffff, v1
	s_mov_b32 s6, 0
                                        ; implicit-def: $vgpr1
	s_and_saveexec_b32 s7, vcc_lo
	s_delay_alu instid0(SALU_CYCLE_1)
	s_xor_b32 s7, exec_lo, s7
	s_cbranch_execz .LBB15_2181
; %bb.1742:
	v_bfe_u32 v1, v8, 21, 1
	s_mov_b32 s6, exec_lo
	s_delay_alu instid0(VALU_DEP_1) | instskip(NEXT) | instid1(VALU_DEP_1)
	v_add3_u32 v1, v8, v1, 0x88fffff
	v_lshrrev_b32_e32 v1, 21, v1
	s_and_not1_saveexec_b32 s7, s7
	s_cbranch_execnz .LBB15_2182
.LBB15_1743:
	s_or_b32 exec_lo, exec_lo, s7
	v_mov_b32_e32 v5, 0
	s_and_saveexec_b32 s7, s6
.LBB15_1744:
	v_lshrrev_b32_e32 v5, 24, v8
	s_delay_alu instid0(VALU_DEP_1)
	v_and_or_b32 v5, 0x80, v5, v1
.LBB15_1745:
	s_or_b32 exec_lo, exec_lo, s7
.LBB15_1746:
	s_delay_alu instid0(SALU_CYCLE_1)
	s_or_b32 exec_lo, exec_lo, s3
	s_mov_b32 s3, 0
	global_store_b8 v[6:7], v5, off
.LBB15_1747:
	s_and_b32 vcc_lo, exec_lo, s3
	s_cbranch_vccz .LBB15_1757
; %bb.1748:
	s_wait_xcnt 0x0
	v_and_b32_e32 v5, 0x7fffffff, v8
	s_mov_b32 s3, exec_lo
                                        ; implicit-def: $vgpr1
	s_delay_alu instid0(VALU_DEP_1)
	v_cmpx_gt_u32_e32 0x43f00000, v5
	s_xor_b32 s3, exec_lo, s3
	s_cbranch_execz .LBB15_1754
; %bb.1749:
	s_mov_b32 s6, exec_lo
                                        ; implicit-def: $vgpr1
	v_cmpx_lt_u32_e32 0x3c7fffff, v5
	s_xor_b32 s6, exec_lo, s6
; %bb.1750:
	v_bfe_u32 v1, v8, 20, 1
	s_delay_alu instid0(VALU_DEP_1) | instskip(NEXT) | instid1(VALU_DEP_1)
	v_add3_u32 v1, v8, v1, 0x407ffff
	v_and_b32_e32 v5, 0xff00000, v1
	v_lshrrev_b32_e32 v1, 20, v1
	s_delay_alu instid0(VALU_DEP_2) | instskip(NEXT) | instid1(VALU_DEP_2)
	v_cmp_ne_u32_e32 vcc_lo, 0x7f00000, v5
	v_cndmask_b32_e32 v1, 0x7e, v1, vcc_lo
; %bb.1751:
	s_and_not1_saveexec_b32 s6, s6
; %bb.1752:
	v_add_f32_e64 v1, 0x46800000, |v8|
; %bb.1753:
	s_or_b32 exec_lo, exec_lo, s6
                                        ; implicit-def: $vgpr5
.LBB15_1754:
	s_and_not1_saveexec_b32 s3, s3
; %bb.1755:
	v_mov_b32_e32 v1, 0x7f
	v_cmp_lt_u32_e32 vcc_lo, 0x7f800000, v5
	s_delay_alu instid0(VALU_DEP_2)
	v_cndmask_b32_e32 v1, 0x7e, v1, vcc_lo
; %bb.1756:
	s_or_b32 exec_lo, exec_lo, s3
	v_lshrrev_b32_e32 v5, 24, v8
	s_delay_alu instid0(VALU_DEP_1)
	v_and_or_b32 v1, 0x80, v5, v1
	global_store_b8 v[6:7], v1, off
.LBB15_1757:
	s_mov_b32 s3, 0
.LBB15_1758:
	s_delay_alu instid0(SALU_CYCLE_1)
	s_and_not1_b32 vcc_lo, exec_lo, s3
	s_cbranch_vccnz .LBB15_1768
; %bb.1759:
	s_wait_xcnt 0x0
	v_and_b32_e32 v5, 0x7fffffff, v8
	s_mov_b32 s3, exec_lo
                                        ; implicit-def: $vgpr1
	s_delay_alu instid0(VALU_DEP_1)
	v_cmpx_gt_u32_e32 0x47800000, v5
	s_xor_b32 s3, exec_lo, s3
	s_cbranch_execz .LBB15_1765
; %bb.1760:
	s_mov_b32 s6, exec_lo
                                        ; implicit-def: $vgpr1
	v_cmpx_lt_u32_e32 0x387fffff, v5
	s_xor_b32 s6, exec_lo, s6
; %bb.1761:
	v_bfe_u32 v1, v8, 21, 1
	s_delay_alu instid0(VALU_DEP_1) | instskip(NEXT) | instid1(VALU_DEP_1)
	v_add3_u32 v1, v8, v1, 0x80fffff
	v_lshrrev_b32_e32 v1, 21, v1
; %bb.1762:
	s_and_not1_saveexec_b32 s6, s6
; %bb.1763:
	v_add_f32_e64 v1, 0x43000000, |v8|
; %bb.1764:
	s_or_b32 exec_lo, exec_lo, s6
                                        ; implicit-def: $vgpr5
.LBB15_1765:
	s_and_not1_saveexec_b32 s3, s3
; %bb.1766:
	v_mov_b32_e32 v1, 0x7f
	v_cmp_lt_u32_e32 vcc_lo, 0x7f800000, v5
	s_delay_alu instid0(VALU_DEP_2)
	v_cndmask_b32_e32 v1, 0x7c, v1, vcc_lo
; %bb.1767:
	s_or_b32 exec_lo, exec_lo, s3
	v_lshrrev_b32_e32 v5, 24, v8
	s_delay_alu instid0(VALU_DEP_1)
	v_and_or_b32 v1, 0x80, v5, v1
	global_store_b8 v[6:7], v1, off
.LBB15_1768:
	s_mov_b32 s3, 0
	s_mov_b32 s6, -1
.LBB15_1769:
	s_and_not1_b32 vcc_lo, exec_lo, s3
	s_mov_b32 s3, 0
	s_cbranch_vccnz .LBB15_1776
; %bb.1770:
	s_cmp_gt_i32 s2, 14
	s_mov_b32 s3, -1
	s_cbranch_scc0 .LBB15_1774
; %bb.1771:
	s_cmp_eq_u32 s2, 15
	s_mov_b32 s0, -1
	s_cbranch_scc0 .LBB15_1773
; %bb.1772:
	s_wait_xcnt 0x0
	v_bfe_u32 v1, v8, 16, 1
	v_cmp_o_f32_e32 vcc_lo, v8, v8
	s_mov_b32 s0, 0
	s_mov_b32 s6, -1
	s_delay_alu instid0(VALU_DEP_2) | instskip(NEXT) | instid1(VALU_DEP_1)
	v_add3_u32 v1, v8, v1, 0x7fff
	v_lshrrev_b32_e32 v1, 16, v1
	s_delay_alu instid0(VALU_DEP_1)
	v_cndmask_b32_e32 v1, 0x7fc0, v1, vcc_lo
	global_store_b16 v[6:7], v1, off
.LBB15_1773:
	s_mov_b32 s3, 0
.LBB15_1774:
	s_delay_alu instid0(SALU_CYCLE_1)
	s_and_b32 vcc_lo, exec_lo, s3
	s_mov_b32 s3, 0
	s_cbranch_vccz .LBB15_1776
; %bb.1775:
	s_cmp_lg_u32 s2, 11
	s_mov_b32 s3, -1
	s_cselect_b32 s0, -1, 0
.LBB15_1776:
	s_delay_alu instid0(SALU_CYCLE_1)
	s_and_b32 vcc_lo, exec_lo, s0
	s_cbranch_vccnz .LBB15_2180
; %bb.1777:
	s_and_not1_b32 vcc_lo, exec_lo, s3
	s_cbranch_vccnz .LBB15_1779
.LBB15_1778:
	v_cmp_neq_f32_e32 vcc_lo, 0, v8
	s_mov_b32 s6, -1
	s_wait_xcnt 0x0
	v_cndmask_b32_e64 v1, 0, 1, vcc_lo
	global_store_b8 v[6:7], v1, off
.LBB15_1779:
.LBB15_1780:
	s_and_not1_b32 vcc_lo, exec_lo, s6
	s_cbranch_vccz .LBB15_1820
	s_branch .LBB15_2132
.LBB15_1781:
	s_and_b32 vcc_lo, exec_lo, s0
	s_cbranch_vccz .LBB15_1780
; %bb.1782:
	s_and_b32 s0, 0xffff, s1
	s_mov_b32 s2, -1
	s_cmp_lt_i32 s0, 5
	s_cbranch_scc1 .LBB15_1803
; %bb.1783:
	s_cmp_lt_i32 s0, 8
	s_cbranch_scc1 .LBB15_1793
; %bb.1784:
	;; [unrolled: 3-line block ×3, first 2 shown]
	s_cmp_gt_i32 s0, 9
	s_cbranch_scc0 .LBB15_1787
; %bb.1786:
	v_cvt_f64_f32_e32 v[24:25], v8
	v_mov_b32_e32 v26, 0
	s_mov_b32 s2, 0
	s_delay_alu instid0(VALU_DEP_1)
	v_mov_b32_e32 v27, v26
	global_store_b128 v[6:7], v[24:27], off
.LBB15_1787:
	s_and_not1_b32 vcc_lo, exec_lo, s2
	s_cbranch_vccnz .LBB15_1789
; %bb.1788:
	v_mov_b32_e32 v9, 0
	global_store_b64 v[6:7], v[8:9], off
.LBB15_1789:
	s_mov_b32 s2, 0
.LBB15_1790:
	s_delay_alu instid0(SALU_CYCLE_1)
	s_and_not1_b32 vcc_lo, exec_lo, s2
	s_cbranch_vccnz .LBB15_1792
; %bb.1791:
	s_wait_xcnt 0x0
	v_cvt_f16_f32_e32 v1, v8
	s_delay_alu instid0(VALU_DEP_1)
	v_and_b32_e32 v1, 0xffff, v1
	global_store_b32 v[6:7], v1, off
.LBB15_1792:
	s_mov_b32 s2, 0
.LBB15_1793:
	s_delay_alu instid0(SALU_CYCLE_1)
	s_and_not1_b32 vcc_lo, exec_lo, s2
	s_cbranch_vccnz .LBB15_1802
; %bb.1794:
	s_cmp_lt_i32 s0, 6
	s_mov_b32 s2, -1
	s_cbranch_scc1 .LBB15_1800
; %bb.1795:
	s_cmp_gt_i32 s0, 6
	s_cbranch_scc0 .LBB15_1797
; %bb.1796:
	s_wait_xcnt 0x0
	v_cvt_f64_f32_e32 v[14:15], v8
	s_mov_b32 s2, 0
	global_store_b64 v[6:7], v[14:15], off
.LBB15_1797:
	s_and_not1_b32 vcc_lo, exec_lo, s2
	s_cbranch_vccnz .LBB15_1799
; %bb.1798:
	global_store_b32 v[6:7], v8, off
.LBB15_1799:
	s_mov_b32 s2, 0
.LBB15_1800:
	s_delay_alu instid0(SALU_CYCLE_1)
	s_and_not1_b32 vcc_lo, exec_lo, s2
	s_cbranch_vccnz .LBB15_1802
; %bb.1801:
	s_wait_xcnt 0x0
	v_cvt_f16_f32_e32 v1, v8
	global_store_b16 v[6:7], v1, off
.LBB15_1802:
	s_mov_b32 s2, 0
.LBB15_1803:
	s_delay_alu instid0(SALU_CYCLE_1)
	s_and_not1_b32 vcc_lo, exec_lo, s2
	s_cbranch_vccnz .LBB15_1819
; %bb.1804:
	s_cmp_lt_i32 s0, 2
	s_mov_b32 s2, -1
	s_cbranch_scc1 .LBB15_1814
; %bb.1805:
	s_cmp_lt_i32 s0, 3
	s_cbranch_scc1 .LBB15_1811
; %bb.1806:
	s_cmp_gt_i32 s0, 3
	s_cbranch_scc0 .LBB15_1808
; %bb.1807:
	s_wait_xcnt 0x0
	v_trunc_f32_e32 v1, v8
	s_mov_b32 s2, 0
	s_delay_alu instid0(VALU_DEP_1) | instskip(SKIP_1) | instid1(VALU_DEP_2)
	v_mul_f32_e64 v5, 0x2f800000, |v1|
	v_ashrrev_i32_e32 v14, 31, v1
	v_floor_f32_e32 v5, v5
	s_delay_alu instid0(VALU_DEP_1) | instskip(SKIP_1) | instid1(VALU_DEP_4)
	v_fma_f32 v9, 0xcf800000, v5, |v1|
	v_cvt_u32_f32_e32 v1, v5
	v_mov_b32_e32 v15, v14
	s_delay_alu instid0(VALU_DEP_3) | instskip(NEXT) | instid1(VALU_DEP_3)
	v_cvt_u32_f32_e32 v5, v9
	v_xor_b32_e32 v25, v1, v14
	s_delay_alu instid0(VALU_DEP_2) | instskip(NEXT) | instid1(VALU_DEP_1)
	v_xor_b32_e32 v24, v5, v14
	v_sub_nc_u64_e32 v[14:15], v[24:25], v[14:15]
	global_store_b64 v[6:7], v[14:15], off
.LBB15_1808:
	s_and_not1_b32 vcc_lo, exec_lo, s2
	s_cbranch_vccnz .LBB15_1810
; %bb.1809:
	s_wait_xcnt 0x0
	v_cvt_i32_f32_e32 v1, v8
	global_store_b32 v[6:7], v1, off
.LBB15_1810:
	s_mov_b32 s2, 0
.LBB15_1811:
	s_delay_alu instid0(SALU_CYCLE_1)
	s_and_not1_b32 vcc_lo, exec_lo, s2
	s_cbranch_vccnz .LBB15_1813
; %bb.1812:
	s_wait_xcnt 0x0
	v_cvt_i32_f32_e32 v1, v8
	global_store_b16 v[6:7], v1, off
.LBB15_1813:
	s_mov_b32 s2, 0
.LBB15_1814:
	s_delay_alu instid0(SALU_CYCLE_1)
	s_and_not1_b32 vcc_lo, exec_lo, s2
	s_cbranch_vccnz .LBB15_1819
; %bb.1815:
	s_cmp_gt_i32 s0, 0
	s_mov_b32 s0, -1
	s_cbranch_scc0 .LBB15_1817
; %bb.1816:
	s_wait_xcnt 0x0
	v_cvt_i32_f32_e32 v1, v8
	s_mov_b32 s0, 0
	global_store_b8 v[6:7], v1, off
.LBB15_1817:
	s_and_not1_b32 vcc_lo, exec_lo, s0
	s_cbranch_vccnz .LBB15_1819
; %bb.1818:
	s_wait_xcnt 0x0
	v_trunc_f32_e32 v1, v8
	s_delay_alu instid0(VALU_DEP_1) | instskip(NEXT) | instid1(VALU_DEP_1)
	v_mul_f32_e64 v5, 0x2f800000, |v1|
	v_floor_f32_e32 v5, v5
	s_delay_alu instid0(VALU_DEP_1) | instskip(SKIP_1) | instid1(VALU_DEP_2)
	v_fma_f32 v5, 0xcf800000, v5, |v1|
	v_ashrrev_i32_e32 v1, 31, v1
	v_cvt_u32_f32_e32 v5, v5
	s_delay_alu instid0(VALU_DEP_1) | instskip(NEXT) | instid1(VALU_DEP_1)
	v_xor_b32_e32 v5, v5, v1
	v_sub_nc_u32_e32 v1, v5, v1
	global_store_b8 v[6:7], v1, off
.LBB15_1819:
.LBB15_1820:
	s_wait_xcnt 0x0
	v_dual_mul_f32 v1, v16, v16 :: v_dual_bitop2_b32 v7, 1, v17 bitop3:0x40
	s_mov_b32 s0, 0xb94c1982
	s_mov_b32 s2, 0x37d75334
	v_lshlrev_b32_e32 v8, 30, v17
	s_delay_alu instid0(VALU_DEP_2)
	v_fmaak_f32 v5, s0, v1, 0x3c0881c4
	v_fmaak_f32 v6, s2, v1, 0xbab64f3b
	v_cmp_eq_u32_e32 vcc_lo, 0, v7
	s_and_b32 s2, 0xffff, s1
	s_mov_b32 s6, 0
	v_fmaak_f32 v5, v1, v5, 0xbe2aaa9d
	s_cmp_lt_i32 s2, 11
	s_mov_b32 s0, -1
	s_delay_alu instid0(VALU_DEP_1) | instskip(NEXT) | instid1(VALU_DEP_1)
	v_mul_f32_e32 v5, v1, v5
	v_dual_fmac_f32 v16, v16, v5 :: v_dual_mov_b32 v5, 0
	v_fmaak_f32 v6, v1, v6, 0x3d2aabf7
	s_delay_alu instid0(VALU_DEP_2) | instskip(NEXT) | instid1(VALU_DEP_2)
	v_add_nc_u64_e32 v[4:5], s[4:5], v[4:5]
	v_fmaak_f32 v6, v1, v6, 0xbf000004
	s_delay_alu instid0(VALU_DEP_1) | instskip(SKIP_2) | instid1(VALU_DEP_3)
	v_fma_f32 v1, v1, v6, 1.0
	v_xor_b32_e32 v6, v13, v3
	v_and_b32_e32 v8, 0x80000000, v8
	v_cndmask_b32_e32 v1, v1, v16, vcc_lo
	v_cmp_class_f32_e64 vcc_lo, v3, 0x1f8
	s_delay_alu instid0(VALU_DEP_2) | instskip(NEXT) | instid1(VALU_DEP_1)
	v_xor3_b32 v1, v6, v8, v1
	v_cndmask_b32_e32 v6, 0x7fc00000, v1, vcc_lo
	s_cbranch_scc1 .LBB15_1899
; %bb.1821:
	s_mov_b32 s7, -1
	s_mov_b32 s3, 0
	s_cmp_gt_i32 s2, 25
	s_mov_b32 s0, 0
	s_cbranch_scc0 .LBB15_1854
; %bb.1822:
	s_cmp_gt_i32 s2, 28
	s_cbranch_scc0 .LBB15_1837
; %bb.1823:
	s_cmp_gt_i32 s2, 43
	;; [unrolled: 3-line block ×3, first 2 shown]
	s_cbranch_scc0 .LBB15_1827
; %bb.1825:
	s_mov_b32 s0, -1
	s_mov_b32 s7, 0
	s_cmp_eq_u32 s2, 46
	s_cbranch_scc0 .LBB15_1827
; %bb.1826:
	v_bfe_u32 v1, v6, 16, 1
	v_cmp_o_f32_e32 vcc_lo, v6, v6
	s_mov_b32 s0, 0
	s_mov_b32 s6, -1
	s_delay_alu instid0(VALU_DEP_2) | instskip(NEXT) | instid1(VALU_DEP_1)
	v_add3_u32 v1, v6, v1, 0x7fff
	v_lshrrev_b32_e32 v1, 16, v1
	s_delay_alu instid0(VALU_DEP_1)
	v_cndmask_b32_e32 v1, 0x7fc0, v1, vcc_lo
	global_store_b32 v[4:5], v1, off
.LBB15_1827:
	s_and_b32 vcc_lo, exec_lo, s7
	s_cbranch_vccz .LBB15_1832
; %bb.1828:
	s_cmp_eq_u32 s2, 44
	s_mov_b32 s0, -1
	s_cbranch_scc0 .LBB15_1832
; %bb.1829:
	v_bfe_u32 v3, v6, 23, 8
	s_wait_xcnt 0x0
	v_mov_b32_e32 v1, 0xff
	s_mov_b32 s6, exec_lo
	s_delay_alu instid0(VALU_DEP_2)
	v_cmpx_ne_u32_e32 0xff, v3
	s_cbranch_execz .LBB15_1831
; %bb.1830:
	v_and_b32_e32 v1, 0x400000, v6
	v_and_or_b32 v3, 0x3fffff, v6, v3
	s_delay_alu instid0(VALU_DEP_2) | instskip(NEXT) | instid1(VALU_DEP_2)
	v_cmp_ne_u32_e32 vcc_lo, 0, v1
	v_cmp_ne_u32_e64 s0, 0, v3
	v_lshrrev_b32_e32 v1, 23, v6
	s_and_b32 s0, vcc_lo, s0
	s_delay_alu instid0(SALU_CYCLE_1) | instskip(NEXT) | instid1(VALU_DEP_1)
	v_cndmask_b32_e64 v3, 0, 1, s0
	v_add_nc_u32_e32 v1, v1, v3
.LBB15_1831:
	s_or_b32 exec_lo, exec_lo, s6
	s_mov_b32 s0, 0
	s_mov_b32 s6, -1
	global_store_b8 v[4:5], v1, off
.LBB15_1832:
	s_mov_b32 s7, 0
.LBB15_1833:
	s_delay_alu instid0(SALU_CYCLE_1)
	s_and_b32 vcc_lo, exec_lo, s7
	s_cbranch_vccz .LBB15_1836
; %bb.1834:
	s_cmp_eq_u32 s2, 29
	s_mov_b32 s0, -1
	s_cbranch_scc0 .LBB15_1836
; %bb.1835:
	s_wait_xcnt 0x0
	v_trunc_f32_e32 v1, v6
	s_mov_b32 s0, 0
	s_mov_b32 s6, -1
	s_delay_alu instid0(VALU_DEP_1) | instskip(NEXT) | instid1(VALU_DEP_1)
	v_mul_f32_e32 v3, 0x2f800000, v1
	v_floor_f32_e32 v3, v3
	s_delay_alu instid0(VALU_DEP_1) | instskip(SKIP_1) | instid1(VALU_DEP_2)
	v_fmamk_f32 v1, v3, 0xcf800000, v1
	v_cvt_u32_f32_e32 v9, v3
	v_cvt_u32_f32_e32 v8, v1
	global_store_b64 v[4:5], v[8:9], off
.LBB15_1836:
	s_mov_b32 s7, 0
.LBB15_1837:
	s_delay_alu instid0(SALU_CYCLE_1)
	s_and_b32 vcc_lo, exec_lo, s7
	s_cbranch_vccz .LBB15_1853
; %bb.1838:
	s_cmp_lt_i32 s2, 27
	s_mov_b32 s6, -1
	s_cbranch_scc1 .LBB15_1844
; %bb.1839:
	s_cmp_gt_i32 s2, 27
	s_cbranch_scc0 .LBB15_1841
; %bb.1840:
	s_wait_xcnt 0x0
	v_cvt_u32_f32_e32 v1, v6
	s_mov_b32 s6, 0
	global_store_b32 v[4:5], v1, off
.LBB15_1841:
	s_and_not1_b32 vcc_lo, exec_lo, s6
	s_cbranch_vccnz .LBB15_1843
; %bb.1842:
	s_wait_xcnt 0x0
	v_cvt_u32_f32_e32 v1, v6
	global_store_b16 v[4:5], v1, off
.LBB15_1843:
	s_mov_b32 s6, 0
.LBB15_1844:
	s_delay_alu instid0(SALU_CYCLE_1)
	s_and_not1_b32 vcc_lo, exec_lo, s6
	s_cbranch_vccnz .LBB15_1852
; %bb.1845:
	s_wait_xcnt 0x0
	v_and_b32_e32 v1, 0x7fffffff, v6
	v_mov_b32_e32 v3, 0x80
	s_mov_b32 s6, exec_lo
	s_delay_alu instid0(VALU_DEP_2)
	v_cmpx_gt_u32_e32 0x43800000, v1
	s_cbranch_execz .LBB15_1851
; %bb.1846:
	v_cmp_lt_u32_e32 vcc_lo, 0x3bffffff, v1
	s_mov_b32 s7, 0
                                        ; implicit-def: $vgpr1
	s_and_saveexec_b32 s11, vcc_lo
	s_delay_alu instid0(SALU_CYCLE_1)
	s_xor_b32 s11, exec_lo, s11
	s_cbranch_execz .LBB15_2183
; %bb.1847:
	v_bfe_u32 v1, v6, 20, 1
	s_mov_b32 s7, exec_lo
	s_delay_alu instid0(VALU_DEP_1) | instskip(NEXT) | instid1(VALU_DEP_1)
	v_add3_u32 v1, v6, v1, 0x487ffff
	v_lshrrev_b32_e32 v1, 20, v1
	s_and_not1_saveexec_b32 s11, s11
	s_cbranch_execnz .LBB15_2184
.LBB15_1848:
	s_or_b32 exec_lo, exec_lo, s11
	v_mov_b32_e32 v3, 0
	s_and_saveexec_b32 s11, s7
.LBB15_1849:
	v_lshrrev_b32_e32 v3, 24, v6
	s_delay_alu instid0(VALU_DEP_1)
	v_and_or_b32 v3, 0x80, v3, v1
.LBB15_1850:
	s_or_b32 exec_lo, exec_lo, s11
.LBB15_1851:
	s_delay_alu instid0(SALU_CYCLE_1)
	s_or_b32 exec_lo, exec_lo, s6
	global_store_b8 v[4:5], v3, off
.LBB15_1852:
	s_mov_b32 s6, -1
.LBB15_1853:
	s_mov_b32 s7, 0
.LBB15_1854:
	s_delay_alu instid0(SALU_CYCLE_1)
	s_and_b32 vcc_lo, exec_lo, s7
	s_cbranch_vccz .LBB15_1894
; %bb.1855:
	s_cmp_gt_i32 s2, 22
	s_mov_b32 s3, -1
	s_cbranch_scc0 .LBB15_1887
; %bb.1856:
	s_cmp_lt_i32 s2, 24
	s_cbranch_scc1 .LBB15_1876
; %bb.1857:
	s_cmp_gt_i32 s2, 24
	s_cbranch_scc0 .LBB15_1865
; %bb.1858:
	s_wait_xcnt 0x0
	v_and_b32_e32 v1, 0x7fffffff, v6
	v_mov_b32_e32 v3, 0x80
	s_mov_b32 s3, exec_lo
	s_delay_alu instid0(VALU_DEP_2)
	v_cmpx_gt_u32_e32 0x47800000, v1
	s_cbranch_execz .LBB15_1864
; %bb.1859:
	v_cmp_lt_u32_e32 vcc_lo, 0x37ffffff, v1
	s_mov_b32 s6, 0
                                        ; implicit-def: $vgpr1
	s_and_saveexec_b32 s7, vcc_lo
	s_delay_alu instid0(SALU_CYCLE_1)
	s_xor_b32 s7, exec_lo, s7
	s_cbranch_execz .LBB15_2186
; %bb.1860:
	v_bfe_u32 v1, v6, 21, 1
	s_mov_b32 s6, exec_lo
	s_delay_alu instid0(VALU_DEP_1) | instskip(NEXT) | instid1(VALU_DEP_1)
	v_add3_u32 v1, v6, v1, 0x88fffff
	v_lshrrev_b32_e32 v1, 21, v1
	s_and_not1_saveexec_b32 s7, s7
	s_cbranch_execnz .LBB15_2187
.LBB15_1861:
	s_or_b32 exec_lo, exec_lo, s7
	v_mov_b32_e32 v3, 0
	s_and_saveexec_b32 s7, s6
.LBB15_1862:
	v_lshrrev_b32_e32 v3, 24, v6
	s_delay_alu instid0(VALU_DEP_1)
	v_and_or_b32 v3, 0x80, v3, v1
.LBB15_1863:
	s_or_b32 exec_lo, exec_lo, s7
.LBB15_1864:
	s_delay_alu instid0(SALU_CYCLE_1)
	s_or_b32 exec_lo, exec_lo, s3
	s_mov_b32 s3, 0
	global_store_b8 v[4:5], v3, off
.LBB15_1865:
	s_and_b32 vcc_lo, exec_lo, s3
	s_cbranch_vccz .LBB15_1875
; %bb.1866:
	s_wait_xcnt 0x0
	v_and_b32_e32 v3, 0x7fffffff, v6
	s_mov_b32 s3, exec_lo
                                        ; implicit-def: $vgpr1
	s_delay_alu instid0(VALU_DEP_1)
	v_cmpx_gt_u32_e32 0x43f00000, v3
	s_xor_b32 s3, exec_lo, s3
	s_cbranch_execz .LBB15_1872
; %bb.1867:
	s_mov_b32 s6, exec_lo
                                        ; implicit-def: $vgpr1
	v_cmpx_lt_u32_e32 0x3c7fffff, v3
	s_xor_b32 s6, exec_lo, s6
; %bb.1868:
	v_bfe_u32 v1, v6, 20, 1
	s_delay_alu instid0(VALU_DEP_1) | instskip(NEXT) | instid1(VALU_DEP_1)
	v_add3_u32 v1, v6, v1, 0x407ffff
	v_and_b32_e32 v3, 0xff00000, v1
	v_lshrrev_b32_e32 v1, 20, v1
	s_delay_alu instid0(VALU_DEP_2) | instskip(NEXT) | instid1(VALU_DEP_2)
	v_cmp_ne_u32_e32 vcc_lo, 0x7f00000, v3
	v_cndmask_b32_e32 v1, 0x7e, v1, vcc_lo
; %bb.1869:
	s_and_not1_saveexec_b32 s6, s6
; %bb.1870:
	v_add_f32_e64 v1, 0x46800000, |v6|
; %bb.1871:
	s_or_b32 exec_lo, exec_lo, s6
                                        ; implicit-def: $vgpr3
.LBB15_1872:
	s_and_not1_saveexec_b32 s3, s3
; %bb.1873:
	v_mov_b32_e32 v1, 0x7f
	v_cmp_lt_u32_e32 vcc_lo, 0x7f800000, v3
	s_delay_alu instid0(VALU_DEP_2)
	v_cndmask_b32_e32 v1, 0x7e, v1, vcc_lo
; %bb.1874:
	s_or_b32 exec_lo, exec_lo, s3
	v_lshrrev_b32_e32 v3, 24, v6
	s_delay_alu instid0(VALU_DEP_1)
	v_and_or_b32 v1, 0x80, v3, v1
	global_store_b8 v[4:5], v1, off
.LBB15_1875:
	s_mov_b32 s3, 0
.LBB15_1876:
	s_delay_alu instid0(SALU_CYCLE_1)
	s_and_not1_b32 vcc_lo, exec_lo, s3
	s_cbranch_vccnz .LBB15_1886
; %bb.1877:
	s_wait_xcnt 0x0
	v_and_b32_e32 v3, 0x7fffffff, v6
	s_mov_b32 s3, exec_lo
                                        ; implicit-def: $vgpr1
	s_delay_alu instid0(VALU_DEP_1)
	v_cmpx_gt_u32_e32 0x47800000, v3
	s_xor_b32 s3, exec_lo, s3
	s_cbranch_execz .LBB15_1883
; %bb.1878:
	s_mov_b32 s6, exec_lo
                                        ; implicit-def: $vgpr1
	v_cmpx_lt_u32_e32 0x387fffff, v3
	s_xor_b32 s6, exec_lo, s6
; %bb.1879:
	v_bfe_u32 v1, v6, 21, 1
	s_delay_alu instid0(VALU_DEP_1) | instskip(NEXT) | instid1(VALU_DEP_1)
	v_add3_u32 v1, v6, v1, 0x80fffff
	v_lshrrev_b32_e32 v1, 21, v1
; %bb.1880:
	s_and_not1_saveexec_b32 s6, s6
; %bb.1881:
	v_add_f32_e64 v1, 0x43000000, |v6|
; %bb.1882:
	s_or_b32 exec_lo, exec_lo, s6
                                        ; implicit-def: $vgpr3
.LBB15_1883:
	s_and_not1_saveexec_b32 s3, s3
; %bb.1884:
	v_mov_b32_e32 v1, 0x7f
	v_cmp_lt_u32_e32 vcc_lo, 0x7f800000, v3
	s_delay_alu instid0(VALU_DEP_2)
	v_cndmask_b32_e32 v1, 0x7c, v1, vcc_lo
; %bb.1885:
	s_or_b32 exec_lo, exec_lo, s3
	v_lshrrev_b32_e32 v3, 24, v6
	s_delay_alu instid0(VALU_DEP_1)
	v_and_or_b32 v1, 0x80, v3, v1
	global_store_b8 v[4:5], v1, off
.LBB15_1886:
	s_mov_b32 s3, 0
	s_mov_b32 s6, -1
.LBB15_1887:
	s_and_not1_b32 vcc_lo, exec_lo, s3
	s_mov_b32 s3, 0
	s_cbranch_vccnz .LBB15_1894
; %bb.1888:
	s_cmp_gt_i32 s2, 14
	s_mov_b32 s3, -1
	s_cbranch_scc0 .LBB15_1892
; %bb.1889:
	s_cmp_eq_u32 s2, 15
	s_mov_b32 s0, -1
	s_cbranch_scc0 .LBB15_1891
; %bb.1890:
	s_wait_xcnt 0x0
	v_bfe_u32 v1, v6, 16, 1
	v_cmp_o_f32_e32 vcc_lo, v6, v6
	s_mov_b32 s0, 0
	s_mov_b32 s6, -1
	s_delay_alu instid0(VALU_DEP_2) | instskip(NEXT) | instid1(VALU_DEP_1)
	v_add3_u32 v1, v6, v1, 0x7fff
	v_lshrrev_b32_e32 v1, 16, v1
	s_delay_alu instid0(VALU_DEP_1)
	v_cndmask_b32_e32 v1, 0x7fc0, v1, vcc_lo
	global_store_b16 v[4:5], v1, off
.LBB15_1891:
	s_mov_b32 s3, 0
.LBB15_1892:
	s_delay_alu instid0(SALU_CYCLE_1)
	s_and_b32 vcc_lo, exec_lo, s3
	s_mov_b32 s3, 0
	s_cbranch_vccz .LBB15_1894
; %bb.1893:
	s_cmp_lg_u32 s2, 11
	s_mov_b32 s3, -1
	s_cselect_b32 s0, -1, 0
.LBB15_1894:
	s_delay_alu instid0(SALU_CYCLE_1)
	s_and_b32 vcc_lo, exec_lo, s0
	s_cbranch_vccnz .LBB15_2185
; %bb.1895:
	s_and_not1_b32 vcc_lo, exec_lo, s3
	s_cbranch_vccnz .LBB15_1897
.LBB15_1896:
	v_cmp_neq_f32_e32 vcc_lo, 0, v6
	s_mov_b32 s6, -1
	s_wait_xcnt 0x0
	v_cndmask_b32_e64 v1, 0, 1, vcc_lo
	global_store_b8 v[4:5], v1, off
.LBB15_1897:
.LBB15_1898:
	s_and_not1_b32 vcc_lo, exec_lo, s6
	s_cbranch_vccz .LBB15_1938
	s_branch .LBB15_2132
.LBB15_1899:
	s_and_b32 vcc_lo, exec_lo, s0
	s_cbranch_vccz .LBB15_1898
; %bb.1900:
	s_cmp_lt_i32 s2, 5
	s_mov_b32 s0, -1
	s_cbranch_scc1 .LBB15_1921
; %bb.1901:
	s_cmp_lt_i32 s2, 8
	s_cbranch_scc1 .LBB15_1911
; %bb.1902:
	s_cmp_lt_i32 s2, 9
	s_cbranch_scc1 .LBB15_1908
; %bb.1903:
	s_cmp_gt_i32 s2, 9
	s_cbranch_scc0 .LBB15_1905
; %bb.1904:
	v_cvt_f64_f32_e32 v[14:15], v6
	v_mov_b32_e32 v16, 0
	s_mov_b32 s0, 0
	s_delay_alu instid0(VALU_DEP_1)
	v_mov_b32_e32 v17, v16
	global_store_b128 v[4:5], v[14:17], off
.LBB15_1905:
	s_and_not1_b32 vcc_lo, exec_lo, s0
	s_cbranch_vccnz .LBB15_1907
; %bb.1906:
	v_mov_b32_e32 v7, 0
	global_store_b64 v[4:5], v[6:7], off
.LBB15_1907:
	s_mov_b32 s0, 0
.LBB15_1908:
	s_delay_alu instid0(SALU_CYCLE_1)
	s_and_not1_b32 vcc_lo, exec_lo, s0
	s_cbranch_vccnz .LBB15_1910
; %bb.1909:
	s_wait_xcnt 0x0
	v_cvt_f16_f32_e32 v1, v6
	s_delay_alu instid0(VALU_DEP_1)
	v_and_b32_e32 v1, 0xffff, v1
	global_store_b32 v[4:5], v1, off
.LBB15_1910:
	s_mov_b32 s0, 0
.LBB15_1911:
	s_delay_alu instid0(SALU_CYCLE_1)
	s_and_not1_b32 vcc_lo, exec_lo, s0
	s_cbranch_vccnz .LBB15_1920
; %bb.1912:
	s_cmp_lt_i32 s2, 6
	s_mov_b32 s0, -1
	s_cbranch_scc1 .LBB15_1918
; %bb.1913:
	s_cmp_gt_i32 s2, 6
	s_cbranch_scc0 .LBB15_1915
; %bb.1914:
	s_wait_xcnt 0x0
	v_cvt_f64_f32_e32 v[8:9], v6
	s_mov_b32 s0, 0
	global_store_b64 v[4:5], v[8:9], off
.LBB15_1915:
	s_and_not1_b32 vcc_lo, exec_lo, s0
	s_cbranch_vccnz .LBB15_1917
; %bb.1916:
	global_store_b32 v[4:5], v6, off
.LBB15_1917:
	s_mov_b32 s0, 0
.LBB15_1918:
	s_delay_alu instid0(SALU_CYCLE_1)
	s_and_not1_b32 vcc_lo, exec_lo, s0
	s_cbranch_vccnz .LBB15_1920
; %bb.1919:
	s_wait_xcnt 0x0
	v_cvt_f16_f32_e32 v1, v6
	global_store_b16 v[4:5], v1, off
.LBB15_1920:
	s_mov_b32 s0, 0
.LBB15_1921:
	s_delay_alu instid0(SALU_CYCLE_1)
	s_and_not1_b32 vcc_lo, exec_lo, s0
	s_cbranch_vccnz .LBB15_1937
; %bb.1922:
	s_cmp_lt_i32 s2, 2
	s_mov_b32 s0, -1
	s_cbranch_scc1 .LBB15_1932
; %bb.1923:
	s_cmp_lt_i32 s2, 3
	s_cbranch_scc1 .LBB15_1929
; %bb.1924:
	s_cmp_gt_i32 s2, 3
	s_cbranch_scc0 .LBB15_1926
; %bb.1925:
	s_wait_xcnt 0x0
	v_trunc_f32_e32 v1, v6
	s_mov_b32 s0, 0
	s_delay_alu instid0(VALU_DEP_1) | instskip(SKIP_1) | instid1(VALU_DEP_2)
	v_mul_f32_e64 v3, 0x2f800000, |v1|
	v_ashrrev_i32_e32 v8, 31, v1
	v_floor_f32_e32 v3, v3
	s_delay_alu instid0(VALU_DEP_1) | instskip(SKIP_1) | instid1(VALU_DEP_4)
	v_fma_f32 v7, 0xcf800000, v3, |v1|
	v_cvt_u32_f32_e32 v1, v3
	v_mov_b32_e32 v9, v8
	s_delay_alu instid0(VALU_DEP_3) | instskip(NEXT) | instid1(VALU_DEP_3)
	v_cvt_u32_f32_e32 v3, v7
	v_xor_b32_e32 v15, v1, v8
	s_delay_alu instid0(VALU_DEP_2) | instskip(NEXT) | instid1(VALU_DEP_1)
	v_xor_b32_e32 v14, v3, v8
	v_sub_nc_u64_e32 v[8:9], v[14:15], v[8:9]
	global_store_b64 v[4:5], v[8:9], off
.LBB15_1926:
	s_and_not1_b32 vcc_lo, exec_lo, s0
	s_cbranch_vccnz .LBB15_1928
; %bb.1927:
	s_wait_xcnt 0x0
	v_cvt_i32_f32_e32 v1, v6
	global_store_b32 v[4:5], v1, off
.LBB15_1928:
	s_mov_b32 s0, 0
.LBB15_1929:
	s_delay_alu instid0(SALU_CYCLE_1)
	s_and_not1_b32 vcc_lo, exec_lo, s0
	s_cbranch_vccnz .LBB15_1931
; %bb.1930:
	s_wait_xcnt 0x0
	v_cvt_i32_f32_e32 v1, v6
	global_store_b16 v[4:5], v1, off
.LBB15_1931:
	s_mov_b32 s0, 0
.LBB15_1932:
	s_delay_alu instid0(SALU_CYCLE_1)
	s_and_not1_b32 vcc_lo, exec_lo, s0
	s_cbranch_vccnz .LBB15_1937
; %bb.1933:
	s_cmp_gt_i32 s2, 0
	s_mov_b32 s0, -1
	s_cbranch_scc0 .LBB15_1935
; %bb.1934:
	s_wait_xcnt 0x0
	v_cvt_i32_f32_e32 v1, v6
	s_mov_b32 s0, 0
	global_store_b8 v[4:5], v1, off
.LBB15_1935:
	s_and_not1_b32 vcc_lo, exec_lo, s0
	s_cbranch_vccnz .LBB15_1937
; %bb.1936:
	s_wait_xcnt 0x0
	v_trunc_f32_e32 v1, v6
	s_delay_alu instid0(VALU_DEP_1) | instskip(NEXT) | instid1(VALU_DEP_1)
	v_mul_f32_e64 v3, 0x2f800000, |v1|
	v_floor_f32_e32 v3, v3
	s_delay_alu instid0(VALU_DEP_1) | instskip(SKIP_1) | instid1(VALU_DEP_2)
	v_fma_f32 v3, 0xcf800000, v3, |v1|
	v_ashrrev_i32_e32 v1, 31, v1
	v_cvt_u32_f32_e32 v3, v3
	s_delay_alu instid0(VALU_DEP_1) | instskip(NEXT) | instid1(VALU_DEP_1)
	v_xor_b32_e32 v3, v3, v1
	v_sub_nc_u32_e32 v1, v3, v1
	global_store_b8 v[4:5], v1, off
.LBB15_1937:
.LBB15_1938:
	s_wait_xcnt 0x0
	v_dual_mul_f32 v1, v18, v18 :: v_dual_bitop2_b32 v5, 1, v19 bitop3:0x40
	s_mov_b32 s0, 0xb94c1982
	s_mov_b32 s3, 0x37d75334
	;; [unrolled: 1-line block ×3, first 2 shown]
	s_delay_alu instid0(VALU_DEP_1) | instskip(SKIP_3) | instid1(VALU_DEP_2)
	v_dual_fmaak_f32 v3, s0, v1, 0x3c0881c4 :: v_dual_lshlrev_b32 v6, 30, v19
	v_cmp_eq_u32_e32 vcc_lo, 0, v5
	s_cmp_lt_i32 s2, 11
	s_mov_b32 s0, -1
	v_fmaak_f32 v3, v1, v3, 0xbe2aaa9d
	v_fmaak_f32 v4, s3, v1, 0xbab64f3b
	s_delay_alu instid0(VALU_DEP_2) | instskip(NEXT) | instid1(VALU_DEP_1)
	v_dual_mul_f32 v3, v1, v3 :: v_dual_bitop2_b32 v5, v11, v12 bitop3:0x14
	v_fmac_f32_e32 v18, v18, v3
	s_delay_alu instid0(VALU_DEP_3) | instskip(NEXT) | instid1(VALU_DEP_1)
	v_dual_fmaak_f32 v4, v1, v4, 0x3d2aabf7 :: v_dual_mov_b32 v3, 0
	v_fmaak_f32 v4, v1, v4, 0xbf000004
	s_delay_alu instid0(VALU_DEP_2) | instskip(NEXT) | instid1(VALU_DEP_2)
	v_add_nc_u64_e32 v[2:3], s[4:5], v[2:3]
	v_fma_f32 v1, v1, v4, 1.0
	v_and_b32_e32 v4, 0x80000000, v6
	s_delay_alu instid0(VALU_DEP_2) | instskip(SKIP_1) | instid1(VALU_DEP_2)
	v_cndmask_b32_e32 v1, v1, v18, vcc_lo
	v_cmp_class_f32_e64 vcc_lo, v12, 0x1f8
	v_xor3_b32 v1, v5, v4, v1
	s_delay_alu instid0(VALU_DEP_1)
	v_cndmask_b32_e32 v4, 0x7fc00000, v1, vcc_lo
	s_cbranch_scc1 .LBB15_2093
; %bb.1939:
	s_mov_b32 s7, -1
	s_mov_b32 s3, 0
	s_cmp_gt_i32 s2, 25
	s_mov_b32 s0, 0
	s_cbranch_scc0 .LBB15_1972
; %bb.1940:
	s_cmp_gt_i32 s2, 28
	s_cbranch_scc0 .LBB15_1955
; %bb.1941:
	s_cmp_gt_i32 s2, 43
	;; [unrolled: 3-line block ×3, first 2 shown]
	s_cbranch_scc0 .LBB15_1945
; %bb.1943:
	s_mov_b32 s0, -1
	s_mov_b32 s7, 0
	s_cmp_eq_u32 s2, 46
	s_cbranch_scc0 .LBB15_1945
; %bb.1944:
	v_bfe_u32 v1, v4, 16, 1
	v_cmp_o_f32_e32 vcc_lo, v4, v4
	s_mov_b32 s0, 0
	s_mov_b32 s6, -1
	s_delay_alu instid0(VALU_DEP_2) | instskip(NEXT) | instid1(VALU_DEP_1)
	v_add3_u32 v1, v4, v1, 0x7fff
	v_lshrrev_b32_e32 v1, 16, v1
	s_delay_alu instid0(VALU_DEP_1)
	v_cndmask_b32_e32 v1, 0x7fc0, v1, vcc_lo
	global_store_b32 v[2:3], v1, off
.LBB15_1945:
	s_and_b32 vcc_lo, exec_lo, s7
	s_cbranch_vccz .LBB15_1950
; %bb.1946:
	s_cmp_eq_u32 s2, 44
	s_mov_b32 s0, -1
	s_cbranch_scc0 .LBB15_1950
; %bb.1947:
	v_bfe_u32 v5, v4, 23, 8
	s_wait_xcnt 0x0
	v_mov_b32_e32 v1, 0xff
	s_mov_b32 s6, exec_lo
	s_delay_alu instid0(VALU_DEP_2)
	v_cmpx_ne_u32_e32 0xff, v5
	s_cbranch_execz .LBB15_1949
; %bb.1948:
	v_and_b32_e32 v1, 0x400000, v4
	v_and_or_b32 v5, 0x3fffff, v4, v5
	s_delay_alu instid0(VALU_DEP_2) | instskip(NEXT) | instid1(VALU_DEP_2)
	v_cmp_ne_u32_e32 vcc_lo, 0, v1
	v_cmp_ne_u32_e64 s0, 0, v5
	v_lshrrev_b32_e32 v1, 23, v4
	s_and_b32 s0, vcc_lo, s0
	s_delay_alu instid0(SALU_CYCLE_1) | instskip(NEXT) | instid1(VALU_DEP_1)
	v_cndmask_b32_e64 v5, 0, 1, s0
	v_add_nc_u32_e32 v1, v1, v5
.LBB15_1949:
	s_or_b32 exec_lo, exec_lo, s6
	s_mov_b32 s0, 0
	s_mov_b32 s6, -1
	global_store_b8 v[2:3], v1, off
.LBB15_1950:
	s_mov_b32 s7, 0
.LBB15_1951:
	s_delay_alu instid0(SALU_CYCLE_1)
	s_and_b32 vcc_lo, exec_lo, s7
	s_cbranch_vccz .LBB15_1954
; %bb.1952:
	s_cmp_eq_u32 s2, 29
	s_mov_b32 s0, -1
	s_cbranch_scc0 .LBB15_1954
; %bb.1953:
	s_wait_xcnt 0x0
	v_trunc_f32_e32 v1, v4
	s_mov_b32 s0, 0
	s_mov_b32 s6, -1
	s_delay_alu instid0(VALU_DEP_1) | instskip(NEXT) | instid1(VALU_DEP_1)
	v_mul_f32_e32 v5, 0x2f800000, v1
	v_floor_f32_e32 v5, v5
	s_delay_alu instid0(VALU_DEP_1) | instskip(SKIP_1) | instid1(VALU_DEP_2)
	v_fmamk_f32 v1, v5, 0xcf800000, v1
	v_cvt_u32_f32_e32 v7, v5
	v_cvt_u32_f32_e32 v6, v1
	global_store_b64 v[2:3], v[6:7], off
.LBB15_1954:
	s_mov_b32 s7, 0
.LBB15_1955:
	s_delay_alu instid0(SALU_CYCLE_1)
	s_and_b32 vcc_lo, exec_lo, s7
	s_cbranch_vccz .LBB15_1971
; %bb.1956:
	s_cmp_lt_i32 s2, 27
	s_mov_b32 s6, -1
	s_cbranch_scc1 .LBB15_1962
; %bb.1957:
	s_wait_xcnt 0x0
	v_cvt_u32_f32_e32 v1, v4
	s_cmp_gt_i32 s2, 27
	s_cbranch_scc0 .LBB15_1959
; %bb.1958:
	s_mov_b32 s6, 0
	global_store_b32 v[2:3], v1, off
.LBB15_1959:
	s_and_not1_b32 vcc_lo, exec_lo, s6
	s_cbranch_vccnz .LBB15_1961
; %bb.1960:
	global_store_b16 v[2:3], v1, off
.LBB15_1961:
	s_mov_b32 s6, 0
.LBB15_1962:
	s_delay_alu instid0(SALU_CYCLE_1)
	s_and_not1_b32 vcc_lo, exec_lo, s6
	s_cbranch_vccnz .LBB15_1970
; %bb.1963:
	s_wait_xcnt 0x0
	v_and_b32_e32 v1, 0x7fffffff, v4
	v_mov_b32_e32 v5, 0x80
	s_mov_b32 s6, exec_lo
	s_delay_alu instid0(VALU_DEP_2)
	v_cmpx_gt_u32_e32 0x43800000, v1
	s_cbranch_execz .LBB15_1969
; %bb.1964:
	v_cmp_lt_u32_e32 vcc_lo, 0x3bffffff, v1
	s_mov_b32 s7, 0
                                        ; implicit-def: $vgpr1
	s_and_saveexec_b32 s11, vcc_lo
	s_delay_alu instid0(SALU_CYCLE_1)
	s_xor_b32 s11, exec_lo, s11
	s_cbranch_execz .LBB15_2188
; %bb.1965:
	v_bfe_u32 v1, v4, 20, 1
	s_mov_b32 s7, exec_lo
	s_delay_alu instid0(VALU_DEP_1) | instskip(NEXT) | instid1(VALU_DEP_1)
	v_add3_u32 v1, v4, v1, 0x487ffff
	v_lshrrev_b32_e32 v1, 20, v1
	s_and_not1_saveexec_b32 s11, s11
	s_cbranch_execnz .LBB15_2189
.LBB15_1966:
	s_or_b32 exec_lo, exec_lo, s11
	v_mov_b32_e32 v5, 0
	s_and_saveexec_b32 s11, s7
.LBB15_1967:
	v_lshrrev_b32_e32 v5, 24, v4
	s_delay_alu instid0(VALU_DEP_1)
	v_and_or_b32 v5, 0x80, v5, v1
.LBB15_1968:
	s_or_b32 exec_lo, exec_lo, s11
.LBB15_1969:
	s_delay_alu instid0(SALU_CYCLE_1)
	s_or_b32 exec_lo, exec_lo, s6
	global_store_b8 v[2:3], v5, off
.LBB15_1970:
	s_mov_b32 s6, -1
.LBB15_1971:
	s_mov_b32 s7, 0
.LBB15_1972:
	s_delay_alu instid0(SALU_CYCLE_1)
	s_and_b32 vcc_lo, exec_lo, s7
	s_cbranch_vccz .LBB15_2012
; %bb.1973:
	s_cmp_gt_i32 s2, 22
	s_mov_b32 s3, -1
	s_cbranch_scc0 .LBB15_2005
; %bb.1974:
	s_cmp_lt_i32 s2, 24
	s_cbranch_scc1 .LBB15_1994
; %bb.1975:
	s_cmp_gt_i32 s2, 24
	s_cbranch_scc0 .LBB15_1983
; %bb.1976:
	s_wait_xcnt 0x0
	v_and_b32_e32 v1, 0x7fffffff, v4
	v_mov_b32_e32 v5, 0x80
	s_mov_b32 s3, exec_lo
	s_delay_alu instid0(VALU_DEP_2)
	v_cmpx_gt_u32_e32 0x47800000, v1
	s_cbranch_execz .LBB15_1982
; %bb.1977:
	v_cmp_lt_u32_e32 vcc_lo, 0x37ffffff, v1
	s_mov_b32 s6, 0
                                        ; implicit-def: $vgpr1
	s_and_saveexec_b32 s7, vcc_lo
	s_delay_alu instid0(SALU_CYCLE_1)
	s_xor_b32 s7, exec_lo, s7
	s_cbranch_execz .LBB15_2191
; %bb.1978:
	v_bfe_u32 v1, v4, 21, 1
	s_mov_b32 s6, exec_lo
	s_delay_alu instid0(VALU_DEP_1) | instskip(NEXT) | instid1(VALU_DEP_1)
	v_add3_u32 v1, v4, v1, 0x88fffff
	v_lshrrev_b32_e32 v1, 21, v1
	s_and_not1_saveexec_b32 s7, s7
	s_cbranch_execnz .LBB15_2192
.LBB15_1979:
	s_or_b32 exec_lo, exec_lo, s7
	v_mov_b32_e32 v5, 0
	s_and_saveexec_b32 s7, s6
.LBB15_1980:
	v_lshrrev_b32_e32 v5, 24, v4
	s_delay_alu instid0(VALU_DEP_1)
	v_and_or_b32 v5, 0x80, v5, v1
.LBB15_1981:
	s_or_b32 exec_lo, exec_lo, s7
.LBB15_1982:
	s_delay_alu instid0(SALU_CYCLE_1)
	s_or_b32 exec_lo, exec_lo, s3
	s_mov_b32 s3, 0
	global_store_b8 v[2:3], v5, off
.LBB15_1983:
	s_and_b32 vcc_lo, exec_lo, s3
	s_cbranch_vccz .LBB15_1993
; %bb.1984:
	s_wait_xcnt 0x0
	v_and_b32_e32 v5, 0x7fffffff, v4
	s_mov_b32 s3, exec_lo
                                        ; implicit-def: $vgpr1
	s_delay_alu instid0(VALU_DEP_1)
	v_cmpx_gt_u32_e32 0x43f00000, v5
	s_xor_b32 s3, exec_lo, s3
	s_cbranch_execz .LBB15_1990
; %bb.1985:
	s_mov_b32 s6, exec_lo
                                        ; implicit-def: $vgpr1
	v_cmpx_lt_u32_e32 0x3c7fffff, v5
	s_xor_b32 s6, exec_lo, s6
; %bb.1986:
	v_bfe_u32 v1, v4, 20, 1
	s_delay_alu instid0(VALU_DEP_1) | instskip(NEXT) | instid1(VALU_DEP_1)
	v_add3_u32 v1, v4, v1, 0x407ffff
	v_and_b32_e32 v5, 0xff00000, v1
	v_lshrrev_b32_e32 v1, 20, v1
	s_delay_alu instid0(VALU_DEP_2) | instskip(NEXT) | instid1(VALU_DEP_2)
	v_cmp_ne_u32_e32 vcc_lo, 0x7f00000, v5
	v_cndmask_b32_e32 v1, 0x7e, v1, vcc_lo
; %bb.1987:
	s_and_not1_saveexec_b32 s6, s6
; %bb.1988:
	v_add_f32_e64 v1, 0x46800000, |v4|
; %bb.1989:
	s_or_b32 exec_lo, exec_lo, s6
                                        ; implicit-def: $vgpr5
.LBB15_1990:
	s_and_not1_saveexec_b32 s3, s3
; %bb.1991:
	v_mov_b32_e32 v1, 0x7f
	v_cmp_lt_u32_e32 vcc_lo, 0x7f800000, v5
	s_delay_alu instid0(VALU_DEP_2)
	v_cndmask_b32_e32 v1, 0x7e, v1, vcc_lo
; %bb.1992:
	s_or_b32 exec_lo, exec_lo, s3
	v_lshrrev_b32_e32 v5, 24, v4
	s_delay_alu instid0(VALU_DEP_1)
	v_and_or_b32 v1, 0x80, v5, v1
	global_store_b8 v[2:3], v1, off
.LBB15_1993:
	s_mov_b32 s3, 0
.LBB15_1994:
	s_delay_alu instid0(SALU_CYCLE_1)
	s_and_not1_b32 vcc_lo, exec_lo, s3
	s_cbranch_vccnz .LBB15_2004
; %bb.1995:
	s_wait_xcnt 0x0
	v_and_b32_e32 v5, 0x7fffffff, v4
	s_mov_b32 s3, exec_lo
                                        ; implicit-def: $vgpr1
	s_delay_alu instid0(VALU_DEP_1)
	v_cmpx_gt_u32_e32 0x47800000, v5
	s_xor_b32 s3, exec_lo, s3
	s_cbranch_execz .LBB15_2001
; %bb.1996:
	s_mov_b32 s6, exec_lo
                                        ; implicit-def: $vgpr1
	v_cmpx_lt_u32_e32 0x387fffff, v5
	s_xor_b32 s6, exec_lo, s6
; %bb.1997:
	v_bfe_u32 v1, v4, 21, 1
	s_delay_alu instid0(VALU_DEP_1) | instskip(NEXT) | instid1(VALU_DEP_1)
	v_add3_u32 v1, v4, v1, 0x80fffff
	v_lshrrev_b32_e32 v1, 21, v1
; %bb.1998:
	s_and_not1_saveexec_b32 s6, s6
; %bb.1999:
	v_add_f32_e64 v1, 0x43000000, |v4|
; %bb.2000:
	s_or_b32 exec_lo, exec_lo, s6
                                        ; implicit-def: $vgpr5
.LBB15_2001:
	s_and_not1_saveexec_b32 s3, s3
; %bb.2002:
	v_mov_b32_e32 v1, 0x7f
	v_cmp_lt_u32_e32 vcc_lo, 0x7f800000, v5
	s_delay_alu instid0(VALU_DEP_2)
	v_cndmask_b32_e32 v1, 0x7c, v1, vcc_lo
; %bb.2003:
	s_or_b32 exec_lo, exec_lo, s3
	v_lshrrev_b32_e32 v5, 24, v4
	s_delay_alu instid0(VALU_DEP_1)
	v_and_or_b32 v1, 0x80, v5, v1
	global_store_b8 v[2:3], v1, off
.LBB15_2004:
	s_mov_b32 s3, 0
	s_mov_b32 s6, -1
.LBB15_2005:
	s_and_not1_b32 vcc_lo, exec_lo, s3
	s_mov_b32 s3, 0
	s_cbranch_vccnz .LBB15_2012
; %bb.2006:
	s_cmp_gt_i32 s2, 14
	s_mov_b32 s3, -1
	s_cbranch_scc0 .LBB15_2010
; %bb.2007:
	s_cmp_eq_u32 s2, 15
	s_mov_b32 s0, -1
	s_cbranch_scc0 .LBB15_2009
; %bb.2008:
	s_wait_xcnt 0x0
	v_bfe_u32 v1, v4, 16, 1
	v_cmp_o_f32_e32 vcc_lo, v4, v4
	s_mov_b32 s0, 0
	s_mov_b32 s6, -1
	s_delay_alu instid0(VALU_DEP_2) | instskip(NEXT) | instid1(VALU_DEP_1)
	v_add3_u32 v1, v4, v1, 0x7fff
	v_lshrrev_b32_e32 v1, 16, v1
	s_delay_alu instid0(VALU_DEP_1)
	v_cndmask_b32_e32 v1, 0x7fc0, v1, vcc_lo
	global_store_b16 v[2:3], v1, off
.LBB15_2009:
	s_mov_b32 s3, 0
.LBB15_2010:
	s_delay_alu instid0(SALU_CYCLE_1)
	s_and_b32 vcc_lo, exec_lo, s3
	s_mov_b32 s3, 0
	s_cbranch_vccz .LBB15_2012
; %bb.2011:
	s_cmp_lg_u32 s2, 11
	s_mov_b32 s3, -1
	s_cselect_b32 s0, -1, 0
.LBB15_2012:
	s_delay_alu instid0(SALU_CYCLE_1)
	s_and_b32 vcc_lo, exec_lo, s0
	s_cbranch_vccnz .LBB15_2190
; %bb.2013:
	s_and_not1_b32 vcc_lo, exec_lo, s3
	s_cbranch_vccnz .LBB15_2015
.LBB15_2014:
	v_cmp_neq_f32_e32 vcc_lo, 0, v4
	s_mov_b32 s6, -1
	s_wait_xcnt 0x0
	v_cndmask_b32_e64 v1, 0, 1, vcc_lo
	global_store_b8 v[2:3], v1, off
.LBB15_2015:
.LBB15_2016:
	s_and_not1_b32 vcc_lo, exec_lo, s6
	s_cbranch_vccnz .LBB15_2132
.LBB15_2017:
	s_wait_xcnt 0x0
	v_dual_mul_f32 v1, v21, v21 :: v_dual_bitop2_b32 v4, 1, v22 bitop3:0x40
	s_mov_b32 s0, 0xb94c1982
	s_mov_b32 s3, 0x37d75334
	s_cmp_lt_i32 s2, 11
	s_delay_alu instid0(VALU_DEP_1) | instskip(SKIP_3) | instid1(VALU_DEP_3)
	v_dual_fmaak_f32 v2, s0, v1, 0x3c0881c4 :: v_dual_lshlrev_b32 v5, 30, v22
	v_cmp_eq_u32_e32 vcc_lo, 0, v4
	v_xor_b32_e32 v4, v20, v10
	s_mov_b32 s0, -1
	v_fmaak_f32 v2, v1, v2, 0xbe2aaa9d
	v_fmaak_f32 v3, s3, v1, 0xbab64f3b
	s_mov_b32 s3, 0
	s_delay_alu instid0(VALU_DEP_1) | instskip(NEXT) | instid1(VALU_DEP_1)
	v_dual_mul_f32 v2, v1, v2 :: v_dual_fmaak_f32 v3, v1, v3, 0x3d2aabf7
	v_fmac_f32_e32 v21, v21, v2
	s_delay_alu instid0(VALU_DEP_2) | instskip(SKIP_1) | instid1(VALU_DEP_2)
	v_fmaak_f32 v3, v1, v3, 0xbf000004
	v_and_b32_e32 v2, 0x80000000, v5
	v_fma_f32 v1, v1, v3, 1.0
	s_delay_alu instid0(VALU_DEP_1) | instskip(SKIP_1) | instid1(VALU_DEP_2)
	v_dual_cndmask_b32 v3, v1, v21, vcc_lo :: v_dual_mov_b32 v1, 0
	v_cmp_class_f32_e64 vcc_lo, v10, 0x1f8
	v_xor3_b32 v4, v4, v2, v3
	s_delay_alu instid0(VALU_DEP_3) | instskip(NEXT) | instid1(VALU_DEP_2)
	v_add_nc_u64_e32 v[2:3], s[4:5], v[0:1]
	v_cndmask_b32_e32 v4, 0x7fc00000, v4, vcc_lo
	s_cbranch_scc1 .LBB15_2133
; %bb.2018:
	s_mov_b32 s4, -1
	s_cmp_gt_i32 s2, 25
	s_mov_b32 s0, 0
	s_cbranch_scc0 .LBB15_2051
; %bb.2019:
	s_cmp_gt_i32 s2, 28
	s_cbranch_scc0 .LBB15_2035
; %bb.2020:
	s_cmp_gt_i32 s2, 43
	s_cbranch_scc0 .LBB15_2031
; %bb.2021:
	s_cmp_gt_i32 s2, 45
	s_cbranch_scc0 .LBB15_2025
; %bb.2022:
	s_cmp_eq_u32 s2, 46
	s_mov_b32 s0, -1
	s_cbranch_scc0 .LBB15_2024
; %bb.2023:
	v_bfe_u32 v0, v4, 16, 1
	v_cmp_o_f32_e32 vcc_lo, v4, v4
	s_mov_b32 s0, 0
	s_delay_alu instid0(VALU_DEP_2) | instskip(NEXT) | instid1(VALU_DEP_1)
	v_add3_u32 v0, v4, v0, 0x7fff
	v_lshrrev_b32_e32 v0, 16, v0
	s_delay_alu instid0(VALU_DEP_1)
	v_cndmask_b32_e32 v0, 0x7fc0, v0, vcc_lo
	global_store_b32 v[2:3], v0, off
.LBB15_2024:
	s_mov_b32 s4, 0
.LBB15_2025:
	s_delay_alu instid0(SALU_CYCLE_1)
	s_and_b32 vcc_lo, exec_lo, s4
	s_cbranch_vccz .LBB15_2030
; %bb.2026:
	s_cmp_eq_u32 s2, 44
	s_mov_b32 s0, -1
	s_cbranch_scc0 .LBB15_2030
; %bb.2027:
	v_bfe_u32 v1, v4, 23, 8
	s_wait_xcnt 0x0
	v_mov_b32_e32 v0, 0xff
	s_mov_b32 s4, exec_lo
	s_delay_alu instid0(VALU_DEP_2)
	v_cmpx_ne_u32_e32 0xff, v1
	s_cbranch_execz .LBB15_2029
; %bb.2028:
	v_and_b32_e32 v0, 0x400000, v4
	v_and_or_b32 v1, 0x3fffff, v4, v1
	s_delay_alu instid0(VALU_DEP_2) | instskip(NEXT) | instid1(VALU_DEP_2)
	v_cmp_ne_u32_e32 vcc_lo, 0, v0
	v_cmp_ne_u32_e64 s0, 0, v1
	v_lshrrev_b32_e32 v0, 23, v4
	s_and_b32 s0, vcc_lo, s0
	s_delay_alu instid0(SALU_CYCLE_1) | instskip(NEXT) | instid1(VALU_DEP_1)
	v_cndmask_b32_e64 v1, 0, 1, s0
	v_add_nc_u32_e32 v0, v0, v1
.LBB15_2029:
	s_or_b32 exec_lo, exec_lo, s4
	s_mov_b32 s0, 0
	global_store_b8 v[2:3], v0, off
.LBB15_2030:
	s_mov_b32 s4, 0
.LBB15_2031:
	s_delay_alu instid0(SALU_CYCLE_1)
	s_and_b32 vcc_lo, exec_lo, s4
	s_cbranch_vccz .LBB15_2034
; %bb.2032:
	s_cmp_eq_u32 s2, 29
	s_mov_b32 s0, -1
	s_cbranch_scc0 .LBB15_2034
; %bb.2033:
	s_wait_xcnt 0x0
	v_trunc_f32_e32 v0, v4
	s_mov_b32 s0, 0
	s_delay_alu instid0(VALU_DEP_1) | instskip(NEXT) | instid1(VALU_DEP_1)
	v_mul_f32_e32 v1, 0x2f800000, v0
	v_floor_f32_e32 v1, v1
	s_delay_alu instid0(VALU_DEP_1) | instskip(SKIP_1) | instid1(VALU_DEP_2)
	v_fmamk_f32 v0, v1, 0xcf800000, v0
	v_cvt_u32_f32_e32 v1, v1
	v_cvt_u32_f32_e32 v0, v0
	global_store_b64 v[2:3], v[0:1], off
.LBB15_2034:
	s_mov_b32 s4, 0
.LBB15_2035:
	s_delay_alu instid0(SALU_CYCLE_1)
	s_and_b32 vcc_lo, exec_lo, s4
	s_cbranch_vccz .LBB15_2050
; %bb.2036:
	s_cmp_lt_i32 s2, 27
	s_mov_b32 s4, -1
	s_cbranch_scc1 .LBB15_2042
; %bb.2037:
	s_cmp_gt_i32 s2, 27
	s_cbranch_scc0 .LBB15_2039
; %bb.2038:
	s_wait_xcnt 0x0
	v_cvt_u32_f32_e32 v0, v4
	s_mov_b32 s4, 0
	global_store_b32 v[2:3], v0, off
.LBB15_2039:
	s_and_not1_b32 vcc_lo, exec_lo, s4
	s_cbranch_vccnz .LBB15_2041
; %bb.2040:
	s_wait_xcnt 0x0
	v_cvt_u32_f32_e32 v0, v4
	global_store_b16 v[2:3], v0, off
.LBB15_2041:
	s_mov_b32 s4, 0
.LBB15_2042:
	s_delay_alu instid0(SALU_CYCLE_1)
	s_and_not1_b32 vcc_lo, exec_lo, s4
	s_cbranch_vccnz .LBB15_2050
; %bb.2043:
	s_wait_xcnt 0x0
	v_and_b32_e32 v0, 0x7fffffff, v4
	v_mov_b32_e32 v1, 0x80
	s_mov_b32 s4, exec_lo
	s_delay_alu instid0(VALU_DEP_2)
	v_cmpx_gt_u32_e32 0x43800000, v0
	s_cbranch_execz .LBB15_2049
; %bb.2044:
	v_cmp_lt_u32_e32 vcc_lo, 0x3bffffff, v0
	s_mov_b32 s5, 0
                                        ; implicit-def: $vgpr0
	s_and_saveexec_b32 s6, vcc_lo
	s_delay_alu instid0(SALU_CYCLE_1)
	s_xor_b32 s6, exec_lo, s6
	s_cbranch_execz .LBB15_2193
; %bb.2045:
	v_bfe_u32 v0, v4, 20, 1
	s_mov_b32 s5, exec_lo
	s_delay_alu instid0(VALU_DEP_1) | instskip(NEXT) | instid1(VALU_DEP_1)
	v_add3_u32 v0, v4, v0, 0x487ffff
	v_lshrrev_b32_e32 v0, 20, v0
	s_and_not1_saveexec_b32 s6, s6
	s_cbranch_execnz .LBB15_2194
.LBB15_2046:
	s_or_b32 exec_lo, exec_lo, s6
	v_mov_b32_e32 v1, 0
	s_and_saveexec_b32 s6, s5
.LBB15_2047:
	v_lshrrev_b32_e32 v1, 24, v4
	s_delay_alu instid0(VALU_DEP_1)
	v_and_or_b32 v1, 0x80, v1, v0
.LBB15_2048:
	s_or_b32 exec_lo, exec_lo, s6
.LBB15_2049:
	s_delay_alu instid0(SALU_CYCLE_1)
	s_or_b32 exec_lo, exec_lo, s4
	global_store_b8 v[2:3], v1, off
.LBB15_2050:
	s_mov_b32 s4, 0
.LBB15_2051:
	s_delay_alu instid0(SALU_CYCLE_1)
	s_and_b32 vcc_lo, exec_lo, s4
	s_cbranch_vccz .LBB15_2091
; %bb.2052:
	s_cmp_gt_i32 s2, 22
	s_mov_b32 s3, -1
	s_cbranch_scc0 .LBB15_2084
; %bb.2053:
	s_cmp_lt_i32 s2, 24
	s_cbranch_scc1 .LBB15_2073
; %bb.2054:
	s_cmp_gt_i32 s2, 24
	s_cbranch_scc0 .LBB15_2062
; %bb.2055:
	s_wait_xcnt 0x0
	v_and_b32_e32 v0, 0x7fffffff, v4
	v_mov_b32_e32 v1, 0x80
	s_mov_b32 s3, exec_lo
	s_delay_alu instid0(VALU_DEP_2)
	v_cmpx_gt_u32_e32 0x47800000, v0
	s_cbranch_execz .LBB15_2061
; %bb.2056:
	v_cmp_lt_u32_e32 vcc_lo, 0x37ffffff, v0
	s_mov_b32 s4, 0
                                        ; implicit-def: $vgpr0
	s_and_saveexec_b32 s5, vcc_lo
	s_delay_alu instid0(SALU_CYCLE_1)
	s_xor_b32 s5, exec_lo, s5
	s_cbranch_execz .LBB15_2196
; %bb.2057:
	v_bfe_u32 v0, v4, 21, 1
	s_mov_b32 s4, exec_lo
	s_delay_alu instid0(VALU_DEP_1) | instskip(NEXT) | instid1(VALU_DEP_1)
	v_add3_u32 v0, v4, v0, 0x88fffff
	v_lshrrev_b32_e32 v0, 21, v0
	s_and_not1_saveexec_b32 s5, s5
	s_cbranch_execnz .LBB15_2197
.LBB15_2058:
	s_or_b32 exec_lo, exec_lo, s5
	v_mov_b32_e32 v1, 0
	s_and_saveexec_b32 s5, s4
.LBB15_2059:
	v_lshrrev_b32_e32 v1, 24, v4
	s_delay_alu instid0(VALU_DEP_1)
	v_and_or_b32 v1, 0x80, v1, v0
.LBB15_2060:
	s_or_b32 exec_lo, exec_lo, s5
.LBB15_2061:
	s_delay_alu instid0(SALU_CYCLE_1)
	s_or_b32 exec_lo, exec_lo, s3
	s_mov_b32 s3, 0
	global_store_b8 v[2:3], v1, off
.LBB15_2062:
	s_and_b32 vcc_lo, exec_lo, s3
	s_cbranch_vccz .LBB15_2072
; %bb.2063:
	s_wait_xcnt 0x0
	v_and_b32_e32 v1, 0x7fffffff, v4
	s_mov_b32 s3, exec_lo
                                        ; implicit-def: $vgpr0
	s_delay_alu instid0(VALU_DEP_1)
	v_cmpx_gt_u32_e32 0x43f00000, v1
	s_xor_b32 s3, exec_lo, s3
	s_cbranch_execz .LBB15_2069
; %bb.2064:
	s_mov_b32 s4, exec_lo
                                        ; implicit-def: $vgpr0
	v_cmpx_lt_u32_e32 0x3c7fffff, v1
	s_xor_b32 s4, exec_lo, s4
; %bb.2065:
	v_bfe_u32 v0, v4, 20, 1
	s_delay_alu instid0(VALU_DEP_1) | instskip(NEXT) | instid1(VALU_DEP_1)
	v_add3_u32 v0, v4, v0, 0x407ffff
	v_and_b32_e32 v1, 0xff00000, v0
	v_lshrrev_b32_e32 v0, 20, v0
	s_delay_alu instid0(VALU_DEP_2) | instskip(NEXT) | instid1(VALU_DEP_2)
	v_cmp_ne_u32_e32 vcc_lo, 0x7f00000, v1
	v_cndmask_b32_e32 v0, 0x7e, v0, vcc_lo
; %bb.2066:
	s_and_not1_saveexec_b32 s4, s4
; %bb.2067:
	v_add_f32_e64 v0, 0x46800000, |v4|
; %bb.2068:
	s_or_b32 exec_lo, exec_lo, s4
                                        ; implicit-def: $vgpr1
.LBB15_2069:
	s_and_not1_saveexec_b32 s3, s3
; %bb.2070:
	v_mov_b32_e32 v0, 0x7f
	v_cmp_lt_u32_e32 vcc_lo, 0x7f800000, v1
	s_delay_alu instid0(VALU_DEP_2)
	v_cndmask_b32_e32 v0, 0x7e, v0, vcc_lo
; %bb.2071:
	s_or_b32 exec_lo, exec_lo, s3
	v_lshrrev_b32_e32 v1, 24, v4
	s_delay_alu instid0(VALU_DEP_1)
	v_and_or_b32 v0, 0x80, v1, v0
	global_store_b8 v[2:3], v0, off
.LBB15_2072:
	s_mov_b32 s3, 0
.LBB15_2073:
	s_delay_alu instid0(SALU_CYCLE_1)
	s_and_not1_b32 vcc_lo, exec_lo, s3
	s_cbranch_vccnz .LBB15_2083
; %bb.2074:
	s_wait_xcnt 0x0
	v_and_b32_e32 v1, 0x7fffffff, v4
	s_mov_b32 s3, exec_lo
                                        ; implicit-def: $vgpr0
	s_delay_alu instid0(VALU_DEP_1)
	v_cmpx_gt_u32_e32 0x47800000, v1
	s_xor_b32 s3, exec_lo, s3
	s_cbranch_execz .LBB15_2080
; %bb.2075:
	s_mov_b32 s4, exec_lo
                                        ; implicit-def: $vgpr0
	v_cmpx_lt_u32_e32 0x387fffff, v1
	s_xor_b32 s4, exec_lo, s4
; %bb.2076:
	v_bfe_u32 v0, v4, 21, 1
	s_delay_alu instid0(VALU_DEP_1) | instskip(NEXT) | instid1(VALU_DEP_1)
	v_add3_u32 v0, v4, v0, 0x80fffff
	v_lshrrev_b32_e32 v0, 21, v0
; %bb.2077:
	s_and_not1_saveexec_b32 s4, s4
; %bb.2078:
	v_add_f32_e64 v0, 0x43000000, |v4|
; %bb.2079:
	s_or_b32 exec_lo, exec_lo, s4
                                        ; implicit-def: $vgpr1
.LBB15_2080:
	s_and_not1_saveexec_b32 s3, s3
; %bb.2081:
	v_mov_b32_e32 v0, 0x7f
	v_cmp_lt_u32_e32 vcc_lo, 0x7f800000, v1
	s_delay_alu instid0(VALU_DEP_2)
	v_cndmask_b32_e32 v0, 0x7c, v0, vcc_lo
; %bb.2082:
	s_or_b32 exec_lo, exec_lo, s3
	v_lshrrev_b32_e32 v1, 24, v4
	s_delay_alu instid0(VALU_DEP_1)
	v_and_or_b32 v0, 0x80, v1, v0
	global_store_b8 v[2:3], v0, off
.LBB15_2083:
	s_mov_b32 s3, 0
.LBB15_2084:
	s_delay_alu instid0(SALU_CYCLE_1)
	s_and_not1_b32 vcc_lo, exec_lo, s3
	s_mov_b32 s3, 0
	s_cbranch_vccnz .LBB15_2091
; %bb.2085:
	s_cmp_gt_i32 s2, 14
	s_mov_b32 s3, -1
	s_cbranch_scc0 .LBB15_2089
; %bb.2086:
	s_cmp_eq_u32 s2, 15
	s_mov_b32 s0, -1
	s_cbranch_scc0 .LBB15_2088
; %bb.2087:
	s_wait_xcnt 0x0
	v_bfe_u32 v0, v4, 16, 1
	v_cmp_o_f32_e32 vcc_lo, v4, v4
	s_mov_b32 s0, 0
	s_delay_alu instid0(VALU_DEP_2) | instskip(NEXT) | instid1(VALU_DEP_1)
	v_add3_u32 v0, v4, v0, 0x7fff
	v_lshrrev_b32_e32 v0, 16, v0
	s_delay_alu instid0(VALU_DEP_1)
	v_cndmask_b32_e32 v0, 0x7fc0, v0, vcc_lo
	global_store_b16 v[2:3], v0, off
.LBB15_2088:
	s_mov_b32 s3, 0
.LBB15_2089:
	s_delay_alu instid0(SALU_CYCLE_1)
	s_and_b32 vcc_lo, exec_lo, s3
	s_mov_b32 s3, 0
	s_cbranch_vccz .LBB15_2091
; %bb.2090:
	s_cmp_lg_u32 s2, 11
	s_mov_b32 s3, -1
	s_cselect_b32 s0, -1, 0
.LBB15_2091:
	s_delay_alu instid0(SALU_CYCLE_1)
	s_and_b32 vcc_lo, exec_lo, s0
	s_cbranch_vccnz .LBB15_2195
.LBB15_2092:
	s_mov_b32 s0, 0
	s_branch .LBB15_2133
.LBB15_2093:
	s_and_b32 vcc_lo, exec_lo, s0
	s_cbranch_vccz .LBB15_2016
; %bb.2094:
	s_cmp_lt_i32 s2, 5
	s_mov_b32 s0, -1
	s_cbranch_scc1 .LBB15_2115
; %bb.2095:
	s_cmp_lt_i32 s2, 8
	s_cbranch_scc1 .LBB15_2105
; %bb.2096:
	s_cmp_lt_i32 s2, 9
	s_cbranch_scc1 .LBB15_2102
; %bb.2097:
	s_cmp_gt_i32 s2, 9
	s_cbranch_scc0 .LBB15_2099
; %bb.2098:
	s_wait_xcnt 0x0
	v_cvt_f64_f32_e32 v[6:7], v4
	v_mov_b32_e32 v8, 0
	s_mov_b32 s0, 0
	s_delay_alu instid0(VALU_DEP_1)
	v_mov_b32_e32 v9, v8
	global_store_b128 v[2:3], v[6:9], off
.LBB15_2099:
	s_and_not1_b32 vcc_lo, exec_lo, s0
	s_cbranch_vccnz .LBB15_2101
; %bb.2100:
	s_wait_xcnt 0x0
	v_mov_b32_e32 v5, 0
	global_store_b64 v[2:3], v[4:5], off
.LBB15_2101:
	s_mov_b32 s0, 0
.LBB15_2102:
	s_delay_alu instid0(SALU_CYCLE_1)
	s_and_not1_b32 vcc_lo, exec_lo, s0
	s_cbranch_vccnz .LBB15_2104
; %bb.2103:
	s_wait_xcnt 0x0
	v_cvt_f16_f32_e32 v1, v4
	s_delay_alu instid0(VALU_DEP_1)
	v_and_b32_e32 v1, 0xffff, v1
	global_store_b32 v[2:3], v1, off
.LBB15_2104:
	s_mov_b32 s0, 0
.LBB15_2105:
	s_delay_alu instid0(SALU_CYCLE_1)
	s_and_not1_b32 vcc_lo, exec_lo, s0
	s_cbranch_vccnz .LBB15_2114
; %bb.2106:
	s_cmp_lt_i32 s2, 6
	s_mov_b32 s0, -1
	s_cbranch_scc1 .LBB15_2112
; %bb.2107:
	s_cmp_gt_i32 s2, 6
	s_cbranch_scc0 .LBB15_2109
; %bb.2108:
	s_wait_xcnt 0x0
	v_cvt_f64_f32_e32 v[6:7], v4
	s_mov_b32 s0, 0
	global_store_b64 v[2:3], v[6:7], off
.LBB15_2109:
	s_and_not1_b32 vcc_lo, exec_lo, s0
	s_cbranch_vccnz .LBB15_2111
; %bb.2110:
	global_store_b32 v[2:3], v4, off
.LBB15_2111:
	s_mov_b32 s0, 0
.LBB15_2112:
	s_delay_alu instid0(SALU_CYCLE_1)
	s_and_not1_b32 vcc_lo, exec_lo, s0
	s_cbranch_vccnz .LBB15_2114
; %bb.2113:
	s_wait_xcnt 0x0
	v_cvt_f16_f32_e32 v1, v4
	global_store_b16 v[2:3], v1, off
.LBB15_2114:
	s_mov_b32 s0, 0
.LBB15_2115:
	s_delay_alu instid0(SALU_CYCLE_1)
	s_and_not1_b32 vcc_lo, exec_lo, s0
	s_cbranch_vccnz .LBB15_2131
; %bb.2116:
	s_cmp_lt_i32 s2, 2
	s_mov_b32 s0, -1
	s_cbranch_scc1 .LBB15_2126
; %bb.2117:
	s_cmp_lt_i32 s2, 3
	s_cbranch_scc1 .LBB15_2123
; %bb.2118:
	s_cmp_gt_i32 s2, 3
	s_cbranch_scc0 .LBB15_2120
; %bb.2119:
	s_wait_xcnt 0x0
	v_trunc_f32_e32 v1, v4
	s_mov_b32 s0, 0
	s_delay_alu instid0(VALU_DEP_1) | instskip(SKIP_1) | instid1(VALU_DEP_2)
	v_mul_f32_e64 v5, 0x2f800000, |v1|
	v_ashrrev_i32_e32 v6, 31, v1
	v_floor_f32_e32 v5, v5
	s_delay_alu instid0(VALU_DEP_1) | instskip(SKIP_1) | instid1(VALU_DEP_2)
	v_fma_f32 v7, 0xcf800000, v5, |v1|
	v_cvt_u32_f32_e32 v1, v5
	v_cvt_u32_f32_e32 v5, v7
	s_delay_alu instid0(VALU_DEP_2) | instskip(NEXT) | instid1(VALU_DEP_2)
	v_dual_mov_b32 v7, v6 :: v_dual_bitop2_b32 v9, v1, v6 bitop3:0x14
	v_xor_b32_e32 v8, v5, v6
	s_delay_alu instid0(VALU_DEP_1)
	v_sub_nc_u64_e32 v[6:7], v[8:9], v[6:7]
	global_store_b64 v[2:3], v[6:7], off
.LBB15_2120:
	s_and_not1_b32 vcc_lo, exec_lo, s0
	s_cbranch_vccnz .LBB15_2122
; %bb.2121:
	s_wait_xcnt 0x0
	v_cvt_i32_f32_e32 v1, v4
	global_store_b32 v[2:3], v1, off
.LBB15_2122:
	s_mov_b32 s0, 0
.LBB15_2123:
	s_delay_alu instid0(SALU_CYCLE_1)
	s_and_not1_b32 vcc_lo, exec_lo, s0
	s_cbranch_vccnz .LBB15_2125
; %bb.2124:
	s_wait_xcnt 0x0
	v_cvt_i32_f32_e32 v1, v4
	global_store_b16 v[2:3], v1, off
.LBB15_2125:
	s_mov_b32 s0, 0
.LBB15_2126:
	s_delay_alu instid0(SALU_CYCLE_1)
	s_and_not1_b32 vcc_lo, exec_lo, s0
	s_cbranch_vccnz .LBB15_2131
; %bb.2127:
	s_cmp_gt_i32 s2, 0
	s_mov_b32 s0, -1
	s_cbranch_scc0 .LBB15_2129
; %bb.2128:
	s_wait_xcnt 0x0
	v_cvt_i32_f32_e32 v1, v4
	s_mov_b32 s0, 0
	global_store_b8 v[2:3], v1, off
.LBB15_2129:
	s_and_not1_b32 vcc_lo, exec_lo, s0
	s_cbranch_vccnz .LBB15_2131
; %bb.2130:
	s_wait_xcnt 0x0
	v_trunc_f32_e32 v1, v4
	s_delay_alu instid0(VALU_DEP_1) | instskip(NEXT) | instid1(VALU_DEP_1)
	v_mul_f32_e64 v4, 0x2f800000, |v1|
	v_floor_f32_e32 v4, v4
	s_delay_alu instid0(VALU_DEP_1) | instskip(SKIP_1) | instid1(VALU_DEP_2)
	v_fma_f32 v4, 0xcf800000, v4, |v1|
	v_ashrrev_i32_e32 v1, 31, v1
	v_cvt_u32_f32_e32 v4, v4
	s_delay_alu instid0(VALU_DEP_1) | instskip(NEXT) | instid1(VALU_DEP_1)
	v_xor_b32_e32 v4, v4, v1
	v_sub_nc_u32_e32 v1, v4, v1
	global_store_b8 v[2:3], v1, off
.LBB15_2131:
	s_branch .LBB15_2017
.LBB15_2132:
	s_mov_b32 s0, 0
	s_mov_b32 s3, 0
                                        ; implicit-def: $vgpr2_vgpr3
                                        ; implicit-def: $sgpr1
                                        ; implicit-def: $vgpr4
.LBB15_2133:
	s_and_not1_b32 s2, s8, exec_lo
	s_and_b32 s4, s10, exec_lo
	s_and_b32 s0, s0, exec_lo
	s_and_b32 s30, s3, exec_lo
	s_or_b32 s8, s2, s4
.LBB15_2134:
	s_wait_xcnt 0x0
	s_or_b32 exec_lo, exec_lo, s9
	s_and_saveexec_b32 s2, s8
	s_cbranch_execz .LBB15_2137
; %bb.2135:
	; divergent unreachable
	s_or_b32 exec_lo, exec_lo, s2
	s_and_saveexec_b32 s2, s30
	s_delay_alu instid0(SALU_CYCLE_1)
	s_xor_b32 s2, exec_lo, s2
	s_cbranch_execnz .LBB15_2138
.LBB15_2136:
	s_or_b32 exec_lo, exec_lo, s2
	s_and_saveexec_b32 s2, s0
	s_cbranch_execnz .LBB15_2139
	s_branch .LBB15_2176
.LBB15_2137:
	s_or_b32 exec_lo, exec_lo, s2
	s_and_saveexec_b32 s2, s30
	s_delay_alu instid0(SALU_CYCLE_1)
	s_xor_b32 s2, exec_lo, s2
	s_cbranch_execz .LBB15_2136
.LBB15_2138:
	v_cmp_neq_f32_e32 vcc_lo, 0, v4
	v_cndmask_b32_e64 v0, 0, 1, vcc_lo
	s_wait_loadcnt 0x0
	global_store_b8 v[2:3], v0, off
	s_wait_xcnt 0x0
	s_or_b32 exec_lo, exec_lo, s2
	s_and_saveexec_b32 s2, s0
	s_cbranch_execz .LBB15_2176
.LBB15_2139:
	s_sext_i32_i16 s2, s1
	s_mov_b32 s0, -1
	s_cmp_lt_i32 s2, 5
	s_cbranch_scc1 .LBB15_2160
; %bb.2140:
	s_cmp_lt_i32 s2, 8
	s_cbranch_scc1 .LBB15_2150
; %bb.2141:
	;; [unrolled: 3-line block ×3, first 2 shown]
	s_cmp_gt_i32 s2, 9
	s_cbranch_scc0 .LBB15_2144
; %bb.2143:
	s_wait_loadcnt 0x0
	v_cvt_f64_f32_e32 v[6:7], v4
	v_mov_b32_e32 v8, 0
	s_mov_b32 s0, 0
	s_delay_alu instid0(VALU_DEP_1)
	v_mov_b32_e32 v9, v8
	global_store_b128 v[2:3], v[6:9], off
.LBB15_2144:
	s_and_not1_b32 vcc_lo, exec_lo, s0
	s_cbranch_vccnz .LBB15_2146
; %bb.2145:
	v_mov_b32_e32 v5, 0
	s_wait_loadcnt 0x0
	global_store_b64 v[2:3], v[4:5], off
.LBB15_2146:
	s_mov_b32 s0, 0
.LBB15_2147:
	s_delay_alu instid0(SALU_CYCLE_1)
	s_and_not1_b32 vcc_lo, exec_lo, s0
	s_cbranch_vccnz .LBB15_2149
; %bb.2148:
	v_cvt_f16_f32_e32 v0, v4
	s_delay_alu instid0(VALU_DEP_1)
	v_and_b32_e32 v0, 0xffff, v0
	s_wait_loadcnt 0x0
	global_store_b32 v[2:3], v0, off
.LBB15_2149:
	s_mov_b32 s0, 0
.LBB15_2150:
	s_delay_alu instid0(SALU_CYCLE_1)
	s_and_not1_b32 vcc_lo, exec_lo, s0
	s_cbranch_vccnz .LBB15_2159
; %bb.2151:
	s_sext_i32_i16 s2, s1
	s_mov_b32 s0, -1
	s_cmp_lt_i32 s2, 6
	s_cbranch_scc1 .LBB15_2157
; %bb.2152:
	s_cmp_gt_i32 s2, 6
	s_cbranch_scc0 .LBB15_2154
; %bb.2153:
	s_wait_loadcnt 0x0
	v_cvt_f64_f32_e32 v[0:1], v4
	s_mov_b32 s0, 0
	global_store_b64 v[2:3], v[0:1], off
.LBB15_2154:
	s_and_not1_b32 vcc_lo, exec_lo, s0
	s_cbranch_vccnz .LBB15_2156
; %bb.2155:
	s_wait_loadcnt 0x0
	global_store_b32 v[2:3], v4, off
.LBB15_2156:
	s_mov_b32 s0, 0
.LBB15_2157:
	s_delay_alu instid0(SALU_CYCLE_1)
	s_and_not1_b32 vcc_lo, exec_lo, s0
	s_cbranch_vccnz .LBB15_2159
; %bb.2158:
	s_wait_xcnt 0x0
	v_cvt_f16_f32_e32 v0, v4
	s_wait_loadcnt 0x0
	global_store_b16 v[2:3], v0, off
.LBB15_2159:
	s_mov_b32 s0, 0
.LBB15_2160:
	s_delay_alu instid0(SALU_CYCLE_1)
	s_and_not1_b32 vcc_lo, exec_lo, s0
	s_cbranch_vccnz .LBB15_2176
; %bb.2161:
	s_sext_i32_i16 s2, s1
	s_mov_b32 s0, -1
	s_cmp_lt_i32 s2, 2
	s_cbranch_scc1 .LBB15_2171
; %bb.2162:
	s_cmp_lt_i32 s2, 3
	s_cbranch_scc1 .LBB15_2168
; %bb.2163:
	s_cmp_gt_i32 s2, 3
	s_cbranch_scc0 .LBB15_2165
; %bb.2164:
	s_wait_xcnt 0x0
	v_trunc_f32_e32 v0, v4
	s_mov_b32 s0, 0
	s_wait_loadcnt 0x0
	s_delay_alu instid0(VALU_DEP_1) | instskip(NEXT) | instid1(VALU_DEP_1)
	v_mul_f32_e64 v1, 0x2f800000, |v0|
	v_floor_f32_e32 v1, v1
	s_delay_alu instid0(VALU_DEP_1) | instskip(SKIP_2) | instid1(VALU_DEP_3)
	v_fma_f32 v5, 0xcf800000, v1, |v0|
	v_ashrrev_i32_e32 v0, 31, v0
	v_cvt_u32_f32_e32 v6, v1
	v_cvt_u32_f32_e32 v5, v5
	s_delay_alu instid0(VALU_DEP_2) | instskip(NEXT) | instid1(VALU_DEP_2)
	v_dual_mov_b32 v1, v0 :: v_dual_bitop2_b32 v7, v6, v0 bitop3:0x14
	v_xor_b32_e32 v6, v5, v0
	s_delay_alu instid0(VALU_DEP_1)
	v_sub_nc_u64_e32 v[0:1], v[6:7], v[0:1]
	global_store_b64 v[2:3], v[0:1], off
.LBB15_2165:
	s_and_not1_b32 vcc_lo, exec_lo, s0
	s_cbranch_vccnz .LBB15_2167
; %bb.2166:
	s_wait_xcnt 0x0
	v_cvt_i32_f32_e32 v0, v4
	s_wait_loadcnt 0x0
	global_store_b32 v[2:3], v0, off
.LBB15_2167:
	s_mov_b32 s0, 0
.LBB15_2168:
	s_delay_alu instid0(SALU_CYCLE_1)
	s_and_not1_b32 vcc_lo, exec_lo, s0
	s_cbranch_vccnz .LBB15_2170
; %bb.2169:
	s_wait_xcnt 0x0
	v_cvt_i32_f32_e32 v0, v4
	s_wait_loadcnt 0x0
	global_store_b16 v[2:3], v0, off
.LBB15_2170:
	s_mov_b32 s0, 0
.LBB15_2171:
	s_delay_alu instid0(SALU_CYCLE_1)
	s_and_not1_b32 vcc_lo, exec_lo, s0
	s_cbranch_vccnz .LBB15_2176
; %bb.2172:
	s_sext_i32_i16 s0, s1
	s_delay_alu instid0(SALU_CYCLE_1)
	s_cmp_gt_i32 s0, 0
	s_mov_b32 s0, -1
	s_cbranch_scc0 .LBB15_2174
; %bb.2173:
	s_wait_xcnt 0x0
	v_cvt_i32_f32_e32 v0, v4
	s_mov_b32 s0, 0
	s_wait_loadcnt 0x0
	global_store_b8 v[2:3], v0, off
.LBB15_2174:
	s_and_not1_b32 vcc_lo, exec_lo, s0
	s_cbranch_vccnz .LBB15_2176
; %bb.2175:
	s_wait_xcnt 0x0
	v_trunc_f32_e32 v0, v4
	s_wait_loadcnt 0x0
	s_delay_alu instid0(VALU_DEP_1) | instskip(NEXT) | instid1(VALU_DEP_1)
	v_mul_f32_e64 v1, 0x2f800000, |v0|
	v_floor_f32_e32 v1, v1
	s_delay_alu instid0(VALU_DEP_1) | instskip(SKIP_1) | instid1(VALU_DEP_2)
	v_fma_f32 v1, 0xcf800000, v1, |v0|
	v_ashrrev_i32_e32 v0, 31, v0
	v_cvt_u32_f32_e32 v1, v1
	s_delay_alu instid0(VALU_DEP_1) | instskip(NEXT) | instid1(VALU_DEP_1)
	v_xor_b32_e32 v1, v1, v0
	v_sub_nc_u32_e32 v0, v1, v0
	global_store_b8 v[2:3], v0, off
	s_endpgm
.LBB15_2176:
	s_endpgm
.LBB15_2177:
	s_or_b32 s10, s10, exec_lo
	s_trap 2
	s_cbranch_execz .LBB15_1646
	s_branch .LBB15_1647
.LBB15_2178:
	s_and_not1_saveexec_b32 s11, s11
	s_cbranch_execz .LBB15_1730
.LBB15_2179:
	v_add_f32_e64 v1, 0x46000000, |v8|
	s_and_not1_b32 s7, s7, exec_lo
	s_delay_alu instid0(VALU_DEP_1) | instskip(NEXT) | instid1(VALU_DEP_1)
	v_and_b32_e32 v1, 0xff, v1
	v_cmp_ne_u32_e32 vcc_lo, 0, v1
	s_and_b32 s12, vcc_lo, exec_lo
	s_delay_alu instid0(SALU_CYCLE_1)
	s_or_b32 s7, s7, s12
	s_or_b32 exec_lo, exec_lo, s11
	v_mov_b32_e32 v5, 0
	s_and_saveexec_b32 s11, s7
	s_cbranch_execnz .LBB15_1731
	s_branch .LBB15_1732
.LBB15_2180:
	s_or_b32 s10, s10, exec_lo
	s_trap 2
	s_cbranch_execz .LBB15_1778
	s_branch .LBB15_1779
.LBB15_2181:
	s_and_not1_saveexec_b32 s7, s7
	s_cbranch_execz .LBB15_1743
.LBB15_2182:
	v_add_f32_e64 v1, 0x42800000, |v8|
	s_and_not1_b32 s6, s6, exec_lo
	s_delay_alu instid0(VALU_DEP_1) | instskip(NEXT) | instid1(VALU_DEP_1)
	v_and_b32_e32 v1, 0xff, v1
	v_cmp_ne_u32_e32 vcc_lo, 0, v1
	s_and_b32 s11, vcc_lo, exec_lo
	s_delay_alu instid0(SALU_CYCLE_1)
	s_or_b32 s6, s6, s11
	s_or_b32 exec_lo, exec_lo, s7
	v_mov_b32_e32 v5, 0
	s_and_saveexec_b32 s7, s6
	s_cbranch_execnz .LBB15_1744
	s_branch .LBB15_1745
.LBB15_2183:
	s_and_not1_saveexec_b32 s11, s11
	s_cbranch_execz .LBB15_1848
.LBB15_2184:
	v_add_f32_e64 v1, 0x46000000, |v6|
	s_and_not1_b32 s7, s7, exec_lo
	s_delay_alu instid0(VALU_DEP_1) | instskip(NEXT) | instid1(VALU_DEP_1)
	v_and_b32_e32 v1, 0xff, v1
	v_cmp_ne_u32_e32 vcc_lo, 0, v1
	s_and_b32 s12, vcc_lo, exec_lo
	s_delay_alu instid0(SALU_CYCLE_1)
	s_or_b32 s7, s7, s12
	s_or_b32 exec_lo, exec_lo, s11
	v_mov_b32_e32 v3, 0
	s_and_saveexec_b32 s11, s7
	s_cbranch_execnz .LBB15_1849
	s_branch .LBB15_1850
.LBB15_2185:
	s_or_b32 s10, s10, exec_lo
	s_trap 2
	s_cbranch_execz .LBB15_1896
	s_branch .LBB15_1897
.LBB15_2186:
	s_and_not1_saveexec_b32 s7, s7
	s_cbranch_execz .LBB15_1861
.LBB15_2187:
	v_add_f32_e64 v1, 0x42800000, |v6|
	s_and_not1_b32 s6, s6, exec_lo
	s_delay_alu instid0(VALU_DEP_1) | instskip(NEXT) | instid1(VALU_DEP_1)
	v_and_b32_e32 v1, 0xff, v1
	v_cmp_ne_u32_e32 vcc_lo, 0, v1
	s_and_b32 s11, vcc_lo, exec_lo
	s_delay_alu instid0(SALU_CYCLE_1)
	s_or_b32 s6, s6, s11
	s_or_b32 exec_lo, exec_lo, s7
	v_mov_b32_e32 v3, 0
	s_and_saveexec_b32 s7, s6
	s_cbranch_execnz .LBB15_1862
	s_branch .LBB15_1863
.LBB15_2188:
	s_and_not1_saveexec_b32 s11, s11
	s_cbranch_execz .LBB15_1966
.LBB15_2189:
	v_add_f32_e64 v1, 0x46000000, |v4|
	s_and_not1_b32 s7, s7, exec_lo
	s_delay_alu instid0(VALU_DEP_1) | instskip(NEXT) | instid1(VALU_DEP_1)
	v_and_b32_e32 v1, 0xff, v1
	v_cmp_ne_u32_e32 vcc_lo, 0, v1
	s_and_b32 s12, vcc_lo, exec_lo
	s_delay_alu instid0(SALU_CYCLE_1)
	s_or_b32 s7, s7, s12
	s_or_b32 exec_lo, exec_lo, s11
	v_mov_b32_e32 v5, 0
	s_and_saveexec_b32 s11, s7
	s_cbranch_execnz .LBB15_1967
	s_branch .LBB15_1968
.LBB15_2190:
	s_or_b32 s10, s10, exec_lo
	s_trap 2
	s_cbranch_execz .LBB15_2014
	s_branch .LBB15_2015
.LBB15_2191:
	s_and_not1_saveexec_b32 s7, s7
	s_cbranch_execz .LBB15_1979
.LBB15_2192:
	v_add_f32_e64 v1, 0x42800000, |v4|
	s_and_not1_b32 s6, s6, exec_lo
	s_delay_alu instid0(VALU_DEP_1) | instskip(NEXT) | instid1(VALU_DEP_1)
	v_and_b32_e32 v1, 0xff, v1
	v_cmp_ne_u32_e32 vcc_lo, 0, v1
	s_and_b32 s11, vcc_lo, exec_lo
	s_delay_alu instid0(SALU_CYCLE_1)
	s_or_b32 s6, s6, s11
	s_or_b32 exec_lo, exec_lo, s7
	v_mov_b32_e32 v5, 0
	s_and_saveexec_b32 s7, s6
	s_cbranch_execnz .LBB15_1980
	s_branch .LBB15_1981
.LBB15_2193:
	s_and_not1_saveexec_b32 s6, s6
	s_cbranch_execz .LBB15_2046
.LBB15_2194:
	v_add_f32_e64 v0, 0x46000000, |v4|
	s_and_not1_b32 s5, s5, exec_lo
	s_delay_alu instid0(VALU_DEP_1) | instskip(NEXT) | instid1(VALU_DEP_1)
	v_and_b32_e32 v0, 0xff, v0
	v_cmp_ne_u32_e32 vcc_lo, 0, v0
	s_and_b32 s7, vcc_lo, exec_lo
	s_delay_alu instid0(SALU_CYCLE_1)
	s_or_b32 s5, s5, s7
	s_or_b32 exec_lo, exec_lo, s6
	v_mov_b32_e32 v1, 0
	s_and_saveexec_b32 s6, s5
	s_cbranch_execnz .LBB15_2047
	s_branch .LBB15_2048
.LBB15_2195:
	s_mov_b32 s3, 0
	s_or_b32 s10, s10, exec_lo
	s_trap 2
	s_branch .LBB15_2092
.LBB15_2196:
	s_and_not1_saveexec_b32 s5, s5
	s_cbranch_execz .LBB15_2058
.LBB15_2197:
	v_add_f32_e64 v0, 0x42800000, |v4|
	s_and_not1_b32 s4, s4, exec_lo
	s_delay_alu instid0(VALU_DEP_1) | instskip(NEXT) | instid1(VALU_DEP_1)
	v_and_b32_e32 v0, 0xff, v0
	v_cmp_ne_u32_e32 vcc_lo, 0, v0
	s_and_b32 s6, vcc_lo, exec_lo
	s_delay_alu instid0(SALU_CYCLE_1)
	s_or_b32 s4, s4, s6
	s_or_b32 exec_lo, exec_lo, s5
	v_mov_b32_e32 v1, 0
	s_and_saveexec_b32 s5, s4
	s_cbranch_execnz .LBB15_2059
	s_branch .LBB15_2060
	.section	.rodata,"a",@progbits
	.p2align	6, 0x0
	.amdhsa_kernel _ZN2at6native32elementwise_kernel_manual_unrollILi128ELi4EZNS0_15gpu_kernel_implIZZZNS0_15sin_kernel_cudaERNS_18TensorIteratorBaseEENKUlvE0_clEvENKUlvE0_clEvEUlfE_EEvS4_RKT_EUlibE0_EEviT1_
		.amdhsa_group_segment_fixed_size 0
		.amdhsa_private_segment_fixed_size 0
		.amdhsa_kernarg_size 360
		.amdhsa_user_sgpr_count 2
		.amdhsa_user_sgpr_dispatch_ptr 0
		.amdhsa_user_sgpr_queue_ptr 0
		.amdhsa_user_sgpr_kernarg_segment_ptr 1
		.amdhsa_user_sgpr_dispatch_id 0
		.amdhsa_user_sgpr_kernarg_preload_length 0
		.amdhsa_user_sgpr_kernarg_preload_offset 0
		.amdhsa_user_sgpr_private_segment_size 0
		.amdhsa_wavefront_size32 1
		.amdhsa_uses_dynamic_stack 0
		.amdhsa_enable_private_segment 0
		.amdhsa_system_sgpr_workgroup_id_x 1
		.amdhsa_system_sgpr_workgroup_id_y 0
		.amdhsa_system_sgpr_workgroup_id_z 0
		.amdhsa_system_sgpr_workgroup_info 0
		.amdhsa_system_vgpr_workitem_id 0
		.amdhsa_next_free_vgpr 36
		.amdhsa_next_free_sgpr 68
		.amdhsa_named_barrier_count 0
		.amdhsa_reserve_vcc 1
		.amdhsa_float_round_mode_32 0
		.amdhsa_float_round_mode_16_64 0
		.amdhsa_float_denorm_mode_32 3
		.amdhsa_float_denorm_mode_16_64 3
		.amdhsa_fp16_overflow 0
		.amdhsa_memory_ordered 1
		.amdhsa_forward_progress 1
		.amdhsa_inst_pref_size 255
		.amdhsa_round_robin_scheduling 0
		.amdhsa_exception_fp_ieee_invalid_op 0
		.amdhsa_exception_fp_denorm_src 0
		.amdhsa_exception_fp_ieee_div_zero 0
		.amdhsa_exception_fp_ieee_overflow 0
		.amdhsa_exception_fp_ieee_underflow 0
		.amdhsa_exception_fp_ieee_inexact 0
		.amdhsa_exception_int_div_zero 0
	.end_amdhsa_kernel
	.section	.text._ZN2at6native32elementwise_kernel_manual_unrollILi128ELi4EZNS0_15gpu_kernel_implIZZZNS0_15sin_kernel_cudaERNS_18TensorIteratorBaseEENKUlvE0_clEvENKUlvE0_clEvEUlfE_EEvS4_RKT_EUlibE0_EEviT1_,"axG",@progbits,_ZN2at6native32elementwise_kernel_manual_unrollILi128ELi4EZNS0_15gpu_kernel_implIZZZNS0_15sin_kernel_cudaERNS_18TensorIteratorBaseEENKUlvE0_clEvENKUlvE0_clEvEUlfE_EEvS4_RKT_EUlibE0_EEviT1_,comdat
.Lfunc_end15:
	.size	_ZN2at6native32elementwise_kernel_manual_unrollILi128ELi4EZNS0_15gpu_kernel_implIZZZNS0_15sin_kernel_cudaERNS_18TensorIteratorBaseEENKUlvE0_clEvENKUlvE0_clEvEUlfE_EEvS4_RKT_EUlibE0_EEviT1_, .Lfunc_end15-_ZN2at6native32elementwise_kernel_manual_unrollILi128ELi4EZNS0_15gpu_kernel_implIZZZNS0_15sin_kernel_cudaERNS_18TensorIteratorBaseEENKUlvE0_clEvENKUlvE0_clEvEUlfE_EEvS4_RKT_EUlibE0_EEviT1_
                                        ; -- End function
	.set _ZN2at6native32elementwise_kernel_manual_unrollILi128ELi4EZNS0_15gpu_kernel_implIZZZNS0_15sin_kernel_cudaERNS_18TensorIteratorBaseEENKUlvE0_clEvENKUlvE0_clEvEUlfE_EEvS4_RKT_EUlibE0_EEviT1_.num_vgpr, 36
	.set _ZN2at6native32elementwise_kernel_manual_unrollILi128ELi4EZNS0_15gpu_kernel_implIZZZNS0_15sin_kernel_cudaERNS_18TensorIteratorBaseEENKUlvE0_clEvENKUlvE0_clEvEUlfE_EEvS4_RKT_EUlibE0_EEviT1_.num_agpr, 0
	.set _ZN2at6native32elementwise_kernel_manual_unrollILi128ELi4EZNS0_15gpu_kernel_implIZZZNS0_15sin_kernel_cudaERNS_18TensorIteratorBaseEENKUlvE0_clEvENKUlvE0_clEvEUlfE_EEvS4_RKT_EUlibE0_EEviT1_.numbered_sgpr, 68
	.set _ZN2at6native32elementwise_kernel_manual_unrollILi128ELi4EZNS0_15gpu_kernel_implIZZZNS0_15sin_kernel_cudaERNS_18TensorIteratorBaseEENKUlvE0_clEvENKUlvE0_clEvEUlfE_EEvS4_RKT_EUlibE0_EEviT1_.num_named_barrier, 0
	.set _ZN2at6native32elementwise_kernel_manual_unrollILi128ELi4EZNS0_15gpu_kernel_implIZZZNS0_15sin_kernel_cudaERNS_18TensorIteratorBaseEENKUlvE0_clEvENKUlvE0_clEvEUlfE_EEvS4_RKT_EUlibE0_EEviT1_.private_seg_size, 0
	.set _ZN2at6native32elementwise_kernel_manual_unrollILi128ELi4EZNS0_15gpu_kernel_implIZZZNS0_15sin_kernel_cudaERNS_18TensorIteratorBaseEENKUlvE0_clEvENKUlvE0_clEvEUlfE_EEvS4_RKT_EUlibE0_EEviT1_.uses_vcc, 1
	.set _ZN2at6native32elementwise_kernel_manual_unrollILi128ELi4EZNS0_15gpu_kernel_implIZZZNS0_15sin_kernel_cudaERNS_18TensorIteratorBaseEENKUlvE0_clEvENKUlvE0_clEvEUlfE_EEvS4_RKT_EUlibE0_EEviT1_.uses_flat_scratch, 0
	.set _ZN2at6native32elementwise_kernel_manual_unrollILi128ELi4EZNS0_15gpu_kernel_implIZZZNS0_15sin_kernel_cudaERNS_18TensorIteratorBaseEENKUlvE0_clEvENKUlvE0_clEvEUlfE_EEvS4_RKT_EUlibE0_EEviT1_.has_dyn_sized_stack, 0
	.set _ZN2at6native32elementwise_kernel_manual_unrollILi128ELi4EZNS0_15gpu_kernel_implIZZZNS0_15sin_kernel_cudaERNS_18TensorIteratorBaseEENKUlvE0_clEvENKUlvE0_clEvEUlfE_EEvS4_RKT_EUlibE0_EEviT1_.has_recursion, 0
	.set _ZN2at6native32elementwise_kernel_manual_unrollILi128ELi4EZNS0_15gpu_kernel_implIZZZNS0_15sin_kernel_cudaERNS_18TensorIteratorBaseEENKUlvE0_clEvENKUlvE0_clEvEUlfE_EEvS4_RKT_EUlibE0_EEviT1_.has_indirect_call, 0
	.section	.AMDGPU.csdata,"",@progbits
; Kernel info:
; codeLenInByte = 50756
; TotalNumSgprs: 70
; NumVgprs: 36
; ScratchSize: 0
; MemoryBound: 1
; FloatMode: 240
; IeeeMode: 1
; LDSByteSize: 0 bytes/workgroup (compile time only)
; SGPRBlocks: 0
; VGPRBlocks: 2
; NumSGPRsForWavesPerEU: 70
; NumVGPRsForWavesPerEU: 36
; NamedBarCnt: 0
; Occupancy: 16
; WaveLimiterHint : 1
; COMPUTE_PGM_RSRC2:SCRATCH_EN: 0
; COMPUTE_PGM_RSRC2:USER_SGPR: 2
; COMPUTE_PGM_RSRC2:TRAP_HANDLER: 0
; COMPUTE_PGM_RSRC2:TGID_X_EN: 1
; COMPUTE_PGM_RSRC2:TGID_Y_EN: 0
; COMPUTE_PGM_RSRC2:TGID_Z_EN: 0
; COMPUTE_PGM_RSRC2:TIDIG_COMP_CNT: 0
	.text
	.p2align	2                               ; -- Begin function _ZN2at6native25elementwise_kernel_helperILb0EZZZNS0_15sin_kernel_cudaERNS_18TensorIteratorBaseEENKUlvE0_clEvENKUlvE1_clEvEUlN3c104HalfEE_NS0_6memory8policies11unroll_baseILi256ESt5arrayIPcLm2EE23TrivialOffsetCalculatorILi1EjESG_NS9_15LoadWithoutCastENS9_16StoreWithoutCastELi8ELi1EEEEEvT0_T1_
	.type	_ZN2at6native25elementwise_kernel_helperILb0EZZZNS0_15sin_kernel_cudaERNS_18TensorIteratorBaseEENKUlvE0_clEvENKUlvE1_clEvEUlN3c104HalfEE_NS0_6memory8policies11unroll_baseILi256ESt5arrayIPcLm2EE23TrivialOffsetCalculatorILi1EjESG_NS9_15LoadWithoutCastENS9_16StoreWithoutCastELi8ELi1EEEEEvT0_T1_,@function
_ZN2at6native25elementwise_kernel_helperILb0EZZZNS0_15sin_kernel_cudaERNS_18TensorIteratorBaseEENKUlvE0_clEvENKUlvE1_clEvEUlN3c104HalfEE_NS0_6memory8policies11unroll_baseILi256ESt5arrayIPcLm2EE23TrivialOffsetCalculatorILi1EjESG_NS9_15LoadWithoutCastENS9_16StoreWithoutCastELi8ELi1EEEEEvT0_T1_: ; @_ZN2at6native25elementwise_kernel_helperILb0EZZZNS0_15sin_kernel_cudaERNS_18TensorIteratorBaseEENKUlvE0_clEvENKUlvE1_clEvEUlN3c104HalfEE_NS0_6memory8policies11unroll_baseILi256ESt5arrayIPcLm2EE23TrivialOffsetCalculatorILi1EjESG_NS9_15LoadWithoutCastENS9_16StoreWithoutCastELi8ELi1EEEEEvT0_T1_
; %bb.0:
	s_wait_loadcnt_dscnt 0x0
	s_wait_kmcnt 0x0
	s_bfe_u32 s0, ttmp6, 0x4000c
	s_and_b32 s1, ttmp6, 15
	s_add_co_i32 s0, s0, 1
	s_getreg_b32 s2, hwreg(HW_REG_IB_STS2, 6, 4)
	s_mul_i32 s0, ttmp9, s0
	v_and_b32_e32 v5, 0x3ff, v31
	s_add_co_i32 s1, s1, s0
	s_cmp_eq_u32 s2, 0
	v_mov_b32_e32 v15, 0
	s_cselect_b32 s0, ttmp9, s1
	v_cmp_lt_i32_e32 vcc_lo, v5, v4
	s_lshl_b32 s3, s0, 11
	s_delay_alu instid0(SALU_CYCLE_1)
	v_dual_mov_b32 v12, 0 :: v_dual_bitop2_b32 v6, s3, v5 bitop3:0x54
	v_add_nc_u32_e32 v8, 0x100, v5
	v_mov_b32_e32 v16, v5
	s_and_saveexec_b32 s0, vcc_lo
	s_cbranch_execz .LBB16_2
; %bb.1:
	v_dual_mov_b32 v7, 0 :: v_dual_add_nc_u32 v16, 0x100, v5
	s_delay_alu instid0(VALU_DEP_1)
	v_lshl_add_u64 v[10:11], v[6:7], 1, v[2:3]
	flat_load_u16 v7, v[10:11]
	s_wait_loadcnt_dscnt 0x0
	v_cvt_f32_f16_e32 v15, v7
.LBB16_2:
	s_wait_xcnt 0x0
	s_or_b32 exec_lo, exec_lo, s0
	s_delay_alu instid0(SALU_CYCLE_1)
	s_mov_b32 s1, exec_lo
	v_cmpx_lt_i32_e64 v16, v4
	s_cbranch_execz .LBB16_4
; %bb.3:
	v_dual_mov_b32 v11, 0 :: v_dual_add_nc_u32 v10, s3, v16
	v_add_nc_u32_e32 v16, 0x100, v16
	s_delay_alu instid0(VALU_DEP_2)
	v_lshl_add_u64 v[10:11], v[10:11], 1, v[2:3]
	flat_load_u16 v7, v[10:11]
	s_wait_loadcnt_dscnt 0x0
	v_cvt_f32_f16_e32 v12, v7
.LBB16_4:
	s_wait_xcnt 0x0
	s_or_b32 exec_lo, exec_lo, s1
	v_dual_mov_b32 v13, 0 :: v_dual_mov_b32 v14, 0
	s_mov_b32 s1, exec_lo
	v_cmpx_lt_i32_e64 v16, v4
	s_cbranch_execz .LBB16_6
; %bb.5:
	v_dual_mov_b32 v11, 0 :: v_dual_add_nc_u32 v10, s3, v16
	v_add_nc_u32_e32 v16, 0x100, v16
	s_delay_alu instid0(VALU_DEP_2)
	v_lshl_add_u64 v[10:11], v[10:11], 1, v[2:3]
	flat_load_u16 v7, v[10:11]
	s_wait_loadcnt_dscnt 0x0
	v_cvt_f32_f16_e32 v14, v7
.LBB16_6:
	s_wait_xcnt 0x0
	s_or_b32 exec_lo, exec_lo, s1
	s_delay_alu instid0(SALU_CYCLE_1)
	s_mov_b32 s1, exec_lo
	v_cmpx_lt_i32_e64 v16, v4
	s_cbranch_execz .LBB16_8
; %bb.7:
	v_dual_mov_b32 v11, 0 :: v_dual_add_nc_u32 v10, s3, v16
	v_add_nc_u32_e32 v16, 0x100, v16
	s_delay_alu instid0(VALU_DEP_2)
	v_lshl_add_u64 v[10:11], v[10:11], 1, v[2:3]
	flat_load_u16 v7, v[10:11]
	s_wait_loadcnt_dscnt 0x0
	v_cvt_f32_f16_e32 v13, v7
.LBB16_8:
	s_wait_xcnt 0x0
	s_or_b32 exec_lo, exec_lo, s1
	v_dual_mov_b32 v10, 0 :: v_dual_mov_b32 v11, 0
	s_mov_b32 s1, exec_lo
	v_cmpx_lt_i32_e64 v16, v4
	s_cbranch_execz .LBB16_10
; %bb.9:
	v_dual_mov_b32 v19, 0 :: v_dual_add_nc_u32 v18, s3, v16
	v_add_nc_u32_e32 v16, 0x100, v16
	s_delay_alu instid0(VALU_DEP_2)
	v_lshl_add_u64 v[18:19], v[18:19], 1, v[2:3]
	flat_load_u16 v7, v[18:19]
	s_wait_loadcnt_dscnt 0x0
	v_cvt_f32_f16_e32 v11, v7
.LBB16_10:
	s_wait_xcnt 0x0
	s_or_b32 exec_lo, exec_lo, s1
	s_delay_alu instid0(SALU_CYCLE_1)
	s_mov_b32 s1, exec_lo
	v_cmpx_lt_i32_e64 v16, v4
	s_cbranch_execz .LBB16_12
; %bb.11:
	v_dual_mov_b32 v19, 0 :: v_dual_add_nc_u32 v18, s3, v16
	v_add_nc_u32_e32 v16, 0x100, v16
	s_delay_alu instid0(VALU_DEP_2)
	v_lshl_add_u64 v[18:19], v[18:19], 1, v[2:3]
	flat_load_u16 v7, v[18:19]
	s_wait_loadcnt_dscnt 0x0
	v_cvt_f32_f16_e32 v10, v7
.LBB16_12:
	s_wait_xcnt 0x0
	s_or_b32 exec_lo, exec_lo, s1
	v_dual_mov_b32 v7, 0 :: v_dual_mov_b32 v9, 0
	s_mov_b32 s1, exec_lo
	v_cmpx_lt_i32_e64 v16, v4
	s_cbranch_execz .LBB16_16
; %bb.13:
	v_dual_mov_b32 v19, 0 :: v_dual_add_nc_u32 v18, s3, v16
	v_add_nc_u32_e32 v16, 0x100, v16
	s_delay_alu instid0(VALU_DEP_2)
	v_lshl_add_u64 v[18:19], v[18:19], 1, v[2:3]
	flat_load_u16 v9, v[18:19]
	s_wait_loadcnt_dscnt 0x0
	v_cvt_f32_f16_e32 v9, v9
	s_wait_xcnt 0x0
	s_or_b32 exec_lo, exec_lo, s1
	s_delay_alu instid0(SALU_CYCLE_1)
	s_mov_b32 s1, exec_lo
	v_cmpx_lt_i32_e64 v16, v4
	s_cbranch_execnz .LBB16_17
.LBB16_14:
	s_or_b32 exec_lo, exec_lo, s1
                                        ; implicit-def: $vgpr2
	s_and_saveexec_b32 s4, vcc_lo
	s_cbranch_execnz .LBB16_18
.LBB16_15:
	s_or_b32 exec_lo, exec_lo, s4
	s_delay_alu instid0(SALU_CYCLE_1)
	s_mov_b32 s4, exec_lo
                                        ; implicit-def: $vgpr3
	v_cmpx_lt_i32_e64 v8, v4
	s_cbranch_execz .LBB16_28
	s_branch .LBB16_23
.LBB16_16:
	s_or_b32 exec_lo, exec_lo, s1
	s_delay_alu instid0(SALU_CYCLE_1)
	s_mov_b32 s1, exec_lo
	v_cmpx_lt_i32_e64 v16, v4
	s_cbranch_execz .LBB16_14
.LBB16_17:
	v_dual_mov_b32 v17, 0 :: v_dual_add_nc_u32 v16, s3, v16
	s_delay_alu instid0(VALU_DEP_1)
	v_lshl_add_u64 v[2:3], v[16:17], 1, v[2:3]
	flat_load_u16 v2, v[2:3]
	s_wait_loadcnt_dscnt 0x0
	v_cvt_f32_f16_e32 v7, v2
	s_wait_xcnt 0x0
	s_or_b32 exec_lo, exec_lo, s1
                                        ; implicit-def: $vgpr2
	s_and_saveexec_b32 s4, vcc_lo
	s_cbranch_execz .LBB16_15
.LBB16_18:
	v_and_b32_e32 v2, 0x7fffffff, v15
                                        ; implicit-def: $vgpr16
                                        ; implicit-def: $vgpr3
	s_mov_b32 s1, exec_lo
	v_cmpx_ngt_f32_e64 0x48000000, |v15|
	s_xor_b32 s5, exec_lo, s1
	s_cbranch_execz .LBB16_20
; %bb.19:
	s_mov_b32 s0, 0x7fffff
	v_mov_b32_e32 v17, 0
	v_and_or_b32 v16, v2, s0, 0x800000
	s_mov_b64 s[0:1], 0xfe5163ab
	v_lshrrev_b32_e32 v3, 23, v2
	s_delay_alu instid0(VALU_DEP_2) | instskip(NEXT) | instid1(VALU_DEP_1)
	v_mul_u64_e32 v[18:19], s[0:1], v[16:17]
	v_dual_mov_b32 v20, v19 :: v_dual_mov_b32 v21, v17
	v_dual_mov_b32 v23, v17 :: v_dual_mov_b32 v25, v17
	;; [unrolled: 1-line block ×3, first 2 shown]
	s_delay_alu instid0(VALU_DEP_3) | instskip(NEXT) | instid1(VALU_DEP_1)
	v_mad_nc_u64_u32 v[20:21], 0x3c439041, v16, v[20:21]
	v_mov_b32_e32 v22, v21
	s_delay_alu instid0(VALU_DEP_1) | instskip(NEXT) | instid1(VALU_DEP_1)
	v_mad_nc_u64_u32 v[22:23], 0xdb629599, v16, v[22:23]
	v_mov_b32_e32 v24, v23
	s_delay_alu instid0(VALU_DEP_1) | instskip(NEXT) | instid1(VALU_DEP_1)
	;; [unrolled: 3-line block ×3, first 2 shown]
	v_mad_nc_u64_u32 v[26:27], 0xfc2757d1, v16, v[26:27]
	v_dual_mov_b32 v29, v17 :: v_dual_mov_b32 v28, v27
	s_delay_alu instid0(VALU_DEP_1) | instskip(NEXT) | instid1(VALU_DEP_1)
	v_mad_nc_u64_u32 v[28:29], 0x4e441529, v16, v[28:29]
	v_dual_mov_b32 v30, v29 :: v_dual_add_nc_u32 v3, 0xffffff88, v3
	s_delay_alu instid0(VALU_DEP_1) | instskip(NEXT) | instid1(VALU_DEP_2)
	v_cmp_lt_u32_e64 s0, 63, v3
	v_mad_nc_u64_u32 v[16:17], 0xa2f9836e, v16, v[30:31]
	s_delay_alu instid0(VALU_DEP_2) | instskip(SKIP_1) | instid1(VALU_DEP_2)
	v_cndmask_b32_e64 v19, 0, 0xffffffc0, s0
	v_dual_cndmask_b32 v21, v28, v24, s0 :: v_dual_cndmask_b32 v18, v22, v18, s0
	v_add_nc_u32_e32 v3, v19, v3
	s_delay_alu instid0(VALU_DEP_1) | instskip(SKIP_1) | instid1(VALU_DEP_2)
	v_cmp_lt_u32_e64 s1, 31, v3
	v_dual_cndmask_b32 v16, v16, v26, s0 :: v_dual_cndmask_b32 v17, v17, v28, s0
	v_cndmask_b32_e64 v19, 0, 0xffffffe0, s1
	s_delay_alu instid0(VALU_DEP_1) | instskip(NEXT) | instid1(VALU_DEP_1)
	v_add_nc_u32_e32 v3, v19, v3
	v_cmp_lt_u32_e64 s2, 31, v3
	s_delay_alu instid0(VALU_DEP_1) | instskip(NEXT) | instid1(VALU_DEP_1)
	v_cndmask_b32_e64 v19, 0, 0xffffffe0, s2
	v_dual_cndmask_b32 v23, v26, v22, s0 :: v_dual_add_nc_u32 v3, v19, v3
	v_cndmask_b32_e64 v19, v24, v20, s0
	v_dual_cndmask_b32 v20, v16, v21, s1 :: v_dual_cndmask_b32 v16, v17, v16, s1
	s_delay_alu instid0(VALU_DEP_3) | instskip(NEXT) | instid1(VALU_DEP_4)
	v_cndmask_b32_e64 v17, v21, v23, s1
	v_sub_nc_u32_e32 v21, 32, v3
	s_delay_alu instid0(VALU_DEP_4) | instskip(SKIP_2) | instid1(VALU_DEP_3)
	v_cndmask_b32_e64 v23, v23, v19, s1
	v_cmp_eq_u32_e64 s0, 0, v3
	v_cndmask_b32_e64 v16, v16, v20, s2
	v_dual_cndmask_b32 v20, v20, v17, s2 :: v_dual_cndmask_b32 v17, v17, v23, s2
	s_delay_alu instid0(VALU_DEP_1) | instskip(NEXT) | instid1(VALU_DEP_2)
	v_alignbit_b32 v24, v16, v20, v21
	v_alignbit_b32 v22, v20, v17, v21
	s_delay_alu instid0(VALU_DEP_2) | instskip(NEXT) | instid1(VALU_DEP_1)
	v_dual_cndmask_b32 v3, v24, v16, s0 :: v_dual_cndmask_b32 v16, v19, v18, s1
	v_bfe_u32 v19, v3, 29, 1
	s_delay_alu instid0(VALU_DEP_1) | instskip(NEXT) | instid1(VALU_DEP_1)
	v_dual_cndmask_b32 v18, v22, v20, s0 :: v_dual_sub_nc_u32 v22, 0, v19
	v_alignbit_b32 v20, v3, v18, 30
	s_delay_alu instid0(VALU_DEP_1) | instskip(NEXT) | instid1(VALU_DEP_1)
	v_dual_cndmask_b32 v16, v23, v16, s2 :: v_dual_bitop2_b32 v20, v20, v22 bitop3:0x14
	v_alignbit_b32 v21, v17, v16, v21
	s_delay_alu instid0(VALU_DEP_1) | instskip(NEXT) | instid1(VALU_DEP_3)
	v_cndmask_b32_e64 v17, v21, v17, s0
	v_clz_i32_u32_e32 v21, v20
	s_delay_alu instid0(VALU_DEP_2) | instskip(NEXT) | instid1(VALU_DEP_2)
	v_alignbit_b32 v16, v17, v16, 30
	v_min_u32_e32 v21, 32, v21
	s_delay_alu instid0(VALU_DEP_2) | instskip(SKIP_1) | instid1(VALU_DEP_1)
	v_xor_b32_e32 v16, v16, v22
	v_alignbit_b32 v18, v18, v17, 30
	v_dual_lshlrev_b32 v23, 23, v21 :: v_dual_bitop2_b32 v17, v18, v22 bitop3:0x14
	v_dual_sub_nc_u32 v18, 31, v21 :: v_dual_lshrrev_b32 v22, 29, v3
	s_delay_alu instid0(VALU_DEP_1) | instskip(SKIP_1) | instid1(VALU_DEP_3)
	v_alignbit_b32 v20, v20, v17, v18
	v_alignbit_b32 v16, v17, v16, v18
	v_lshlrev_b32_e32 v17, 31, v22
	s_delay_alu instid0(VALU_DEP_2) | instskip(NEXT) | instid1(VALU_DEP_2)
	v_alignbit_b32 v18, v20, v16, 9
	v_dual_lshrrev_b32 v20, 9, v20 :: v_dual_bitop2_b32 v22, 0.5, v17 bitop3:0x54
	s_delay_alu instid0(VALU_DEP_2) | instskip(NEXT) | instid1(VALU_DEP_2)
	v_clz_i32_u32_e32 v24, v18
	v_sub_nc_u32_e32 v22, v22, v23
	v_or_b32_e32 v17, 0x33000000, v17
	s_delay_alu instid0(VALU_DEP_3) | instskip(NEXT) | instid1(VALU_DEP_1)
	v_min_u32_e32 v23, 32, v24
	v_add_lshl_u32 v21, v23, v21, 23
	s_delay_alu instid0(VALU_DEP_4) | instskip(SKIP_1) | instid1(VALU_DEP_2)
	v_or_b32_e32 v20, v20, v22
	v_not_b32_e32 v22, v23
	v_dual_mul_f32 v24, 0x3fc90fda, v20 :: v_dual_sub_nc_u32 v17, v17, v21
	s_delay_alu instid0(VALU_DEP_2) | instskip(NEXT) | instid1(VALU_DEP_2)
	v_alignbit_b32 v16, v18, v16, v22
	v_fma_f32 v18, 0x3fc90fda, v20, -v24
	s_delay_alu instid0(VALU_DEP_2) | instskip(NEXT) | instid1(VALU_DEP_2)
	v_lshrrev_b32_e32 v16, 9, v16
	v_fmamk_f32 v18, v20, 0x33a22168, v18
	s_delay_alu instid0(VALU_DEP_2) | instskip(NEXT) | instid1(VALU_DEP_1)
	v_or_b32_e32 v16, v17, v16
	v_fmac_f32_e32 v18, 0x3fc90fda, v16
	s_delay_alu instid0(VALU_DEP_1) | instskip(NEXT) | instid1(VALU_DEP_1)
	v_dual_add_f32 v3, v24, v18 :: v_dual_lshrrev_b32 v16, 30, v3
	v_add_nc_u32_e32 v16, v19, v16
.LBB16_20:
	s_and_not1_saveexec_b32 s0, s5
; %bb.21:
	v_mul_f32_e64 v3, 0x3f22f983, |v15|
	s_delay_alu instid0(VALU_DEP_1) | instskip(NEXT) | instid1(VALU_DEP_1)
	v_rndne_f32_e32 v16, v3
	v_fma_f32 v3, 0xbfc90fda, v16, |v15|
	s_delay_alu instid0(VALU_DEP_1) | instskip(NEXT) | instid1(VALU_DEP_1)
	v_fmamk_f32 v3, v16, 0xb3a22168, v3
	v_fmamk_f32 v3, v16, 0xa7c234c4, v3
	v_cvt_i32_f32_e32 v16, v16
; %bb.22:
	s_or_b32 exec_lo, exec_lo, s0
	s_delay_alu instid0(VALU_DEP_1) | instskip(SKIP_3) | instid1(VALU_DEP_2)
	v_dual_mul_f32 v17, v3, v3 :: v_dual_bitop2_b32 v20, 1, v16 bitop3:0x40
	s_mov_b32 s0, 0xb94c1982
	s_mov_b32 s1, 0x37d75334
	v_lshlrev_b32_e32 v16, 30, v16
	v_fmaak_f32 v18, s0, v17, 0x3c0881c4
	v_cmp_eq_u32_e64 s0, 0, v20
	v_xor_b32_e32 v2, v2, v15
	s_delay_alu instid0(VALU_DEP_4) | instskip(NEXT) | instid1(VALU_DEP_4)
	v_and_b32_e32 v16, 0x80000000, v16
	v_fmaak_f32 v18, v17, v18, 0xbe2aaa9d
	s_delay_alu instid0(VALU_DEP_1) | instskip(NEXT) | instid1(VALU_DEP_1)
	v_dual_fmaak_f32 v19, s1, v17, 0xbab64f3b :: v_dual_mul_f32 v18, v17, v18
	v_fmaak_f32 v19, v17, v19, 0x3d2aabf7
	s_delay_alu instid0(VALU_DEP_2) | instskip(NEXT) | instid1(VALU_DEP_2)
	v_fmac_f32_e32 v3, v3, v18
	v_fmaak_f32 v19, v17, v19, 0xbf000004
	s_delay_alu instid0(VALU_DEP_1) | instskip(NEXT) | instid1(VALU_DEP_1)
	v_fma_f32 v17, v17, v19, 1.0
	v_cndmask_b32_e64 v3, v17, v3, s0
	v_cmp_class_f32_e64 s0, v15, 0x1f8
	s_delay_alu instid0(VALU_DEP_2) | instskip(NEXT) | instid1(VALU_DEP_1)
	v_xor3_b32 v2, v2, v16, v3
	v_cndmask_b32_e64 v2, 0x7fc00000, v2, s0
	s_delay_alu instid0(VALU_DEP_1) | instskip(SKIP_1) | instid1(SALU_CYCLE_1)
	v_cvt_f16_f32_e32 v2, v2
	s_or_b32 exec_lo, exec_lo, s4
	s_mov_b32 s4, exec_lo
                                        ; implicit-def: $vgpr3
	v_cmpx_lt_i32_e64 v8, v4
	s_cbranch_execz .LBB16_28
.LBB16_23:
	v_and_b32_e32 v3, 0x7fffffff, v12
                                        ; implicit-def: $vgpr16
                                        ; implicit-def: $vgpr15
	s_mov_b32 s1, exec_lo
	v_cmpx_ngt_f32_e64 0x48000000, |v12|
	s_xor_b32 s5, exec_lo, s1
	s_cbranch_execz .LBB16_25
; %bb.24:
	s_mov_b32 s0, 0x7fffff
	v_mov_b32_e32 v17, 0
	v_and_or_b32 v16, v3, s0, 0x800000
	s_mov_b64 s[0:1], 0xfe5163ab
	v_lshrrev_b32_e32 v15, 23, v3
	s_delay_alu instid0(VALU_DEP_2) | instskip(NEXT) | instid1(VALU_DEP_1)
	v_mul_u64_e32 v[18:19], s[0:1], v[16:17]
	v_dual_mov_b32 v20, v19 :: v_dual_mov_b32 v21, v17
	v_dual_mov_b32 v23, v17 :: v_dual_mov_b32 v25, v17
	;; [unrolled: 1-line block ×3, first 2 shown]
	s_delay_alu instid0(VALU_DEP_3) | instskip(NEXT) | instid1(VALU_DEP_1)
	v_mad_nc_u64_u32 v[20:21], 0x3c439041, v16, v[20:21]
	v_mov_b32_e32 v22, v21
	s_delay_alu instid0(VALU_DEP_1) | instskip(NEXT) | instid1(VALU_DEP_1)
	v_mad_nc_u64_u32 v[22:23], 0xdb629599, v16, v[22:23]
	v_mov_b32_e32 v24, v23
	s_delay_alu instid0(VALU_DEP_1) | instskip(NEXT) | instid1(VALU_DEP_1)
	v_mad_nc_u64_u32 v[24:25], 0xf534ddc0, v16, v[24:25]
	v_mov_b32_e32 v26, v25
	s_delay_alu instid0(VALU_DEP_1) | instskip(NEXT) | instid1(VALU_DEP_1)
	v_mad_nc_u64_u32 v[26:27], 0xfc2757d1, v16, v[26:27]
	v_dual_mov_b32 v29, v17 :: v_dual_mov_b32 v28, v27
	s_delay_alu instid0(VALU_DEP_1) | instskip(NEXT) | instid1(VALU_DEP_1)
	v_mad_nc_u64_u32 v[28:29], 0x4e441529, v16, v[28:29]
	v_dual_mov_b32 v30, v29 :: v_dual_add_nc_u32 v15, 0xffffff88, v15
	s_delay_alu instid0(VALU_DEP_1) | instskip(NEXT) | instid1(VALU_DEP_2)
	v_cmp_lt_u32_e64 s0, 63, v15
	v_mad_nc_u64_u32 v[16:17], 0xa2f9836e, v16, v[30:31]
	s_delay_alu instid0(VALU_DEP_2) | instskip(SKIP_1) | instid1(VALU_DEP_2)
	v_cndmask_b32_e64 v19, 0, 0xffffffc0, s0
	v_dual_cndmask_b32 v21, v28, v24, s0 :: v_dual_cndmask_b32 v18, v22, v18, s0
	v_add_nc_u32_e32 v15, v19, v15
	s_delay_alu instid0(VALU_DEP_1) | instskip(SKIP_1) | instid1(VALU_DEP_2)
	v_cmp_lt_u32_e64 s1, 31, v15
	v_dual_cndmask_b32 v16, v16, v26, s0 :: v_dual_cndmask_b32 v17, v17, v28, s0
	v_cndmask_b32_e64 v19, 0, 0xffffffe0, s1
	s_delay_alu instid0(VALU_DEP_1) | instskip(NEXT) | instid1(VALU_DEP_1)
	v_add_nc_u32_e32 v15, v19, v15
	v_cmp_lt_u32_e64 s2, 31, v15
	s_delay_alu instid0(VALU_DEP_1) | instskip(NEXT) | instid1(VALU_DEP_1)
	v_cndmask_b32_e64 v19, 0, 0xffffffe0, s2
	v_dual_cndmask_b32 v23, v26, v22, s0 :: v_dual_add_nc_u32 v15, v19, v15
	v_cndmask_b32_e64 v19, v24, v20, s0
	v_dual_cndmask_b32 v20, v16, v21, s1 :: v_dual_cndmask_b32 v16, v17, v16, s1
	s_delay_alu instid0(VALU_DEP_3) | instskip(NEXT) | instid1(VALU_DEP_4)
	v_cndmask_b32_e64 v17, v21, v23, s1
	v_sub_nc_u32_e32 v21, 32, v15
	s_delay_alu instid0(VALU_DEP_4) | instskip(SKIP_2) | instid1(VALU_DEP_3)
	v_cndmask_b32_e64 v23, v23, v19, s1
	v_cmp_eq_u32_e64 s0, 0, v15
	v_cndmask_b32_e64 v16, v16, v20, s2
	v_dual_cndmask_b32 v20, v20, v17, s2 :: v_dual_cndmask_b32 v17, v17, v23, s2
	s_delay_alu instid0(VALU_DEP_1) | instskip(NEXT) | instid1(VALU_DEP_2)
	v_alignbit_b32 v24, v16, v20, v21
	v_alignbit_b32 v22, v20, v17, v21
	s_delay_alu instid0(VALU_DEP_2) | instskip(NEXT) | instid1(VALU_DEP_1)
	v_dual_cndmask_b32 v15, v24, v16, s0 :: v_dual_cndmask_b32 v16, v19, v18, s1
	v_bfe_u32 v19, v15, 29, 1
	s_delay_alu instid0(VALU_DEP_1) | instskip(NEXT) | instid1(VALU_DEP_1)
	v_dual_cndmask_b32 v18, v22, v20, s0 :: v_dual_sub_nc_u32 v22, 0, v19
	v_alignbit_b32 v20, v15, v18, 30
	s_delay_alu instid0(VALU_DEP_1) | instskip(NEXT) | instid1(VALU_DEP_1)
	v_dual_cndmask_b32 v16, v23, v16, s2 :: v_dual_bitop2_b32 v20, v20, v22 bitop3:0x14
	v_alignbit_b32 v21, v17, v16, v21
	s_delay_alu instid0(VALU_DEP_1) | instskip(NEXT) | instid1(VALU_DEP_3)
	v_cndmask_b32_e64 v17, v21, v17, s0
	v_clz_i32_u32_e32 v21, v20
	s_delay_alu instid0(VALU_DEP_2) | instskip(NEXT) | instid1(VALU_DEP_2)
	v_alignbit_b32 v16, v17, v16, 30
	v_min_u32_e32 v21, 32, v21
	s_delay_alu instid0(VALU_DEP_2) | instskip(SKIP_1) | instid1(VALU_DEP_1)
	v_xor_b32_e32 v16, v16, v22
	v_alignbit_b32 v18, v18, v17, 30
	v_dual_lshlrev_b32 v23, 23, v21 :: v_dual_bitop2_b32 v17, v18, v22 bitop3:0x14
	v_dual_sub_nc_u32 v18, 31, v21 :: v_dual_lshrrev_b32 v22, 29, v15
	s_delay_alu instid0(VALU_DEP_1) | instskip(SKIP_1) | instid1(VALU_DEP_3)
	v_alignbit_b32 v20, v20, v17, v18
	v_alignbit_b32 v16, v17, v16, v18
	v_lshlrev_b32_e32 v17, 31, v22
	s_delay_alu instid0(VALU_DEP_2) | instskip(NEXT) | instid1(VALU_DEP_2)
	v_alignbit_b32 v18, v20, v16, 9
	v_dual_lshrrev_b32 v20, 9, v20 :: v_dual_bitop2_b32 v22, 0.5, v17 bitop3:0x54
	s_delay_alu instid0(VALU_DEP_2) | instskip(NEXT) | instid1(VALU_DEP_2)
	v_clz_i32_u32_e32 v24, v18
	v_sub_nc_u32_e32 v22, v22, v23
	v_or_b32_e32 v17, 0x33000000, v17
	s_delay_alu instid0(VALU_DEP_3) | instskip(NEXT) | instid1(VALU_DEP_1)
	v_min_u32_e32 v23, 32, v24
	v_add_lshl_u32 v21, v23, v21, 23
	s_delay_alu instid0(VALU_DEP_4) | instskip(SKIP_1) | instid1(VALU_DEP_2)
	v_or_b32_e32 v20, v20, v22
	v_not_b32_e32 v22, v23
	v_dual_mul_f32 v24, 0x3fc90fda, v20 :: v_dual_sub_nc_u32 v17, v17, v21
	s_delay_alu instid0(VALU_DEP_2) | instskip(NEXT) | instid1(VALU_DEP_2)
	v_alignbit_b32 v16, v18, v16, v22
	v_fma_f32 v18, 0x3fc90fda, v20, -v24
	s_delay_alu instid0(VALU_DEP_2) | instskip(NEXT) | instid1(VALU_DEP_2)
	v_lshrrev_b32_e32 v16, 9, v16
	v_fmamk_f32 v18, v20, 0x33a22168, v18
	s_delay_alu instid0(VALU_DEP_2) | instskip(NEXT) | instid1(VALU_DEP_1)
	v_or_b32_e32 v16, v17, v16
	v_fmac_f32_e32 v18, 0x3fc90fda, v16
	s_delay_alu instid0(VALU_DEP_1) | instskip(NEXT) | instid1(VALU_DEP_1)
	v_dual_add_f32 v15, v24, v18 :: v_dual_lshrrev_b32 v16, 30, v15
	v_add_nc_u32_e32 v16, v19, v16
.LBB16_25:
	s_and_not1_saveexec_b32 s0, s5
; %bb.26:
	v_mul_f32_e64 v15, 0x3f22f983, |v12|
	s_delay_alu instid0(VALU_DEP_1) | instskip(NEXT) | instid1(VALU_DEP_1)
	v_rndne_f32_e32 v16, v15
	v_fma_f32 v15, 0xbfc90fda, v16, |v12|
	s_delay_alu instid0(VALU_DEP_1) | instskip(NEXT) | instid1(VALU_DEP_1)
	v_fmamk_f32 v15, v16, 0xb3a22168, v15
	v_fmamk_f32 v15, v16, 0xa7c234c4, v15
	v_cvt_i32_f32_e32 v16, v16
; %bb.27:
	s_or_b32 exec_lo, exec_lo, s0
	s_delay_alu instid0(VALU_DEP_1) | instskip(SKIP_3) | instid1(VALU_DEP_2)
	v_dual_mul_f32 v17, v15, v15 :: v_dual_bitop2_b32 v20, 1, v16 bitop3:0x40
	s_mov_b32 s0, 0xb94c1982
	s_mov_b32 s1, 0x37d75334
	v_lshlrev_b32_e32 v16, 30, v16
	v_fmaak_f32 v18, s0, v17, 0x3c0881c4
	v_cmp_eq_u32_e64 s0, 0, v20
	v_xor_b32_e32 v3, v3, v12
	s_delay_alu instid0(VALU_DEP_4) | instskip(NEXT) | instid1(VALU_DEP_4)
	v_and_b32_e32 v16, 0x80000000, v16
	v_fmaak_f32 v18, v17, v18, 0xbe2aaa9d
	s_delay_alu instid0(VALU_DEP_1) | instskip(NEXT) | instid1(VALU_DEP_1)
	v_dual_fmaak_f32 v19, s1, v17, 0xbab64f3b :: v_dual_mul_f32 v18, v17, v18
	v_fmaak_f32 v19, v17, v19, 0x3d2aabf7
	s_delay_alu instid0(VALU_DEP_2) | instskip(NEXT) | instid1(VALU_DEP_2)
	v_fmac_f32_e32 v15, v15, v18
	v_fmaak_f32 v19, v17, v19, 0xbf000004
	s_delay_alu instid0(VALU_DEP_1) | instskip(NEXT) | instid1(VALU_DEP_1)
	v_fma_f32 v17, v17, v19, 1.0
	v_cndmask_b32_e64 v15, v17, v15, s0
	v_cmp_class_f32_e64 s0, v12, 0x1f8
	s_delay_alu instid0(VALU_DEP_2) | instskip(NEXT) | instid1(VALU_DEP_1)
	v_xor3_b32 v3, v3, v16, v15
	v_cndmask_b32_e64 v3, 0x7fc00000, v3, s0
	s_delay_alu instid0(VALU_DEP_1)
	v_cvt_f16_f32_e32 v3, v3
.LBB16_28:
	s_or_b32 exec_lo, exec_lo, s4
	v_add_nc_u32_e32 v12, 0x200, v5
	s_delay_alu instid0(VALU_DEP_1)
	v_cmp_lt_i32_e64 s0, v12, v4
                                        ; implicit-def: $vgpr12
	s_and_saveexec_b32 s4, s0
	s_cbranch_execz .LBB16_34
; %bb.29:
	v_and_b32_e32 v12, 0x7fffffff, v14
                                        ; implicit-def: $vgpr16
                                        ; implicit-def: $vgpr15
	s_mov_b32 s1, exec_lo
	v_cmpx_ngt_f32_e64 0x48000000, |v14|
	s_xor_b32 s5, exec_lo, s1
	s_cbranch_execz .LBB16_31
; %bb.30:
	s_mov_b32 s0, 0x7fffff
	v_mov_b32_e32 v17, 0
	v_and_or_b32 v16, v12, s0, 0x800000
	s_mov_b64 s[0:1], 0xfe5163ab
	v_lshrrev_b32_e32 v15, 23, v12
	s_delay_alu instid0(VALU_DEP_2) | instskip(NEXT) | instid1(VALU_DEP_1)
	v_mul_u64_e32 v[18:19], s[0:1], v[16:17]
	v_dual_mov_b32 v20, v19 :: v_dual_mov_b32 v21, v17
	v_dual_mov_b32 v23, v17 :: v_dual_mov_b32 v25, v17
	;; [unrolled: 1-line block ×3, first 2 shown]
	s_delay_alu instid0(VALU_DEP_3) | instskip(NEXT) | instid1(VALU_DEP_1)
	v_mad_nc_u64_u32 v[20:21], 0x3c439041, v16, v[20:21]
	v_mov_b32_e32 v22, v21
	s_delay_alu instid0(VALU_DEP_1) | instskip(NEXT) | instid1(VALU_DEP_1)
	v_mad_nc_u64_u32 v[22:23], 0xdb629599, v16, v[22:23]
	v_mov_b32_e32 v24, v23
	s_delay_alu instid0(VALU_DEP_1) | instskip(NEXT) | instid1(VALU_DEP_1)
	;; [unrolled: 3-line block ×3, first 2 shown]
	v_mad_nc_u64_u32 v[26:27], 0xfc2757d1, v16, v[26:27]
	v_dual_mov_b32 v29, v17 :: v_dual_mov_b32 v28, v27
	s_delay_alu instid0(VALU_DEP_1) | instskip(NEXT) | instid1(VALU_DEP_1)
	v_mad_nc_u64_u32 v[28:29], 0x4e441529, v16, v[28:29]
	v_dual_mov_b32 v30, v29 :: v_dual_add_nc_u32 v15, 0xffffff88, v15
	s_delay_alu instid0(VALU_DEP_1) | instskip(NEXT) | instid1(VALU_DEP_2)
	v_cmp_lt_u32_e64 s0, 63, v15
	v_mad_nc_u64_u32 v[16:17], 0xa2f9836e, v16, v[30:31]
	s_delay_alu instid0(VALU_DEP_2) | instskip(SKIP_1) | instid1(VALU_DEP_2)
	v_cndmask_b32_e64 v19, 0, 0xffffffc0, s0
	v_dual_cndmask_b32 v21, v28, v24, s0 :: v_dual_cndmask_b32 v18, v22, v18, s0
	v_add_nc_u32_e32 v15, v19, v15
	s_delay_alu instid0(VALU_DEP_1) | instskip(SKIP_1) | instid1(VALU_DEP_2)
	v_cmp_lt_u32_e64 s1, 31, v15
	v_dual_cndmask_b32 v16, v16, v26, s0 :: v_dual_cndmask_b32 v17, v17, v28, s0
	v_cndmask_b32_e64 v19, 0, 0xffffffe0, s1
	s_delay_alu instid0(VALU_DEP_1) | instskip(NEXT) | instid1(VALU_DEP_1)
	v_add_nc_u32_e32 v15, v19, v15
	v_cmp_lt_u32_e64 s2, 31, v15
	s_delay_alu instid0(VALU_DEP_1) | instskip(NEXT) | instid1(VALU_DEP_1)
	v_cndmask_b32_e64 v19, 0, 0xffffffe0, s2
	v_dual_cndmask_b32 v23, v26, v22, s0 :: v_dual_add_nc_u32 v15, v19, v15
	v_cndmask_b32_e64 v19, v24, v20, s0
	v_dual_cndmask_b32 v20, v16, v21, s1 :: v_dual_cndmask_b32 v16, v17, v16, s1
	s_delay_alu instid0(VALU_DEP_3) | instskip(NEXT) | instid1(VALU_DEP_4)
	v_cndmask_b32_e64 v17, v21, v23, s1
	v_sub_nc_u32_e32 v21, 32, v15
	s_delay_alu instid0(VALU_DEP_4) | instskip(SKIP_2) | instid1(VALU_DEP_3)
	v_cndmask_b32_e64 v23, v23, v19, s1
	v_cmp_eq_u32_e64 s0, 0, v15
	v_cndmask_b32_e64 v16, v16, v20, s2
	v_dual_cndmask_b32 v20, v20, v17, s2 :: v_dual_cndmask_b32 v17, v17, v23, s2
	s_delay_alu instid0(VALU_DEP_1) | instskip(NEXT) | instid1(VALU_DEP_2)
	v_alignbit_b32 v24, v16, v20, v21
	v_alignbit_b32 v22, v20, v17, v21
	s_delay_alu instid0(VALU_DEP_2) | instskip(NEXT) | instid1(VALU_DEP_1)
	v_dual_cndmask_b32 v15, v24, v16, s0 :: v_dual_cndmask_b32 v16, v19, v18, s1
	v_bfe_u32 v19, v15, 29, 1
	s_delay_alu instid0(VALU_DEP_1) | instskip(NEXT) | instid1(VALU_DEP_1)
	v_dual_cndmask_b32 v18, v22, v20, s0 :: v_dual_sub_nc_u32 v22, 0, v19
	v_alignbit_b32 v20, v15, v18, 30
	s_delay_alu instid0(VALU_DEP_1) | instskip(NEXT) | instid1(VALU_DEP_1)
	v_dual_cndmask_b32 v16, v23, v16, s2 :: v_dual_bitop2_b32 v20, v20, v22 bitop3:0x14
	v_alignbit_b32 v21, v17, v16, v21
	s_delay_alu instid0(VALU_DEP_1) | instskip(NEXT) | instid1(VALU_DEP_3)
	v_cndmask_b32_e64 v17, v21, v17, s0
	v_clz_i32_u32_e32 v21, v20
	s_delay_alu instid0(VALU_DEP_2) | instskip(NEXT) | instid1(VALU_DEP_2)
	v_alignbit_b32 v16, v17, v16, 30
	v_min_u32_e32 v21, 32, v21
	s_delay_alu instid0(VALU_DEP_2) | instskip(SKIP_1) | instid1(VALU_DEP_1)
	v_xor_b32_e32 v16, v16, v22
	v_alignbit_b32 v18, v18, v17, 30
	v_dual_lshlrev_b32 v23, 23, v21 :: v_dual_bitop2_b32 v17, v18, v22 bitop3:0x14
	v_dual_sub_nc_u32 v18, 31, v21 :: v_dual_lshrrev_b32 v22, 29, v15
	s_delay_alu instid0(VALU_DEP_1) | instskip(SKIP_1) | instid1(VALU_DEP_3)
	v_alignbit_b32 v20, v20, v17, v18
	v_alignbit_b32 v16, v17, v16, v18
	v_lshlrev_b32_e32 v17, 31, v22
	s_delay_alu instid0(VALU_DEP_2) | instskip(NEXT) | instid1(VALU_DEP_2)
	v_alignbit_b32 v18, v20, v16, 9
	v_dual_lshrrev_b32 v20, 9, v20 :: v_dual_bitop2_b32 v22, 0.5, v17 bitop3:0x54
	s_delay_alu instid0(VALU_DEP_2) | instskip(NEXT) | instid1(VALU_DEP_2)
	v_clz_i32_u32_e32 v24, v18
	v_sub_nc_u32_e32 v22, v22, v23
	v_or_b32_e32 v17, 0x33000000, v17
	s_delay_alu instid0(VALU_DEP_3) | instskip(NEXT) | instid1(VALU_DEP_1)
	v_min_u32_e32 v23, 32, v24
	v_add_lshl_u32 v21, v23, v21, 23
	s_delay_alu instid0(VALU_DEP_4) | instskip(SKIP_1) | instid1(VALU_DEP_2)
	v_or_b32_e32 v20, v20, v22
	v_not_b32_e32 v22, v23
	v_dual_mul_f32 v24, 0x3fc90fda, v20 :: v_dual_sub_nc_u32 v17, v17, v21
	s_delay_alu instid0(VALU_DEP_2) | instskip(NEXT) | instid1(VALU_DEP_2)
	v_alignbit_b32 v16, v18, v16, v22
	v_fma_f32 v18, 0x3fc90fda, v20, -v24
	s_delay_alu instid0(VALU_DEP_2) | instskip(NEXT) | instid1(VALU_DEP_2)
	v_lshrrev_b32_e32 v16, 9, v16
	v_fmamk_f32 v18, v20, 0x33a22168, v18
	s_delay_alu instid0(VALU_DEP_2) | instskip(NEXT) | instid1(VALU_DEP_1)
	v_or_b32_e32 v16, v17, v16
	v_fmac_f32_e32 v18, 0x3fc90fda, v16
	s_delay_alu instid0(VALU_DEP_1) | instskip(NEXT) | instid1(VALU_DEP_1)
	v_dual_add_f32 v15, v24, v18 :: v_dual_lshrrev_b32 v16, 30, v15
	v_add_nc_u32_e32 v16, v19, v16
.LBB16_31:
	s_and_not1_saveexec_b32 s0, s5
; %bb.32:
	v_mul_f32_e64 v15, 0x3f22f983, |v14|
	s_delay_alu instid0(VALU_DEP_1) | instskip(NEXT) | instid1(VALU_DEP_1)
	v_rndne_f32_e32 v16, v15
	v_fma_f32 v15, 0xbfc90fda, v16, |v14|
	s_delay_alu instid0(VALU_DEP_1) | instskip(NEXT) | instid1(VALU_DEP_1)
	v_fmamk_f32 v15, v16, 0xb3a22168, v15
	v_fmamk_f32 v15, v16, 0xa7c234c4, v15
	v_cvt_i32_f32_e32 v16, v16
; %bb.33:
	s_or_b32 exec_lo, exec_lo, s0
	s_delay_alu instid0(VALU_DEP_1) | instskip(SKIP_3) | instid1(VALU_DEP_2)
	v_dual_mul_f32 v17, v15, v15 :: v_dual_bitop2_b32 v20, 1, v16 bitop3:0x40
	s_mov_b32 s0, 0xb94c1982
	s_mov_b32 s1, 0x37d75334
	v_lshlrev_b32_e32 v16, 30, v16
	v_fmaak_f32 v18, s0, v17, 0x3c0881c4
	v_cmp_eq_u32_e64 s0, 0, v20
	v_xor_b32_e32 v12, v12, v14
	s_delay_alu instid0(VALU_DEP_4) | instskip(NEXT) | instid1(VALU_DEP_4)
	v_and_b32_e32 v16, 0x80000000, v16
	v_fmaak_f32 v18, v17, v18, 0xbe2aaa9d
	s_delay_alu instid0(VALU_DEP_1) | instskip(NEXT) | instid1(VALU_DEP_1)
	v_dual_fmaak_f32 v19, s1, v17, 0xbab64f3b :: v_dual_mul_f32 v18, v17, v18
	v_fmaak_f32 v19, v17, v19, 0x3d2aabf7
	s_delay_alu instid0(VALU_DEP_2) | instskip(NEXT) | instid1(VALU_DEP_2)
	v_fmac_f32_e32 v15, v15, v18
	v_fmaak_f32 v19, v17, v19, 0xbf000004
	s_delay_alu instid0(VALU_DEP_1) | instskip(NEXT) | instid1(VALU_DEP_1)
	v_fma_f32 v17, v17, v19, 1.0
	v_cndmask_b32_e64 v15, v17, v15, s0
	v_cmp_class_f32_e64 s0, v14, 0x1f8
	s_delay_alu instid0(VALU_DEP_2) | instskip(NEXT) | instid1(VALU_DEP_1)
	v_xor3_b32 v12, v12, v16, v15
	v_cndmask_b32_e64 v12, 0x7fc00000, v12, s0
	s_delay_alu instid0(VALU_DEP_1)
	v_cvt_f16_f32_e32 v12, v12
.LBB16_34:
	s_or_b32 exec_lo, exec_lo, s4
	v_add_nc_u32_e32 v14, 0x300, v5
	s_delay_alu instid0(VALU_DEP_1)
	v_cmp_lt_i32_e64 s0, v14, v4
                                        ; implicit-def: $vgpr14
	s_and_saveexec_b32 s4, s0
	s_cbranch_execz .LBB16_40
; %bb.35:
	v_and_b32_e32 v14, 0x7fffffff, v13
                                        ; implicit-def: $vgpr16
                                        ; implicit-def: $vgpr15
	s_mov_b32 s1, exec_lo
	v_cmpx_ngt_f32_e64 0x48000000, |v13|
	s_xor_b32 s5, exec_lo, s1
	s_cbranch_execz .LBB16_37
; %bb.36:
	s_mov_b32 s0, 0x7fffff
	v_mov_b32_e32 v17, 0
	v_and_or_b32 v16, v14, s0, 0x800000
	s_mov_b64 s[0:1], 0xfe5163ab
	v_lshrrev_b32_e32 v15, 23, v14
	s_delay_alu instid0(VALU_DEP_2) | instskip(NEXT) | instid1(VALU_DEP_1)
	v_mul_u64_e32 v[18:19], s[0:1], v[16:17]
	v_dual_mov_b32 v20, v19 :: v_dual_mov_b32 v21, v17
	v_dual_mov_b32 v23, v17 :: v_dual_mov_b32 v25, v17
	;; [unrolled: 1-line block ×3, first 2 shown]
	s_delay_alu instid0(VALU_DEP_3) | instskip(NEXT) | instid1(VALU_DEP_1)
	v_mad_nc_u64_u32 v[20:21], 0x3c439041, v16, v[20:21]
	v_mov_b32_e32 v22, v21
	s_delay_alu instid0(VALU_DEP_1) | instskip(NEXT) | instid1(VALU_DEP_1)
	v_mad_nc_u64_u32 v[22:23], 0xdb629599, v16, v[22:23]
	v_mov_b32_e32 v24, v23
	s_delay_alu instid0(VALU_DEP_1) | instskip(NEXT) | instid1(VALU_DEP_1)
	;; [unrolled: 3-line block ×3, first 2 shown]
	v_mad_nc_u64_u32 v[26:27], 0xfc2757d1, v16, v[26:27]
	v_dual_mov_b32 v29, v17 :: v_dual_mov_b32 v28, v27
	s_delay_alu instid0(VALU_DEP_1) | instskip(NEXT) | instid1(VALU_DEP_1)
	v_mad_nc_u64_u32 v[28:29], 0x4e441529, v16, v[28:29]
	v_dual_mov_b32 v30, v29 :: v_dual_add_nc_u32 v15, 0xffffff88, v15
	s_delay_alu instid0(VALU_DEP_1) | instskip(NEXT) | instid1(VALU_DEP_2)
	v_cmp_lt_u32_e64 s0, 63, v15
	v_mad_nc_u64_u32 v[16:17], 0xa2f9836e, v16, v[30:31]
	s_delay_alu instid0(VALU_DEP_2) | instskip(SKIP_1) | instid1(VALU_DEP_2)
	v_cndmask_b32_e64 v19, 0, 0xffffffc0, s0
	v_dual_cndmask_b32 v21, v28, v24, s0 :: v_dual_cndmask_b32 v18, v22, v18, s0
	v_add_nc_u32_e32 v15, v19, v15
	s_delay_alu instid0(VALU_DEP_1) | instskip(SKIP_1) | instid1(VALU_DEP_2)
	v_cmp_lt_u32_e64 s1, 31, v15
	v_dual_cndmask_b32 v16, v16, v26, s0 :: v_dual_cndmask_b32 v17, v17, v28, s0
	v_cndmask_b32_e64 v19, 0, 0xffffffe0, s1
	s_delay_alu instid0(VALU_DEP_1) | instskip(NEXT) | instid1(VALU_DEP_1)
	v_add_nc_u32_e32 v15, v19, v15
	v_cmp_lt_u32_e64 s2, 31, v15
	s_delay_alu instid0(VALU_DEP_1) | instskip(NEXT) | instid1(VALU_DEP_1)
	v_cndmask_b32_e64 v19, 0, 0xffffffe0, s2
	v_dual_cndmask_b32 v23, v26, v22, s0 :: v_dual_add_nc_u32 v15, v19, v15
	v_cndmask_b32_e64 v19, v24, v20, s0
	v_dual_cndmask_b32 v20, v16, v21, s1 :: v_dual_cndmask_b32 v16, v17, v16, s1
	s_delay_alu instid0(VALU_DEP_3) | instskip(NEXT) | instid1(VALU_DEP_4)
	v_cndmask_b32_e64 v17, v21, v23, s1
	v_sub_nc_u32_e32 v21, 32, v15
	s_delay_alu instid0(VALU_DEP_4) | instskip(SKIP_2) | instid1(VALU_DEP_3)
	v_cndmask_b32_e64 v23, v23, v19, s1
	v_cmp_eq_u32_e64 s0, 0, v15
	v_cndmask_b32_e64 v16, v16, v20, s2
	v_dual_cndmask_b32 v20, v20, v17, s2 :: v_dual_cndmask_b32 v17, v17, v23, s2
	s_delay_alu instid0(VALU_DEP_1) | instskip(NEXT) | instid1(VALU_DEP_2)
	v_alignbit_b32 v24, v16, v20, v21
	v_alignbit_b32 v22, v20, v17, v21
	s_delay_alu instid0(VALU_DEP_2) | instskip(NEXT) | instid1(VALU_DEP_1)
	v_dual_cndmask_b32 v15, v24, v16, s0 :: v_dual_cndmask_b32 v16, v19, v18, s1
	v_bfe_u32 v19, v15, 29, 1
	s_delay_alu instid0(VALU_DEP_1) | instskip(NEXT) | instid1(VALU_DEP_1)
	v_dual_cndmask_b32 v18, v22, v20, s0 :: v_dual_sub_nc_u32 v22, 0, v19
	v_alignbit_b32 v20, v15, v18, 30
	s_delay_alu instid0(VALU_DEP_1) | instskip(NEXT) | instid1(VALU_DEP_1)
	v_dual_cndmask_b32 v16, v23, v16, s2 :: v_dual_bitop2_b32 v20, v20, v22 bitop3:0x14
	v_alignbit_b32 v21, v17, v16, v21
	s_delay_alu instid0(VALU_DEP_1) | instskip(NEXT) | instid1(VALU_DEP_3)
	v_cndmask_b32_e64 v17, v21, v17, s0
	v_clz_i32_u32_e32 v21, v20
	s_delay_alu instid0(VALU_DEP_2) | instskip(NEXT) | instid1(VALU_DEP_2)
	v_alignbit_b32 v16, v17, v16, 30
	v_min_u32_e32 v21, 32, v21
	s_delay_alu instid0(VALU_DEP_2) | instskip(SKIP_1) | instid1(VALU_DEP_1)
	v_xor_b32_e32 v16, v16, v22
	v_alignbit_b32 v18, v18, v17, 30
	v_dual_lshlrev_b32 v23, 23, v21 :: v_dual_bitop2_b32 v17, v18, v22 bitop3:0x14
	v_dual_sub_nc_u32 v18, 31, v21 :: v_dual_lshrrev_b32 v22, 29, v15
	s_delay_alu instid0(VALU_DEP_1) | instskip(SKIP_1) | instid1(VALU_DEP_3)
	v_alignbit_b32 v20, v20, v17, v18
	v_alignbit_b32 v16, v17, v16, v18
	v_lshlrev_b32_e32 v17, 31, v22
	s_delay_alu instid0(VALU_DEP_2) | instskip(NEXT) | instid1(VALU_DEP_2)
	v_alignbit_b32 v18, v20, v16, 9
	v_dual_lshrrev_b32 v20, 9, v20 :: v_dual_bitop2_b32 v22, 0.5, v17 bitop3:0x54
	s_delay_alu instid0(VALU_DEP_2) | instskip(NEXT) | instid1(VALU_DEP_2)
	v_clz_i32_u32_e32 v24, v18
	v_sub_nc_u32_e32 v22, v22, v23
	v_or_b32_e32 v17, 0x33000000, v17
	s_delay_alu instid0(VALU_DEP_3) | instskip(NEXT) | instid1(VALU_DEP_1)
	v_min_u32_e32 v23, 32, v24
	v_add_lshl_u32 v21, v23, v21, 23
	s_delay_alu instid0(VALU_DEP_4) | instskip(SKIP_1) | instid1(VALU_DEP_2)
	v_or_b32_e32 v20, v20, v22
	v_not_b32_e32 v22, v23
	v_dual_mul_f32 v24, 0x3fc90fda, v20 :: v_dual_sub_nc_u32 v17, v17, v21
	s_delay_alu instid0(VALU_DEP_2) | instskip(NEXT) | instid1(VALU_DEP_2)
	v_alignbit_b32 v16, v18, v16, v22
	v_fma_f32 v18, 0x3fc90fda, v20, -v24
	s_delay_alu instid0(VALU_DEP_2) | instskip(NEXT) | instid1(VALU_DEP_2)
	v_lshrrev_b32_e32 v16, 9, v16
	v_fmamk_f32 v18, v20, 0x33a22168, v18
	s_delay_alu instid0(VALU_DEP_2) | instskip(NEXT) | instid1(VALU_DEP_1)
	v_or_b32_e32 v16, v17, v16
	v_fmac_f32_e32 v18, 0x3fc90fda, v16
	s_delay_alu instid0(VALU_DEP_1) | instskip(NEXT) | instid1(VALU_DEP_1)
	v_dual_add_f32 v15, v24, v18 :: v_dual_lshrrev_b32 v16, 30, v15
	v_add_nc_u32_e32 v16, v19, v16
.LBB16_37:
	s_and_not1_saveexec_b32 s0, s5
; %bb.38:
	v_mul_f32_e64 v15, 0x3f22f983, |v13|
	s_delay_alu instid0(VALU_DEP_1) | instskip(NEXT) | instid1(VALU_DEP_1)
	v_rndne_f32_e32 v16, v15
	v_fma_f32 v15, 0xbfc90fda, v16, |v13|
	s_delay_alu instid0(VALU_DEP_1) | instskip(NEXT) | instid1(VALU_DEP_1)
	v_fmamk_f32 v15, v16, 0xb3a22168, v15
	v_fmamk_f32 v15, v16, 0xa7c234c4, v15
	v_cvt_i32_f32_e32 v16, v16
; %bb.39:
	s_or_b32 exec_lo, exec_lo, s0
	s_delay_alu instid0(VALU_DEP_1) | instskip(SKIP_3) | instid1(VALU_DEP_2)
	v_dual_mul_f32 v17, v15, v15 :: v_dual_bitop2_b32 v20, 1, v16 bitop3:0x40
	s_mov_b32 s0, 0xb94c1982
	s_mov_b32 s1, 0x37d75334
	v_lshlrev_b32_e32 v16, 30, v16
	v_fmaak_f32 v18, s0, v17, 0x3c0881c4
	v_cmp_eq_u32_e64 s0, 0, v20
	v_xor_b32_e32 v14, v14, v13
	s_delay_alu instid0(VALU_DEP_4) | instskip(NEXT) | instid1(VALU_DEP_4)
	v_and_b32_e32 v16, 0x80000000, v16
	v_fmaak_f32 v18, v17, v18, 0xbe2aaa9d
	s_delay_alu instid0(VALU_DEP_1) | instskip(NEXT) | instid1(VALU_DEP_1)
	v_dual_fmaak_f32 v19, s1, v17, 0xbab64f3b :: v_dual_mul_f32 v18, v17, v18
	v_fmaak_f32 v19, v17, v19, 0x3d2aabf7
	s_delay_alu instid0(VALU_DEP_2) | instskip(NEXT) | instid1(VALU_DEP_2)
	v_fmac_f32_e32 v15, v15, v18
	v_fmaak_f32 v19, v17, v19, 0xbf000004
	s_delay_alu instid0(VALU_DEP_1) | instskip(NEXT) | instid1(VALU_DEP_1)
	v_fma_f32 v17, v17, v19, 1.0
	v_cndmask_b32_e64 v15, v17, v15, s0
	v_cmp_class_f32_e64 s0, v13, 0x1f8
	s_delay_alu instid0(VALU_DEP_2) | instskip(NEXT) | instid1(VALU_DEP_1)
	v_xor3_b32 v14, v14, v16, v15
	v_cndmask_b32_e64 v13, 0x7fc00000, v14, s0
	s_delay_alu instid0(VALU_DEP_1)
	v_cvt_f16_f32_e32 v14, v13
.LBB16_40:
	s_or_b32 exec_lo, exec_lo, s4
	v_or_b32_e32 v13, 0x400, v5
	s_delay_alu instid0(VALU_DEP_1)
	v_cmp_lt_i32_e64 s0, v13, v4
                                        ; implicit-def: $vgpr13
	s_and_saveexec_b32 s4, s0
	s_cbranch_execz .LBB16_46
; %bb.41:
	v_and_b32_e32 v13, 0x7fffffff, v11
                                        ; implicit-def: $vgpr16
                                        ; implicit-def: $vgpr15
	s_mov_b32 s1, exec_lo
	v_cmpx_ngt_f32_e64 0x48000000, |v11|
	s_xor_b32 s5, exec_lo, s1
	s_cbranch_execz .LBB16_43
; %bb.42:
	s_mov_b32 s0, 0x7fffff
	v_mov_b32_e32 v17, 0
	v_and_or_b32 v16, v13, s0, 0x800000
	s_mov_b64 s[0:1], 0xfe5163ab
	v_lshrrev_b32_e32 v15, 23, v13
	s_delay_alu instid0(VALU_DEP_2) | instskip(NEXT) | instid1(VALU_DEP_1)
	v_mul_u64_e32 v[18:19], s[0:1], v[16:17]
	v_dual_mov_b32 v20, v19 :: v_dual_mov_b32 v21, v17
	v_dual_mov_b32 v23, v17 :: v_dual_mov_b32 v25, v17
	;; [unrolled: 1-line block ×3, first 2 shown]
	s_delay_alu instid0(VALU_DEP_3) | instskip(NEXT) | instid1(VALU_DEP_1)
	v_mad_nc_u64_u32 v[20:21], 0x3c439041, v16, v[20:21]
	v_mov_b32_e32 v22, v21
	s_delay_alu instid0(VALU_DEP_1) | instskip(NEXT) | instid1(VALU_DEP_1)
	v_mad_nc_u64_u32 v[22:23], 0xdb629599, v16, v[22:23]
	v_mov_b32_e32 v24, v23
	s_delay_alu instid0(VALU_DEP_1) | instskip(NEXT) | instid1(VALU_DEP_1)
	;; [unrolled: 3-line block ×3, first 2 shown]
	v_mad_nc_u64_u32 v[26:27], 0xfc2757d1, v16, v[26:27]
	v_dual_mov_b32 v29, v17 :: v_dual_mov_b32 v28, v27
	s_delay_alu instid0(VALU_DEP_1) | instskip(NEXT) | instid1(VALU_DEP_1)
	v_mad_nc_u64_u32 v[28:29], 0x4e441529, v16, v[28:29]
	v_dual_mov_b32 v30, v29 :: v_dual_add_nc_u32 v15, 0xffffff88, v15
	s_delay_alu instid0(VALU_DEP_1) | instskip(NEXT) | instid1(VALU_DEP_2)
	v_cmp_lt_u32_e64 s0, 63, v15
	v_mad_nc_u64_u32 v[16:17], 0xa2f9836e, v16, v[30:31]
	s_delay_alu instid0(VALU_DEP_2) | instskip(SKIP_1) | instid1(VALU_DEP_2)
	v_cndmask_b32_e64 v19, 0, 0xffffffc0, s0
	v_dual_cndmask_b32 v21, v28, v24, s0 :: v_dual_cndmask_b32 v18, v22, v18, s0
	v_add_nc_u32_e32 v15, v19, v15
	s_delay_alu instid0(VALU_DEP_1) | instskip(SKIP_1) | instid1(VALU_DEP_2)
	v_cmp_lt_u32_e64 s1, 31, v15
	v_dual_cndmask_b32 v16, v16, v26, s0 :: v_dual_cndmask_b32 v17, v17, v28, s0
	v_cndmask_b32_e64 v19, 0, 0xffffffe0, s1
	s_delay_alu instid0(VALU_DEP_1) | instskip(NEXT) | instid1(VALU_DEP_1)
	v_add_nc_u32_e32 v15, v19, v15
	v_cmp_lt_u32_e64 s2, 31, v15
	s_delay_alu instid0(VALU_DEP_1) | instskip(NEXT) | instid1(VALU_DEP_1)
	v_cndmask_b32_e64 v19, 0, 0xffffffe0, s2
	v_dual_cndmask_b32 v23, v26, v22, s0 :: v_dual_add_nc_u32 v15, v19, v15
	v_cndmask_b32_e64 v19, v24, v20, s0
	v_dual_cndmask_b32 v20, v16, v21, s1 :: v_dual_cndmask_b32 v16, v17, v16, s1
	s_delay_alu instid0(VALU_DEP_3) | instskip(NEXT) | instid1(VALU_DEP_4)
	v_cndmask_b32_e64 v17, v21, v23, s1
	v_sub_nc_u32_e32 v21, 32, v15
	s_delay_alu instid0(VALU_DEP_4) | instskip(SKIP_2) | instid1(VALU_DEP_3)
	v_cndmask_b32_e64 v23, v23, v19, s1
	v_cmp_eq_u32_e64 s0, 0, v15
	v_cndmask_b32_e64 v16, v16, v20, s2
	v_dual_cndmask_b32 v20, v20, v17, s2 :: v_dual_cndmask_b32 v17, v17, v23, s2
	s_delay_alu instid0(VALU_DEP_1) | instskip(NEXT) | instid1(VALU_DEP_2)
	v_alignbit_b32 v24, v16, v20, v21
	v_alignbit_b32 v22, v20, v17, v21
	s_delay_alu instid0(VALU_DEP_2) | instskip(NEXT) | instid1(VALU_DEP_1)
	v_dual_cndmask_b32 v15, v24, v16, s0 :: v_dual_cndmask_b32 v16, v19, v18, s1
	v_bfe_u32 v19, v15, 29, 1
	s_delay_alu instid0(VALU_DEP_1) | instskip(NEXT) | instid1(VALU_DEP_1)
	v_dual_cndmask_b32 v18, v22, v20, s0 :: v_dual_sub_nc_u32 v22, 0, v19
	v_alignbit_b32 v20, v15, v18, 30
	s_delay_alu instid0(VALU_DEP_1) | instskip(NEXT) | instid1(VALU_DEP_1)
	v_dual_cndmask_b32 v16, v23, v16, s2 :: v_dual_bitop2_b32 v20, v20, v22 bitop3:0x14
	v_alignbit_b32 v21, v17, v16, v21
	s_delay_alu instid0(VALU_DEP_1) | instskip(NEXT) | instid1(VALU_DEP_3)
	v_cndmask_b32_e64 v17, v21, v17, s0
	v_clz_i32_u32_e32 v21, v20
	s_delay_alu instid0(VALU_DEP_2) | instskip(NEXT) | instid1(VALU_DEP_2)
	v_alignbit_b32 v16, v17, v16, 30
	v_min_u32_e32 v21, 32, v21
	s_delay_alu instid0(VALU_DEP_2) | instskip(SKIP_1) | instid1(VALU_DEP_1)
	v_xor_b32_e32 v16, v16, v22
	v_alignbit_b32 v18, v18, v17, 30
	v_dual_lshlrev_b32 v23, 23, v21 :: v_dual_bitop2_b32 v17, v18, v22 bitop3:0x14
	v_dual_sub_nc_u32 v18, 31, v21 :: v_dual_lshrrev_b32 v22, 29, v15
	s_delay_alu instid0(VALU_DEP_1) | instskip(SKIP_1) | instid1(VALU_DEP_3)
	v_alignbit_b32 v20, v20, v17, v18
	v_alignbit_b32 v16, v17, v16, v18
	v_lshlrev_b32_e32 v17, 31, v22
	s_delay_alu instid0(VALU_DEP_2) | instskip(NEXT) | instid1(VALU_DEP_2)
	v_alignbit_b32 v18, v20, v16, 9
	v_dual_lshrrev_b32 v20, 9, v20 :: v_dual_bitop2_b32 v22, 0.5, v17 bitop3:0x54
	s_delay_alu instid0(VALU_DEP_2) | instskip(NEXT) | instid1(VALU_DEP_2)
	v_clz_i32_u32_e32 v24, v18
	v_sub_nc_u32_e32 v22, v22, v23
	v_or_b32_e32 v17, 0x33000000, v17
	s_delay_alu instid0(VALU_DEP_3) | instskip(NEXT) | instid1(VALU_DEP_1)
	v_min_u32_e32 v23, 32, v24
	v_add_lshl_u32 v21, v23, v21, 23
	s_delay_alu instid0(VALU_DEP_4) | instskip(SKIP_1) | instid1(VALU_DEP_2)
	v_or_b32_e32 v20, v20, v22
	v_not_b32_e32 v22, v23
	v_dual_mul_f32 v24, 0x3fc90fda, v20 :: v_dual_sub_nc_u32 v17, v17, v21
	s_delay_alu instid0(VALU_DEP_2) | instskip(NEXT) | instid1(VALU_DEP_2)
	v_alignbit_b32 v16, v18, v16, v22
	v_fma_f32 v18, 0x3fc90fda, v20, -v24
	s_delay_alu instid0(VALU_DEP_2) | instskip(NEXT) | instid1(VALU_DEP_2)
	v_lshrrev_b32_e32 v16, 9, v16
	v_fmamk_f32 v18, v20, 0x33a22168, v18
	s_delay_alu instid0(VALU_DEP_2) | instskip(NEXT) | instid1(VALU_DEP_1)
	v_or_b32_e32 v16, v17, v16
	v_fmac_f32_e32 v18, 0x3fc90fda, v16
	s_delay_alu instid0(VALU_DEP_1) | instskip(NEXT) | instid1(VALU_DEP_1)
	v_dual_add_f32 v15, v24, v18 :: v_dual_lshrrev_b32 v16, 30, v15
	v_add_nc_u32_e32 v16, v19, v16
.LBB16_43:
	s_and_not1_saveexec_b32 s0, s5
; %bb.44:
	v_mul_f32_e64 v15, 0x3f22f983, |v11|
	s_delay_alu instid0(VALU_DEP_1) | instskip(NEXT) | instid1(VALU_DEP_1)
	v_rndne_f32_e32 v16, v15
	v_fma_f32 v15, 0xbfc90fda, v16, |v11|
	s_delay_alu instid0(VALU_DEP_1) | instskip(NEXT) | instid1(VALU_DEP_1)
	v_fmamk_f32 v15, v16, 0xb3a22168, v15
	v_fmamk_f32 v15, v16, 0xa7c234c4, v15
	v_cvt_i32_f32_e32 v16, v16
; %bb.45:
	s_or_b32 exec_lo, exec_lo, s0
	s_delay_alu instid0(VALU_DEP_1) | instskip(SKIP_3) | instid1(VALU_DEP_2)
	v_dual_mul_f32 v17, v15, v15 :: v_dual_bitop2_b32 v20, 1, v16 bitop3:0x40
	s_mov_b32 s0, 0xb94c1982
	s_mov_b32 s1, 0x37d75334
	v_lshlrev_b32_e32 v16, 30, v16
	v_fmaak_f32 v18, s0, v17, 0x3c0881c4
	v_cmp_eq_u32_e64 s0, 0, v20
	v_xor_b32_e32 v13, v13, v11
	s_delay_alu instid0(VALU_DEP_4) | instskip(NEXT) | instid1(VALU_DEP_4)
	v_and_b32_e32 v16, 0x80000000, v16
	v_fmaak_f32 v18, v17, v18, 0xbe2aaa9d
	s_delay_alu instid0(VALU_DEP_1) | instskip(NEXT) | instid1(VALU_DEP_1)
	v_dual_fmaak_f32 v19, s1, v17, 0xbab64f3b :: v_dual_mul_f32 v18, v17, v18
	v_fmaak_f32 v19, v17, v19, 0x3d2aabf7
	s_delay_alu instid0(VALU_DEP_2) | instskip(NEXT) | instid1(VALU_DEP_2)
	v_fmac_f32_e32 v15, v15, v18
	v_fmaak_f32 v19, v17, v19, 0xbf000004
	s_delay_alu instid0(VALU_DEP_1) | instskip(NEXT) | instid1(VALU_DEP_1)
	v_fma_f32 v17, v17, v19, 1.0
	v_cndmask_b32_e64 v15, v17, v15, s0
	v_cmp_class_f32_e64 s0, v11, 0x1f8
	s_delay_alu instid0(VALU_DEP_2) | instskip(NEXT) | instid1(VALU_DEP_1)
	v_xor3_b32 v13, v13, v16, v15
	v_cndmask_b32_e64 v11, 0x7fc00000, v13, s0
	s_delay_alu instid0(VALU_DEP_1)
	v_cvt_f16_f32_e32 v13, v11
.LBB16_46:
	s_or_b32 exec_lo, exec_lo, s4
	v_add_nc_u32_e32 v11, 0x500, v5
	s_delay_alu instid0(VALU_DEP_1)
	v_cmp_lt_i32_e64 s0, v11, v4
                                        ; implicit-def: $vgpr11
	s_and_saveexec_b32 s4, s0
	s_cbranch_execz .LBB16_52
; %bb.47:
	v_and_b32_e32 v11, 0x7fffffff, v10
                                        ; implicit-def: $vgpr16
                                        ; implicit-def: $vgpr15
	s_mov_b32 s1, exec_lo
	v_cmpx_ngt_f32_e64 0x48000000, |v10|
	s_xor_b32 s5, exec_lo, s1
	s_cbranch_execz .LBB16_49
; %bb.48:
	s_mov_b32 s0, 0x7fffff
	v_mov_b32_e32 v17, 0
	v_and_or_b32 v16, v11, s0, 0x800000
	s_mov_b64 s[0:1], 0xfe5163ab
	v_lshrrev_b32_e32 v15, 23, v11
	s_delay_alu instid0(VALU_DEP_2) | instskip(NEXT) | instid1(VALU_DEP_1)
	v_mul_u64_e32 v[18:19], s[0:1], v[16:17]
	v_dual_mov_b32 v20, v19 :: v_dual_mov_b32 v21, v17
	v_dual_mov_b32 v23, v17 :: v_dual_mov_b32 v25, v17
	;; [unrolled: 1-line block ×3, first 2 shown]
	s_delay_alu instid0(VALU_DEP_3) | instskip(NEXT) | instid1(VALU_DEP_1)
	v_mad_nc_u64_u32 v[20:21], 0x3c439041, v16, v[20:21]
	v_mov_b32_e32 v22, v21
	s_delay_alu instid0(VALU_DEP_1) | instskip(NEXT) | instid1(VALU_DEP_1)
	v_mad_nc_u64_u32 v[22:23], 0xdb629599, v16, v[22:23]
	v_mov_b32_e32 v24, v23
	s_delay_alu instid0(VALU_DEP_1) | instskip(NEXT) | instid1(VALU_DEP_1)
	;; [unrolled: 3-line block ×3, first 2 shown]
	v_mad_nc_u64_u32 v[26:27], 0xfc2757d1, v16, v[26:27]
	v_dual_mov_b32 v29, v17 :: v_dual_mov_b32 v28, v27
	s_delay_alu instid0(VALU_DEP_1) | instskip(NEXT) | instid1(VALU_DEP_1)
	v_mad_nc_u64_u32 v[28:29], 0x4e441529, v16, v[28:29]
	v_dual_mov_b32 v30, v29 :: v_dual_add_nc_u32 v15, 0xffffff88, v15
	s_delay_alu instid0(VALU_DEP_1) | instskip(NEXT) | instid1(VALU_DEP_2)
	v_cmp_lt_u32_e64 s0, 63, v15
	v_mad_nc_u64_u32 v[16:17], 0xa2f9836e, v16, v[30:31]
	s_delay_alu instid0(VALU_DEP_2) | instskip(SKIP_1) | instid1(VALU_DEP_2)
	v_cndmask_b32_e64 v19, 0, 0xffffffc0, s0
	v_dual_cndmask_b32 v21, v28, v24, s0 :: v_dual_cndmask_b32 v18, v22, v18, s0
	v_add_nc_u32_e32 v15, v19, v15
	s_delay_alu instid0(VALU_DEP_1) | instskip(SKIP_1) | instid1(VALU_DEP_2)
	v_cmp_lt_u32_e64 s1, 31, v15
	v_dual_cndmask_b32 v16, v16, v26, s0 :: v_dual_cndmask_b32 v17, v17, v28, s0
	v_cndmask_b32_e64 v19, 0, 0xffffffe0, s1
	s_delay_alu instid0(VALU_DEP_1) | instskip(NEXT) | instid1(VALU_DEP_1)
	v_add_nc_u32_e32 v15, v19, v15
	v_cmp_lt_u32_e64 s2, 31, v15
	s_delay_alu instid0(VALU_DEP_1) | instskip(NEXT) | instid1(VALU_DEP_1)
	v_cndmask_b32_e64 v19, 0, 0xffffffe0, s2
	v_dual_cndmask_b32 v23, v26, v22, s0 :: v_dual_add_nc_u32 v15, v19, v15
	v_cndmask_b32_e64 v19, v24, v20, s0
	v_dual_cndmask_b32 v20, v16, v21, s1 :: v_dual_cndmask_b32 v16, v17, v16, s1
	s_delay_alu instid0(VALU_DEP_3) | instskip(NEXT) | instid1(VALU_DEP_4)
	v_cndmask_b32_e64 v17, v21, v23, s1
	v_sub_nc_u32_e32 v21, 32, v15
	s_delay_alu instid0(VALU_DEP_4) | instskip(SKIP_2) | instid1(VALU_DEP_3)
	v_cndmask_b32_e64 v23, v23, v19, s1
	v_cmp_eq_u32_e64 s0, 0, v15
	v_cndmask_b32_e64 v16, v16, v20, s2
	v_dual_cndmask_b32 v20, v20, v17, s2 :: v_dual_cndmask_b32 v17, v17, v23, s2
	s_delay_alu instid0(VALU_DEP_1) | instskip(NEXT) | instid1(VALU_DEP_2)
	v_alignbit_b32 v24, v16, v20, v21
	v_alignbit_b32 v22, v20, v17, v21
	s_delay_alu instid0(VALU_DEP_2) | instskip(NEXT) | instid1(VALU_DEP_1)
	v_dual_cndmask_b32 v15, v24, v16, s0 :: v_dual_cndmask_b32 v16, v19, v18, s1
	v_bfe_u32 v19, v15, 29, 1
	s_delay_alu instid0(VALU_DEP_1) | instskip(NEXT) | instid1(VALU_DEP_1)
	v_dual_cndmask_b32 v18, v22, v20, s0 :: v_dual_sub_nc_u32 v22, 0, v19
	v_alignbit_b32 v20, v15, v18, 30
	s_delay_alu instid0(VALU_DEP_1) | instskip(NEXT) | instid1(VALU_DEP_1)
	v_dual_cndmask_b32 v16, v23, v16, s2 :: v_dual_bitop2_b32 v20, v20, v22 bitop3:0x14
	v_alignbit_b32 v21, v17, v16, v21
	s_delay_alu instid0(VALU_DEP_1) | instskip(NEXT) | instid1(VALU_DEP_3)
	v_cndmask_b32_e64 v17, v21, v17, s0
	v_clz_i32_u32_e32 v21, v20
	s_delay_alu instid0(VALU_DEP_2) | instskip(NEXT) | instid1(VALU_DEP_2)
	v_alignbit_b32 v16, v17, v16, 30
	v_min_u32_e32 v21, 32, v21
	s_delay_alu instid0(VALU_DEP_2) | instskip(SKIP_1) | instid1(VALU_DEP_1)
	v_xor_b32_e32 v16, v16, v22
	v_alignbit_b32 v18, v18, v17, 30
	v_dual_lshlrev_b32 v23, 23, v21 :: v_dual_bitop2_b32 v17, v18, v22 bitop3:0x14
	v_dual_sub_nc_u32 v18, 31, v21 :: v_dual_lshrrev_b32 v22, 29, v15
	s_delay_alu instid0(VALU_DEP_1) | instskip(SKIP_1) | instid1(VALU_DEP_3)
	v_alignbit_b32 v20, v20, v17, v18
	v_alignbit_b32 v16, v17, v16, v18
	v_lshlrev_b32_e32 v17, 31, v22
	s_delay_alu instid0(VALU_DEP_2) | instskip(NEXT) | instid1(VALU_DEP_2)
	v_alignbit_b32 v18, v20, v16, 9
	v_dual_lshrrev_b32 v20, 9, v20 :: v_dual_bitop2_b32 v22, 0.5, v17 bitop3:0x54
	s_delay_alu instid0(VALU_DEP_2) | instskip(NEXT) | instid1(VALU_DEP_2)
	v_clz_i32_u32_e32 v24, v18
	v_sub_nc_u32_e32 v22, v22, v23
	v_or_b32_e32 v17, 0x33000000, v17
	s_delay_alu instid0(VALU_DEP_3) | instskip(NEXT) | instid1(VALU_DEP_1)
	v_min_u32_e32 v23, 32, v24
	v_add_lshl_u32 v21, v23, v21, 23
	s_delay_alu instid0(VALU_DEP_4) | instskip(SKIP_1) | instid1(VALU_DEP_2)
	v_or_b32_e32 v20, v20, v22
	v_not_b32_e32 v22, v23
	v_dual_mul_f32 v24, 0x3fc90fda, v20 :: v_dual_sub_nc_u32 v17, v17, v21
	s_delay_alu instid0(VALU_DEP_2) | instskip(NEXT) | instid1(VALU_DEP_2)
	v_alignbit_b32 v16, v18, v16, v22
	v_fma_f32 v18, 0x3fc90fda, v20, -v24
	s_delay_alu instid0(VALU_DEP_2) | instskip(NEXT) | instid1(VALU_DEP_2)
	v_lshrrev_b32_e32 v16, 9, v16
	v_fmamk_f32 v18, v20, 0x33a22168, v18
	s_delay_alu instid0(VALU_DEP_2) | instskip(NEXT) | instid1(VALU_DEP_1)
	v_or_b32_e32 v16, v17, v16
	v_fmac_f32_e32 v18, 0x3fc90fda, v16
	s_delay_alu instid0(VALU_DEP_1) | instskip(NEXT) | instid1(VALU_DEP_1)
	v_dual_add_f32 v15, v24, v18 :: v_dual_lshrrev_b32 v16, 30, v15
	v_add_nc_u32_e32 v16, v19, v16
.LBB16_49:
	s_and_not1_saveexec_b32 s0, s5
; %bb.50:
	v_mul_f32_e64 v15, 0x3f22f983, |v10|
	s_delay_alu instid0(VALU_DEP_1) | instskip(NEXT) | instid1(VALU_DEP_1)
	v_rndne_f32_e32 v16, v15
	v_fma_f32 v15, 0xbfc90fda, v16, |v10|
	s_delay_alu instid0(VALU_DEP_1) | instskip(NEXT) | instid1(VALU_DEP_1)
	v_fmamk_f32 v15, v16, 0xb3a22168, v15
	v_fmamk_f32 v15, v16, 0xa7c234c4, v15
	v_cvt_i32_f32_e32 v16, v16
; %bb.51:
	s_or_b32 exec_lo, exec_lo, s0
	s_delay_alu instid0(VALU_DEP_1) | instskip(SKIP_3) | instid1(VALU_DEP_2)
	v_dual_mul_f32 v17, v15, v15 :: v_dual_bitop2_b32 v20, 1, v16 bitop3:0x40
	s_mov_b32 s0, 0xb94c1982
	s_mov_b32 s1, 0x37d75334
	v_lshlrev_b32_e32 v16, 30, v16
	v_fmaak_f32 v18, s0, v17, 0x3c0881c4
	v_cmp_eq_u32_e64 s0, 0, v20
	v_xor_b32_e32 v11, v11, v10
	s_delay_alu instid0(VALU_DEP_4) | instskip(NEXT) | instid1(VALU_DEP_4)
	v_and_b32_e32 v16, 0x80000000, v16
	v_fmaak_f32 v18, v17, v18, 0xbe2aaa9d
	s_delay_alu instid0(VALU_DEP_1) | instskip(NEXT) | instid1(VALU_DEP_1)
	v_dual_fmaak_f32 v19, s1, v17, 0xbab64f3b :: v_dual_mul_f32 v18, v17, v18
	v_fmaak_f32 v19, v17, v19, 0x3d2aabf7
	s_delay_alu instid0(VALU_DEP_2) | instskip(NEXT) | instid1(VALU_DEP_2)
	v_fmac_f32_e32 v15, v15, v18
	v_fmaak_f32 v19, v17, v19, 0xbf000004
	s_delay_alu instid0(VALU_DEP_1) | instskip(NEXT) | instid1(VALU_DEP_1)
	v_fma_f32 v17, v17, v19, 1.0
	v_cndmask_b32_e64 v15, v17, v15, s0
	v_cmp_class_f32_e64 s0, v10, 0x1f8
	s_delay_alu instid0(VALU_DEP_2) | instskip(NEXT) | instid1(VALU_DEP_1)
	v_xor3_b32 v11, v11, v16, v15
	v_cndmask_b32_e64 v10, 0x7fc00000, v11, s0
	s_delay_alu instid0(VALU_DEP_1)
	v_cvt_f16_f32_e32 v11, v10
.LBB16_52:
	s_or_b32 exec_lo, exec_lo, s4
	v_add_nc_u32_e32 v10, 0x600, v5
	s_delay_alu instid0(VALU_DEP_1)
	v_cmp_lt_i32_e64 s0, v10, v4
                                        ; implicit-def: $vgpr10
	s_and_saveexec_b32 s4, s0
	s_cbranch_execz .LBB16_58
; %bb.53:
	v_and_b32_e32 v10, 0x7fffffff, v9
                                        ; implicit-def: $vgpr16
                                        ; implicit-def: $vgpr15
	s_mov_b32 s1, exec_lo
	v_cmpx_ngt_f32_e64 0x48000000, |v9|
	s_xor_b32 s5, exec_lo, s1
	s_cbranch_execz .LBB16_55
; %bb.54:
	s_mov_b32 s0, 0x7fffff
	v_mov_b32_e32 v17, 0
	v_and_or_b32 v16, v10, s0, 0x800000
	s_mov_b64 s[0:1], 0xfe5163ab
	v_lshrrev_b32_e32 v15, 23, v10
	s_delay_alu instid0(VALU_DEP_2) | instskip(NEXT) | instid1(VALU_DEP_1)
	v_mul_u64_e32 v[18:19], s[0:1], v[16:17]
	v_dual_mov_b32 v20, v19 :: v_dual_mov_b32 v21, v17
	v_dual_mov_b32 v23, v17 :: v_dual_mov_b32 v25, v17
	;; [unrolled: 1-line block ×3, first 2 shown]
	s_delay_alu instid0(VALU_DEP_3) | instskip(NEXT) | instid1(VALU_DEP_1)
	v_mad_nc_u64_u32 v[20:21], 0x3c439041, v16, v[20:21]
	v_mov_b32_e32 v22, v21
	s_delay_alu instid0(VALU_DEP_1) | instskip(NEXT) | instid1(VALU_DEP_1)
	v_mad_nc_u64_u32 v[22:23], 0xdb629599, v16, v[22:23]
	v_mov_b32_e32 v24, v23
	s_delay_alu instid0(VALU_DEP_1) | instskip(NEXT) | instid1(VALU_DEP_1)
	;; [unrolled: 3-line block ×3, first 2 shown]
	v_mad_nc_u64_u32 v[26:27], 0xfc2757d1, v16, v[26:27]
	v_dual_mov_b32 v29, v17 :: v_dual_mov_b32 v28, v27
	s_delay_alu instid0(VALU_DEP_1) | instskip(NEXT) | instid1(VALU_DEP_1)
	v_mad_nc_u64_u32 v[28:29], 0x4e441529, v16, v[28:29]
	v_dual_mov_b32 v30, v29 :: v_dual_add_nc_u32 v15, 0xffffff88, v15
	s_delay_alu instid0(VALU_DEP_1) | instskip(NEXT) | instid1(VALU_DEP_2)
	v_cmp_lt_u32_e64 s0, 63, v15
	v_mad_nc_u64_u32 v[16:17], 0xa2f9836e, v16, v[30:31]
	s_delay_alu instid0(VALU_DEP_2) | instskip(SKIP_1) | instid1(VALU_DEP_2)
	v_cndmask_b32_e64 v19, 0, 0xffffffc0, s0
	v_dual_cndmask_b32 v21, v28, v24, s0 :: v_dual_cndmask_b32 v18, v22, v18, s0
	v_add_nc_u32_e32 v15, v19, v15
	s_delay_alu instid0(VALU_DEP_1) | instskip(SKIP_1) | instid1(VALU_DEP_2)
	v_cmp_lt_u32_e64 s1, 31, v15
	v_dual_cndmask_b32 v16, v16, v26, s0 :: v_dual_cndmask_b32 v17, v17, v28, s0
	v_cndmask_b32_e64 v19, 0, 0xffffffe0, s1
	s_delay_alu instid0(VALU_DEP_1) | instskip(NEXT) | instid1(VALU_DEP_1)
	v_add_nc_u32_e32 v15, v19, v15
	v_cmp_lt_u32_e64 s2, 31, v15
	s_delay_alu instid0(VALU_DEP_1) | instskip(NEXT) | instid1(VALU_DEP_1)
	v_cndmask_b32_e64 v19, 0, 0xffffffe0, s2
	v_dual_cndmask_b32 v23, v26, v22, s0 :: v_dual_add_nc_u32 v15, v19, v15
	v_cndmask_b32_e64 v19, v24, v20, s0
	v_dual_cndmask_b32 v20, v16, v21, s1 :: v_dual_cndmask_b32 v16, v17, v16, s1
	s_delay_alu instid0(VALU_DEP_3) | instskip(NEXT) | instid1(VALU_DEP_4)
	v_cndmask_b32_e64 v17, v21, v23, s1
	v_sub_nc_u32_e32 v21, 32, v15
	s_delay_alu instid0(VALU_DEP_4) | instskip(SKIP_2) | instid1(VALU_DEP_3)
	v_cndmask_b32_e64 v23, v23, v19, s1
	v_cmp_eq_u32_e64 s0, 0, v15
	v_cndmask_b32_e64 v16, v16, v20, s2
	v_dual_cndmask_b32 v20, v20, v17, s2 :: v_dual_cndmask_b32 v17, v17, v23, s2
	s_delay_alu instid0(VALU_DEP_1) | instskip(NEXT) | instid1(VALU_DEP_2)
	v_alignbit_b32 v24, v16, v20, v21
	v_alignbit_b32 v22, v20, v17, v21
	s_delay_alu instid0(VALU_DEP_2) | instskip(NEXT) | instid1(VALU_DEP_1)
	v_dual_cndmask_b32 v15, v24, v16, s0 :: v_dual_cndmask_b32 v16, v19, v18, s1
	v_bfe_u32 v19, v15, 29, 1
	s_delay_alu instid0(VALU_DEP_1) | instskip(NEXT) | instid1(VALU_DEP_1)
	v_dual_cndmask_b32 v18, v22, v20, s0 :: v_dual_sub_nc_u32 v22, 0, v19
	v_alignbit_b32 v20, v15, v18, 30
	s_delay_alu instid0(VALU_DEP_1) | instskip(NEXT) | instid1(VALU_DEP_1)
	v_dual_cndmask_b32 v16, v23, v16, s2 :: v_dual_bitop2_b32 v20, v20, v22 bitop3:0x14
	v_alignbit_b32 v21, v17, v16, v21
	s_delay_alu instid0(VALU_DEP_1) | instskip(NEXT) | instid1(VALU_DEP_3)
	v_cndmask_b32_e64 v17, v21, v17, s0
	v_clz_i32_u32_e32 v21, v20
	s_delay_alu instid0(VALU_DEP_2) | instskip(NEXT) | instid1(VALU_DEP_2)
	v_alignbit_b32 v16, v17, v16, 30
	v_min_u32_e32 v21, 32, v21
	s_delay_alu instid0(VALU_DEP_2) | instskip(SKIP_1) | instid1(VALU_DEP_1)
	v_xor_b32_e32 v16, v16, v22
	v_alignbit_b32 v18, v18, v17, 30
	v_dual_lshlrev_b32 v23, 23, v21 :: v_dual_bitop2_b32 v17, v18, v22 bitop3:0x14
	v_dual_sub_nc_u32 v18, 31, v21 :: v_dual_lshrrev_b32 v22, 29, v15
	s_delay_alu instid0(VALU_DEP_1) | instskip(SKIP_1) | instid1(VALU_DEP_3)
	v_alignbit_b32 v20, v20, v17, v18
	v_alignbit_b32 v16, v17, v16, v18
	v_lshlrev_b32_e32 v17, 31, v22
	s_delay_alu instid0(VALU_DEP_2) | instskip(NEXT) | instid1(VALU_DEP_2)
	v_alignbit_b32 v18, v20, v16, 9
	v_dual_lshrrev_b32 v20, 9, v20 :: v_dual_bitop2_b32 v22, 0.5, v17 bitop3:0x54
	s_delay_alu instid0(VALU_DEP_2) | instskip(NEXT) | instid1(VALU_DEP_2)
	v_clz_i32_u32_e32 v24, v18
	v_sub_nc_u32_e32 v22, v22, v23
	v_or_b32_e32 v17, 0x33000000, v17
	s_delay_alu instid0(VALU_DEP_3) | instskip(NEXT) | instid1(VALU_DEP_1)
	v_min_u32_e32 v23, 32, v24
	v_add_lshl_u32 v21, v23, v21, 23
	s_delay_alu instid0(VALU_DEP_4) | instskip(SKIP_1) | instid1(VALU_DEP_2)
	v_or_b32_e32 v20, v20, v22
	v_not_b32_e32 v22, v23
	v_dual_mul_f32 v24, 0x3fc90fda, v20 :: v_dual_sub_nc_u32 v17, v17, v21
	s_delay_alu instid0(VALU_DEP_2) | instskip(NEXT) | instid1(VALU_DEP_2)
	v_alignbit_b32 v16, v18, v16, v22
	v_fma_f32 v18, 0x3fc90fda, v20, -v24
	s_delay_alu instid0(VALU_DEP_2) | instskip(NEXT) | instid1(VALU_DEP_2)
	v_lshrrev_b32_e32 v16, 9, v16
	v_fmamk_f32 v18, v20, 0x33a22168, v18
	s_delay_alu instid0(VALU_DEP_2) | instskip(NEXT) | instid1(VALU_DEP_1)
	v_or_b32_e32 v16, v17, v16
	v_fmac_f32_e32 v18, 0x3fc90fda, v16
	s_delay_alu instid0(VALU_DEP_1) | instskip(NEXT) | instid1(VALU_DEP_1)
	v_dual_add_f32 v15, v24, v18 :: v_dual_lshrrev_b32 v16, 30, v15
	v_add_nc_u32_e32 v16, v19, v16
.LBB16_55:
	s_and_not1_saveexec_b32 s0, s5
; %bb.56:
	v_mul_f32_e64 v15, 0x3f22f983, |v9|
	s_delay_alu instid0(VALU_DEP_1) | instskip(NEXT) | instid1(VALU_DEP_1)
	v_rndne_f32_e32 v16, v15
	v_fma_f32 v15, 0xbfc90fda, v16, |v9|
	s_delay_alu instid0(VALU_DEP_1) | instskip(NEXT) | instid1(VALU_DEP_1)
	v_fmamk_f32 v15, v16, 0xb3a22168, v15
	v_fmamk_f32 v15, v16, 0xa7c234c4, v15
	v_cvt_i32_f32_e32 v16, v16
; %bb.57:
	s_or_b32 exec_lo, exec_lo, s0
	s_delay_alu instid0(VALU_DEP_1) | instskip(SKIP_3) | instid1(VALU_DEP_2)
	v_dual_mul_f32 v17, v15, v15 :: v_dual_bitop2_b32 v20, 1, v16 bitop3:0x40
	s_mov_b32 s0, 0xb94c1982
	s_mov_b32 s1, 0x37d75334
	v_lshlrev_b32_e32 v16, 30, v16
	v_fmaak_f32 v18, s0, v17, 0x3c0881c4
	v_cmp_eq_u32_e64 s0, 0, v20
	v_xor_b32_e32 v10, v10, v9
	s_delay_alu instid0(VALU_DEP_4) | instskip(NEXT) | instid1(VALU_DEP_4)
	v_and_b32_e32 v16, 0x80000000, v16
	v_fmaak_f32 v18, v17, v18, 0xbe2aaa9d
	s_delay_alu instid0(VALU_DEP_1) | instskip(NEXT) | instid1(VALU_DEP_1)
	v_dual_fmaak_f32 v19, s1, v17, 0xbab64f3b :: v_dual_mul_f32 v18, v17, v18
	v_fmaak_f32 v19, v17, v19, 0x3d2aabf7
	s_delay_alu instid0(VALU_DEP_2) | instskip(NEXT) | instid1(VALU_DEP_2)
	v_fmac_f32_e32 v15, v15, v18
	v_fmaak_f32 v19, v17, v19, 0xbf000004
	s_delay_alu instid0(VALU_DEP_1) | instskip(NEXT) | instid1(VALU_DEP_1)
	v_fma_f32 v17, v17, v19, 1.0
	v_cndmask_b32_e64 v15, v17, v15, s0
	v_cmp_class_f32_e64 s0, v9, 0x1f8
	s_delay_alu instid0(VALU_DEP_2) | instskip(NEXT) | instid1(VALU_DEP_1)
	v_xor3_b32 v10, v10, v16, v15
	v_cndmask_b32_e64 v9, 0x7fc00000, v10, s0
	s_delay_alu instid0(VALU_DEP_1)
	v_cvt_f16_f32_e32 v10, v9
.LBB16_58:
	s_or_b32 exec_lo, exec_lo, s4
	v_add_nc_u32_e32 v9, 0x700, v5
	s_delay_alu instid0(VALU_DEP_1)
	v_cmp_lt_i32_e64 s0, v9, v4
                                        ; implicit-def: $vgpr9
	s_and_saveexec_b32 s4, s0
	s_cbranch_execz .LBB16_72
; %bb.59:
	v_and_b32_e32 v9, 0x7fffffff, v7
                                        ; implicit-def: $vgpr16
                                        ; implicit-def: $vgpr15
	s_mov_b32 s1, exec_lo
	v_cmpx_ngt_f32_e64 0x48000000, |v7|
	s_xor_b32 s5, exec_lo, s1
	s_cbranch_execz .LBB16_61
; %bb.60:
	s_mov_b32 s0, 0x7fffff
	v_mov_b32_e32 v17, 0
	v_and_or_b32 v16, v9, s0, 0x800000
	s_mov_b64 s[0:1], 0xfe5163ab
	v_lshrrev_b32_e32 v15, 23, v9
	s_delay_alu instid0(VALU_DEP_2) | instskip(NEXT) | instid1(VALU_DEP_1)
	v_mul_u64_e32 v[18:19], s[0:1], v[16:17]
	v_dual_mov_b32 v20, v19 :: v_dual_mov_b32 v21, v17
	v_dual_mov_b32 v23, v17 :: v_dual_mov_b32 v25, v17
	;; [unrolled: 1-line block ×3, first 2 shown]
	s_delay_alu instid0(VALU_DEP_3) | instskip(NEXT) | instid1(VALU_DEP_1)
	v_mad_nc_u64_u32 v[20:21], 0x3c439041, v16, v[20:21]
	v_mov_b32_e32 v22, v21
	s_delay_alu instid0(VALU_DEP_1) | instskip(NEXT) | instid1(VALU_DEP_1)
	v_mad_nc_u64_u32 v[22:23], 0xdb629599, v16, v[22:23]
	v_mov_b32_e32 v24, v23
	s_delay_alu instid0(VALU_DEP_1) | instskip(NEXT) | instid1(VALU_DEP_1)
	;; [unrolled: 3-line block ×3, first 2 shown]
	v_mad_nc_u64_u32 v[26:27], 0xfc2757d1, v16, v[26:27]
	v_dual_mov_b32 v29, v17 :: v_dual_mov_b32 v28, v27
	s_delay_alu instid0(VALU_DEP_1) | instskip(NEXT) | instid1(VALU_DEP_1)
	v_mad_nc_u64_u32 v[28:29], 0x4e441529, v16, v[28:29]
	v_dual_mov_b32 v30, v29 :: v_dual_add_nc_u32 v15, 0xffffff88, v15
	s_delay_alu instid0(VALU_DEP_1) | instskip(NEXT) | instid1(VALU_DEP_2)
	v_cmp_lt_u32_e64 s0, 63, v15
	v_mad_nc_u64_u32 v[16:17], 0xa2f9836e, v16, v[30:31]
	s_delay_alu instid0(VALU_DEP_2) | instskip(SKIP_1) | instid1(VALU_DEP_2)
	v_cndmask_b32_e64 v19, 0, 0xffffffc0, s0
	v_dual_cndmask_b32 v21, v28, v24, s0 :: v_dual_cndmask_b32 v18, v22, v18, s0
	v_add_nc_u32_e32 v15, v19, v15
	s_delay_alu instid0(VALU_DEP_1) | instskip(SKIP_1) | instid1(VALU_DEP_2)
	v_cmp_lt_u32_e64 s1, 31, v15
	v_dual_cndmask_b32 v16, v16, v26, s0 :: v_dual_cndmask_b32 v17, v17, v28, s0
	v_cndmask_b32_e64 v19, 0, 0xffffffe0, s1
	s_delay_alu instid0(VALU_DEP_1) | instskip(NEXT) | instid1(VALU_DEP_1)
	v_add_nc_u32_e32 v15, v19, v15
	v_cmp_lt_u32_e64 s2, 31, v15
	s_delay_alu instid0(VALU_DEP_1) | instskip(NEXT) | instid1(VALU_DEP_1)
	v_cndmask_b32_e64 v19, 0, 0xffffffe0, s2
	v_dual_cndmask_b32 v23, v26, v22, s0 :: v_dual_add_nc_u32 v15, v19, v15
	v_cndmask_b32_e64 v19, v24, v20, s0
	v_dual_cndmask_b32 v20, v16, v21, s1 :: v_dual_cndmask_b32 v16, v17, v16, s1
	s_delay_alu instid0(VALU_DEP_3) | instskip(NEXT) | instid1(VALU_DEP_4)
	v_cndmask_b32_e64 v17, v21, v23, s1
	v_sub_nc_u32_e32 v21, 32, v15
	s_delay_alu instid0(VALU_DEP_4) | instskip(SKIP_2) | instid1(VALU_DEP_3)
	v_cndmask_b32_e64 v23, v23, v19, s1
	v_cmp_eq_u32_e64 s0, 0, v15
	v_cndmask_b32_e64 v16, v16, v20, s2
	v_dual_cndmask_b32 v20, v20, v17, s2 :: v_dual_cndmask_b32 v17, v17, v23, s2
	s_delay_alu instid0(VALU_DEP_1) | instskip(NEXT) | instid1(VALU_DEP_2)
	v_alignbit_b32 v24, v16, v20, v21
	v_alignbit_b32 v22, v20, v17, v21
	s_delay_alu instid0(VALU_DEP_2) | instskip(NEXT) | instid1(VALU_DEP_1)
	v_dual_cndmask_b32 v15, v24, v16, s0 :: v_dual_cndmask_b32 v16, v19, v18, s1
	v_bfe_u32 v19, v15, 29, 1
	s_delay_alu instid0(VALU_DEP_1) | instskip(NEXT) | instid1(VALU_DEP_1)
	v_dual_cndmask_b32 v18, v22, v20, s0 :: v_dual_sub_nc_u32 v22, 0, v19
	v_alignbit_b32 v20, v15, v18, 30
	s_delay_alu instid0(VALU_DEP_1) | instskip(NEXT) | instid1(VALU_DEP_1)
	v_dual_cndmask_b32 v16, v23, v16, s2 :: v_dual_bitop2_b32 v20, v20, v22 bitop3:0x14
	v_alignbit_b32 v21, v17, v16, v21
	s_delay_alu instid0(VALU_DEP_1) | instskip(NEXT) | instid1(VALU_DEP_3)
	v_cndmask_b32_e64 v17, v21, v17, s0
	v_clz_i32_u32_e32 v21, v20
	s_delay_alu instid0(VALU_DEP_2) | instskip(NEXT) | instid1(VALU_DEP_2)
	v_alignbit_b32 v16, v17, v16, 30
	v_min_u32_e32 v21, 32, v21
	s_delay_alu instid0(VALU_DEP_2) | instskip(SKIP_1) | instid1(VALU_DEP_1)
	v_xor_b32_e32 v16, v16, v22
	v_alignbit_b32 v18, v18, v17, 30
	v_dual_lshlrev_b32 v23, 23, v21 :: v_dual_bitop2_b32 v17, v18, v22 bitop3:0x14
	v_dual_sub_nc_u32 v18, 31, v21 :: v_dual_lshrrev_b32 v22, 29, v15
	s_delay_alu instid0(VALU_DEP_1) | instskip(SKIP_1) | instid1(VALU_DEP_3)
	v_alignbit_b32 v20, v20, v17, v18
	v_alignbit_b32 v16, v17, v16, v18
	v_lshlrev_b32_e32 v17, 31, v22
	s_delay_alu instid0(VALU_DEP_2) | instskip(NEXT) | instid1(VALU_DEP_2)
	v_alignbit_b32 v18, v20, v16, 9
	v_dual_lshrrev_b32 v20, 9, v20 :: v_dual_bitop2_b32 v22, 0.5, v17 bitop3:0x54
	s_delay_alu instid0(VALU_DEP_2) | instskip(NEXT) | instid1(VALU_DEP_2)
	v_clz_i32_u32_e32 v24, v18
	v_sub_nc_u32_e32 v22, v22, v23
	v_or_b32_e32 v17, 0x33000000, v17
	s_delay_alu instid0(VALU_DEP_3) | instskip(NEXT) | instid1(VALU_DEP_1)
	v_min_u32_e32 v23, 32, v24
	v_add_lshl_u32 v21, v23, v21, 23
	s_delay_alu instid0(VALU_DEP_4) | instskip(SKIP_1) | instid1(VALU_DEP_2)
	v_or_b32_e32 v20, v20, v22
	v_not_b32_e32 v22, v23
	v_dual_mul_f32 v24, 0x3fc90fda, v20 :: v_dual_sub_nc_u32 v17, v17, v21
	s_delay_alu instid0(VALU_DEP_2) | instskip(NEXT) | instid1(VALU_DEP_2)
	v_alignbit_b32 v16, v18, v16, v22
	v_fma_f32 v18, 0x3fc90fda, v20, -v24
	s_delay_alu instid0(VALU_DEP_2) | instskip(NEXT) | instid1(VALU_DEP_2)
	v_lshrrev_b32_e32 v16, 9, v16
	v_fmamk_f32 v18, v20, 0x33a22168, v18
	s_delay_alu instid0(VALU_DEP_2) | instskip(NEXT) | instid1(VALU_DEP_1)
	v_or_b32_e32 v16, v17, v16
	v_fmac_f32_e32 v18, 0x3fc90fda, v16
	s_delay_alu instid0(VALU_DEP_1) | instskip(NEXT) | instid1(VALU_DEP_1)
	v_dual_add_f32 v15, v24, v18 :: v_dual_lshrrev_b32 v16, 30, v15
	v_add_nc_u32_e32 v16, v19, v16
.LBB16_61:
	s_and_not1_saveexec_b32 s0, s5
; %bb.62:
	v_mul_f32_e64 v15, 0x3f22f983, |v7|
	s_delay_alu instid0(VALU_DEP_1) | instskip(NEXT) | instid1(VALU_DEP_1)
	v_rndne_f32_e32 v16, v15
	v_fma_f32 v15, 0xbfc90fda, v16, |v7|
	s_delay_alu instid0(VALU_DEP_1) | instskip(NEXT) | instid1(VALU_DEP_1)
	v_fmamk_f32 v15, v16, 0xb3a22168, v15
	v_fmamk_f32 v15, v16, 0xa7c234c4, v15
	v_cvt_i32_f32_e32 v16, v16
; %bb.63:
	s_or_b32 exec_lo, exec_lo, s0
	s_delay_alu instid0(VALU_DEP_1) | instskip(SKIP_3) | instid1(VALU_DEP_2)
	v_dual_mul_f32 v17, v15, v15 :: v_dual_bitop2_b32 v20, 1, v16 bitop3:0x40
	s_mov_b32 s0, 0xb94c1982
	s_mov_b32 s1, 0x37d75334
	v_lshlrev_b32_e32 v16, 30, v16
	v_fmaak_f32 v18, s0, v17, 0x3c0881c4
	v_cmp_eq_u32_e64 s0, 0, v20
	v_xor_b32_e32 v9, v9, v7
	s_delay_alu instid0(VALU_DEP_4) | instskip(NEXT) | instid1(VALU_DEP_4)
	v_and_b32_e32 v16, 0x80000000, v16
	v_fmaak_f32 v18, v17, v18, 0xbe2aaa9d
	s_delay_alu instid0(VALU_DEP_1) | instskip(NEXT) | instid1(VALU_DEP_1)
	v_dual_fmaak_f32 v19, s1, v17, 0xbab64f3b :: v_dual_mul_f32 v18, v17, v18
	v_fmaak_f32 v19, v17, v19, 0x3d2aabf7
	s_delay_alu instid0(VALU_DEP_2) | instskip(NEXT) | instid1(VALU_DEP_2)
	v_fmac_f32_e32 v15, v15, v18
	v_fmaak_f32 v19, v17, v19, 0xbf000004
	s_delay_alu instid0(VALU_DEP_1) | instskip(NEXT) | instid1(VALU_DEP_1)
	v_fma_f32 v17, v17, v19, 1.0
	v_cndmask_b32_e64 v15, v17, v15, s0
	v_cmp_class_f32_e64 s0, v7, 0x1f8
	s_delay_alu instid0(VALU_DEP_2) | instskip(NEXT) | instid1(VALU_DEP_1)
	v_xor3_b32 v9, v9, v16, v15
	v_cndmask_b32_e64 v7, 0x7fc00000, v9, s0
	s_delay_alu instid0(VALU_DEP_1) | instskip(SKIP_2) | instid1(SALU_CYCLE_1)
	v_cvt_f16_f32_e32 v9, v7
	s_or_b32 exec_lo, exec_lo, s4
	s_and_saveexec_b32 s0, vcc_lo
	s_xor_b32 s0, exec_lo, s0
	s_cbranch_execnz .LBB16_73
.LBB16_64:
	s_or_b32 exec_lo, exec_lo, s0
	s_delay_alu instid0(SALU_CYCLE_1)
	s_mov_b32 s0, exec_lo
	v_cmpx_lt_i32_e64 v5, v4
	s_cbranch_execz .LBB16_74
.LBB16_65:
	v_dual_mov_b32 v7, 0 :: v_dual_add_nc_u32 v6, s3, v5
	v_add_nc_u32_e32 v5, 0x100, v5
	s_delay_alu instid0(VALU_DEP_2) | instskip(SKIP_3) | instid1(SALU_CYCLE_1)
	v_lshl_add_u64 v[6:7], v[6:7], 1, v[0:1]
	flat_store_b16 v[6:7], v3
	s_wait_xcnt 0x0
	s_or_b32 exec_lo, exec_lo, s0
	s_mov_b32 s0, exec_lo
	v_cmpx_lt_i32_e64 v5, v4
	s_cbranch_execnz .LBB16_75
.LBB16_66:
	s_or_b32 exec_lo, exec_lo, s0
	s_delay_alu instid0(SALU_CYCLE_1)
	s_mov_b32 s0, exec_lo
	v_cmpx_lt_i32_e64 v5, v4
	s_cbranch_execz .LBB16_76
.LBB16_67:
	v_dual_mov_b32 v3, 0 :: v_dual_add_nc_u32 v2, s3, v5
	v_add_nc_u32_e32 v5, 0x100, v5
	s_delay_alu instid0(VALU_DEP_2) | instskip(SKIP_3) | instid1(SALU_CYCLE_1)
	v_lshl_add_u64 v[2:3], v[2:3], 1, v[0:1]
	flat_store_b16 v[2:3], v14
	s_wait_xcnt 0x0
	s_or_b32 exec_lo, exec_lo, s0
	s_mov_b32 s0, exec_lo
	v_cmpx_lt_i32_e64 v5, v4
	s_cbranch_execnz .LBB16_77
.LBB16_68:
	s_or_b32 exec_lo, exec_lo, s0
	s_delay_alu instid0(SALU_CYCLE_1)
	s_mov_b32 s0, exec_lo
	v_cmpx_lt_i32_e64 v5, v4
	s_cbranch_execz .LBB16_78
.LBB16_69:
	v_dual_mov_b32 v3, 0 :: v_dual_add_nc_u32 v2, s3, v5
	v_add_nc_u32_e32 v5, 0x100, v5
	s_delay_alu instid0(VALU_DEP_2) | instskip(SKIP_3) | instid1(SALU_CYCLE_1)
	v_lshl_add_u64 v[2:3], v[2:3], 1, v[0:1]
	flat_store_b16 v[2:3], v11
	s_wait_xcnt 0x0
	s_or_b32 exec_lo, exec_lo, s0
	s_mov_b32 s0, exec_lo
	v_cmpx_lt_i32_e64 v5, v4
	s_cbranch_execnz .LBB16_79
.LBB16_70:
	s_or_b32 exec_lo, exec_lo, s0
	s_delay_alu instid0(SALU_CYCLE_1)
	s_mov_b32 s0, exec_lo
	v_cmpx_lt_i32_e64 v5, v4
	s_cbranch_execz .LBB16_80
.LBB16_71:
	v_dual_mov_b32 v3, 0 :: v_dual_add_nc_u32 v2, s3, v5
	s_delay_alu instid0(VALU_DEP_1)
	v_lshl_add_u64 v[0:1], v[2:3], 1, v[0:1]
	flat_store_b16 v[0:1], v9
	s_wait_xcnt 0x0
	s_or_b32 exec_lo, exec_lo, s0
	s_wait_dscnt 0x0
	s_set_pc_i64 s[30:31]
.LBB16_72:
	s_or_b32 exec_lo, exec_lo, s4
	s_and_saveexec_b32 s0, vcc_lo
	s_delay_alu instid0(SALU_CYCLE_1)
	s_xor_b32 s0, exec_lo, s0
	s_cbranch_execz .LBB16_64
.LBB16_73:
	v_dual_mov_b32 v7, 0 :: v_dual_mov_b32 v5, v8
	s_delay_alu instid0(VALU_DEP_1) | instskip(SKIP_3) | instid1(SALU_CYCLE_1)
	v_lshl_add_u64 v[6:7], v[6:7], 1, v[0:1]
	flat_store_b16 v[6:7], v2
	s_wait_xcnt 0x0
	s_or_b32 exec_lo, exec_lo, s0
	s_mov_b32 s0, exec_lo
	v_cmpx_lt_i32_e64 v5, v4
	s_cbranch_execnz .LBB16_65
.LBB16_74:
	s_or_b32 exec_lo, exec_lo, s0
	s_delay_alu instid0(SALU_CYCLE_1)
	s_mov_b32 s0, exec_lo
	v_cmpx_lt_i32_e64 v5, v4
	s_cbranch_execz .LBB16_66
.LBB16_75:
	v_dual_mov_b32 v3, 0 :: v_dual_add_nc_u32 v2, s3, v5
	v_add_nc_u32_e32 v5, 0x100, v5
	s_delay_alu instid0(VALU_DEP_2) | instskip(SKIP_3) | instid1(SALU_CYCLE_1)
	v_lshl_add_u64 v[2:3], v[2:3], 1, v[0:1]
	flat_store_b16 v[2:3], v12
	s_wait_xcnt 0x0
	s_or_b32 exec_lo, exec_lo, s0
	s_mov_b32 s0, exec_lo
	v_cmpx_lt_i32_e64 v5, v4
	s_cbranch_execnz .LBB16_67
.LBB16_76:
	s_or_b32 exec_lo, exec_lo, s0
	s_delay_alu instid0(SALU_CYCLE_1)
	s_mov_b32 s0, exec_lo
	v_cmpx_lt_i32_e64 v5, v4
	s_cbranch_execz .LBB16_68
.LBB16_77:
	v_dual_mov_b32 v3, 0 :: v_dual_add_nc_u32 v2, s3, v5
	v_add_nc_u32_e32 v5, 0x100, v5
	s_delay_alu instid0(VALU_DEP_2) | instskip(SKIP_3) | instid1(SALU_CYCLE_1)
	v_lshl_add_u64 v[2:3], v[2:3], 1, v[0:1]
	flat_store_b16 v[2:3], v13
	s_wait_xcnt 0x0
	s_or_b32 exec_lo, exec_lo, s0
	s_mov_b32 s0, exec_lo
	v_cmpx_lt_i32_e64 v5, v4
	s_cbranch_execnz .LBB16_69
.LBB16_78:
	s_or_b32 exec_lo, exec_lo, s0
	s_delay_alu instid0(SALU_CYCLE_1)
	s_mov_b32 s0, exec_lo
	v_cmpx_lt_i32_e64 v5, v4
	s_cbranch_execz .LBB16_70
.LBB16_79:
	v_dual_mov_b32 v3, 0 :: v_dual_add_nc_u32 v2, s3, v5
	v_add_nc_u32_e32 v5, 0x100, v5
	s_delay_alu instid0(VALU_DEP_2) | instskip(SKIP_3) | instid1(SALU_CYCLE_1)
	v_lshl_add_u64 v[2:3], v[2:3], 1, v[0:1]
	flat_store_b16 v[2:3], v10
	s_wait_xcnt 0x0
	s_or_b32 exec_lo, exec_lo, s0
	s_mov_b32 s0, exec_lo
	v_cmpx_lt_i32_e64 v5, v4
	s_cbranch_execnz .LBB16_71
.LBB16_80:
	s_or_b32 exec_lo, exec_lo, s0
	s_wait_dscnt 0x0
	s_set_pc_i64 s[30:31]
.Lfunc_end16:
	.size	_ZN2at6native25elementwise_kernel_helperILb0EZZZNS0_15sin_kernel_cudaERNS_18TensorIteratorBaseEENKUlvE0_clEvENKUlvE1_clEvEUlN3c104HalfEE_NS0_6memory8policies11unroll_baseILi256ESt5arrayIPcLm2EE23TrivialOffsetCalculatorILi1EjESG_NS9_15LoadWithoutCastENS9_16StoreWithoutCastELi8ELi1EEEEEvT0_T1_, .Lfunc_end16-_ZN2at6native25elementwise_kernel_helperILb0EZZZNS0_15sin_kernel_cudaERNS_18TensorIteratorBaseEENKUlvE0_clEvENKUlvE1_clEvEUlN3c104HalfEE_NS0_6memory8policies11unroll_baseILi256ESt5arrayIPcLm2EE23TrivialOffsetCalculatorILi1EjESG_NS9_15LoadWithoutCastENS9_16StoreWithoutCastELi8ELi1EEEEEvT0_T1_
                                        ; -- End function
	.set .L_ZN2at6native25elementwise_kernel_helperILb0EZZZNS0_15sin_kernel_cudaERNS_18TensorIteratorBaseEENKUlvE0_clEvENKUlvE1_clEvEUlN3c104HalfEE_NS0_6memory8policies11unroll_baseILi256ESt5arrayIPcLm2EE23TrivialOffsetCalculatorILi1EjESG_NS9_15LoadWithoutCastENS9_16StoreWithoutCastELi8ELi1EEEEEvT0_T1_.num_vgpr, 32
	.set .L_ZN2at6native25elementwise_kernel_helperILb0EZZZNS0_15sin_kernel_cudaERNS_18TensorIteratorBaseEENKUlvE0_clEvENKUlvE1_clEvEUlN3c104HalfEE_NS0_6memory8policies11unroll_baseILi256ESt5arrayIPcLm2EE23TrivialOffsetCalculatorILi1EjESG_NS9_15LoadWithoutCastENS9_16StoreWithoutCastELi8ELi1EEEEEvT0_T1_.num_agpr, 0
	.set .L_ZN2at6native25elementwise_kernel_helperILb0EZZZNS0_15sin_kernel_cudaERNS_18TensorIteratorBaseEENKUlvE0_clEvENKUlvE1_clEvEUlN3c104HalfEE_NS0_6memory8policies11unroll_baseILi256ESt5arrayIPcLm2EE23TrivialOffsetCalculatorILi1EjESG_NS9_15LoadWithoutCastENS9_16StoreWithoutCastELi8ELi1EEEEEvT0_T1_.numbered_sgpr, 32
	.set .L_ZN2at6native25elementwise_kernel_helperILb0EZZZNS0_15sin_kernel_cudaERNS_18TensorIteratorBaseEENKUlvE0_clEvENKUlvE1_clEvEUlN3c104HalfEE_NS0_6memory8policies11unroll_baseILi256ESt5arrayIPcLm2EE23TrivialOffsetCalculatorILi1EjESG_NS9_15LoadWithoutCastENS9_16StoreWithoutCastELi8ELi1EEEEEvT0_T1_.num_named_barrier, 0
	.set .L_ZN2at6native25elementwise_kernel_helperILb0EZZZNS0_15sin_kernel_cudaERNS_18TensorIteratorBaseEENKUlvE0_clEvENKUlvE1_clEvEUlN3c104HalfEE_NS0_6memory8policies11unroll_baseILi256ESt5arrayIPcLm2EE23TrivialOffsetCalculatorILi1EjESG_NS9_15LoadWithoutCastENS9_16StoreWithoutCastELi8ELi1EEEEEvT0_T1_.private_seg_size, 0
	.set .L_ZN2at6native25elementwise_kernel_helperILb0EZZZNS0_15sin_kernel_cudaERNS_18TensorIteratorBaseEENKUlvE0_clEvENKUlvE1_clEvEUlN3c104HalfEE_NS0_6memory8policies11unroll_baseILi256ESt5arrayIPcLm2EE23TrivialOffsetCalculatorILi1EjESG_NS9_15LoadWithoutCastENS9_16StoreWithoutCastELi8ELi1EEEEEvT0_T1_.uses_vcc, 1
	.set .L_ZN2at6native25elementwise_kernel_helperILb0EZZZNS0_15sin_kernel_cudaERNS_18TensorIteratorBaseEENKUlvE0_clEvENKUlvE1_clEvEUlN3c104HalfEE_NS0_6memory8policies11unroll_baseILi256ESt5arrayIPcLm2EE23TrivialOffsetCalculatorILi1EjESG_NS9_15LoadWithoutCastENS9_16StoreWithoutCastELi8ELi1EEEEEvT0_T1_.uses_flat_scratch, 0
	.set .L_ZN2at6native25elementwise_kernel_helperILb0EZZZNS0_15sin_kernel_cudaERNS_18TensorIteratorBaseEENKUlvE0_clEvENKUlvE1_clEvEUlN3c104HalfEE_NS0_6memory8policies11unroll_baseILi256ESt5arrayIPcLm2EE23TrivialOffsetCalculatorILi1EjESG_NS9_15LoadWithoutCastENS9_16StoreWithoutCastELi8ELi1EEEEEvT0_T1_.has_dyn_sized_stack, 0
	.set .L_ZN2at6native25elementwise_kernel_helperILb0EZZZNS0_15sin_kernel_cudaERNS_18TensorIteratorBaseEENKUlvE0_clEvENKUlvE1_clEvEUlN3c104HalfEE_NS0_6memory8policies11unroll_baseILi256ESt5arrayIPcLm2EE23TrivialOffsetCalculatorILi1EjESG_NS9_15LoadWithoutCastENS9_16StoreWithoutCastELi8ELi1EEEEEvT0_T1_.has_recursion, 0
	.set .L_ZN2at6native25elementwise_kernel_helperILb0EZZZNS0_15sin_kernel_cudaERNS_18TensorIteratorBaseEENKUlvE0_clEvENKUlvE1_clEvEUlN3c104HalfEE_NS0_6memory8policies11unroll_baseILi256ESt5arrayIPcLm2EE23TrivialOffsetCalculatorILi1EjESG_NS9_15LoadWithoutCastENS9_16StoreWithoutCastELi8ELi1EEEEEvT0_T1_.has_indirect_call, 0
	.section	.AMDGPU.csdata,"",@progbits
; Function info:
; codeLenInByte = 9844
; TotalNumSgprs: 34
; NumVgprs: 32
; ScratchSize: 0
; MemoryBound: 0
	.text
	.p2align	2                               ; -- Begin function _ZN2at6native25elementwise_kernel_helperILb0EZZZNS0_15sin_kernel_cudaERNS_18TensorIteratorBaseEENKUlvE0_clEvENKUlvE1_clEvEUlN3c104HalfEE_NS0_6memory8policies10vectorizedILi8ESt5arrayIPcLm2EELi8EEEEEvT0_T1_
	.type	_ZN2at6native25elementwise_kernel_helperILb0EZZZNS0_15sin_kernel_cudaERNS_18TensorIteratorBaseEENKUlvE0_clEvENKUlvE1_clEvEUlN3c104HalfEE_NS0_6memory8policies10vectorizedILi8ESt5arrayIPcLm2EELi8EEEEEvT0_T1_,@function
_ZN2at6native25elementwise_kernel_helperILb0EZZZNS0_15sin_kernel_cudaERNS_18TensorIteratorBaseEENKUlvE0_clEvENKUlvE1_clEvEUlN3c104HalfEE_NS0_6memory8policies10vectorizedILi8ESt5arrayIPcLm2EELi8EEEEEvT0_T1_: ; @_ZN2at6native25elementwise_kernel_helperILb0EZZZNS0_15sin_kernel_cudaERNS_18TensorIteratorBaseEENKUlvE0_clEvENKUlvE1_clEvEUlN3c104HalfEE_NS0_6memory8policies10vectorizedILi8ESt5arrayIPcLm2EELi8EEEEEvT0_T1_
; %bb.0:
	s_wait_loadcnt_dscnt 0x0
	s_wait_kmcnt 0x0
	s_bfe_u32 s0, ttmp6, 0x4000c
	s_and_b32 s1, ttmp6, 15
	s_add_co_i32 s0, s0, 1
	s_getreg_b32 s2, hwreg(HW_REG_IB_STS2, 6, 4)
	s_mul_i32 s0, ttmp9, s0
	v_and_b32_e32 v4, 0x3ff, v31
	s_add_co_i32 s1, s1, s0
	s_cmp_eq_u32 s2, 0
	v_mov_b32_e32 v7, 0
	s_cselect_b32 s0, ttmp9, s1
	v_lshlrev_b32_e32 v6, 4, v4
	s_lshl_b32 s2, s0, 11
                                        ; implicit-def: $vgpr16
                                        ; implicit-def: $vgpr8
	s_mov_b32 s1, exec_lo
	s_ashr_i32 s3, s2, 31
	s_delay_alu instid0(SALU_CYCLE_1) | instskip(NEXT) | instid1(VALU_DEP_1)
	v_lshl_add_u64 v[2:3], s[2:3], 1, v[2:3]
	v_add_nc_u64_e32 v[2:3], v[2:3], v[6:7]
	flat_load_b128 v[2:5], v[2:3]
	s_wait_loadcnt_dscnt 0x0
	v_cvt_f32_f16_e32 v12, v2
	s_delay_alu instid0(VALU_DEP_1)
	v_and_b32_e32 v13, 0x7fffffff, v12
	s_wait_xcnt 0x0
	v_cmpx_ngt_f32_e64 0x48000000, |v12|
	s_xor_b32 s4, exec_lo, s1
	s_cbranch_execz .LBB17_2
; %bb.1:
	s_mov_b32 s0, 0x7fffff
	v_dual_mov_b32 v9, v7 :: v_dual_mov_b32 v15, v7
	v_and_or_b32 v8, v13, s0, 0x800000
	s_mov_b64 s[0:1], 0xfe5163ab
	v_dual_mov_b32 v17, v7 :: v_dual_mov_b32 v19, v7
	v_mov_b32_e32 v21, v7
	s_delay_alu instid0(VALU_DEP_3) | instskip(NEXT) | instid1(VALU_DEP_1)
	v_mul_u64_e32 v[10:11], s[0:1], v[8:9]
	v_dual_mov_b32 v14, v11 :: v_dual_lshrrev_b32 v9, 23, v13
	s_delay_alu instid0(VALU_DEP_1) | instskip(NEXT) | instid1(VALU_DEP_1)
	v_mad_nc_u64_u32 v[14:15], 0x3c439041, v8, v[14:15]
	v_mov_b32_e32 v16, v15
	s_delay_alu instid0(VALU_DEP_1) | instskip(NEXT) | instid1(VALU_DEP_1)
	v_mad_nc_u64_u32 v[16:17], 0xdb629599, v8, v[16:17]
	v_mov_b32_e32 v18, v17
	;; [unrolled: 3-line block ×3, first 2 shown]
	s_delay_alu instid0(VALU_DEP_1) | instskip(NEXT) | instid1(VALU_DEP_1)
	v_mad_nc_u64_u32 v[20:21], 0xfc2757d1, v8, v[20:21]
	v_dual_mov_b32 v23, v7 :: v_dual_mov_b32 v22, v21
	s_delay_alu instid0(VALU_DEP_1) | instskip(NEXT) | instid1(VALU_DEP_1)
	v_mad_nc_u64_u32 v[22:23], 0x4e441529, v8, v[22:23]
	v_dual_mov_b32 v24, v23 :: v_dual_add_nc_u32 v9, 0xffffff88, v9
	s_delay_alu instid0(VALU_DEP_1) | instskip(SKIP_1) | instid1(VALU_DEP_4)
	v_cmp_lt_u32_e32 vcc_lo, 63, v9
	v_cndmask_b32_e64 v11, 0, 0xffffffc0, vcc_lo
	v_cndmask_b32_e32 v15, v22, v18, vcc_lo
	s_delay_alu instid0(VALU_DEP_2) | instskip(SKIP_1) | instid1(VALU_DEP_2)
	v_dual_cndmask_b32 v10, v16, v10 :: v_dual_add_nc_u32 v11, v11, v9
	v_mov_b32_e32 v25, v7
	v_cmp_lt_u32_e64 s0, 31, v11
	s_delay_alu instid0(VALU_DEP_1) | instskip(NEXT) | instid1(VALU_DEP_1)
	v_cndmask_b32_e64 v7, 0, 0xffffffe0, s0
	v_add_nc_u32_e32 v7, v7, v11
	s_delay_alu instid0(VALU_DEP_4) | instskip(NEXT) | instid1(VALU_DEP_2)
	v_mad_nc_u64_u32 v[8:9], 0xa2f9836e, v8, v[24:25]
	v_cmp_lt_u32_e64 s1, 31, v7
	s_delay_alu instid0(VALU_DEP_1) | instskip(SKIP_1) | instid1(VALU_DEP_4)
	v_cndmask_b32_e64 v11, 0, 0xffffffe0, s1
	v_cndmask_b32_e32 v17, v20, v16, vcc_lo
	v_dual_cndmask_b32 v8, v8, v20 :: v_dual_cndmask_b32 v9, v9, v22
	s_delay_alu instid0(VALU_DEP_3) | instskip(NEXT) | instid1(VALU_DEP_2)
	v_dual_add_nc_u32 v7, v11, v7 :: v_dual_cndmask_b32 v11, v18, v14, vcc_lo
	v_dual_cndmask_b32 v14, v8, v15, s0 :: v_dual_cndmask_b32 v8, v9, v8, s0
	s_delay_alu instid0(VALU_DEP_2) | instskip(NEXT) | instid1(VALU_DEP_3)
	v_dual_cndmask_b32 v9, v15, v17, s0 :: v_dual_sub_nc_u32 v15, 32, v7
	v_cndmask_b32_e64 v17, v17, v11, s0
	v_cmp_eq_u32_e32 vcc_lo, 0, v7
	s_delay_alu instid0(VALU_DEP_3) | instskip(NEXT) | instid1(VALU_DEP_3)
	v_dual_cndmask_b32 v8, v8, v14, s1 :: v_dual_cndmask_b32 v14, v14, v9, s1
	v_cndmask_b32_e64 v9, v9, v17, s1
	s_delay_alu instid0(VALU_DEP_2) | instskip(NEXT) | instid1(VALU_DEP_2)
	v_alignbit_b32 v18, v8, v14, v15
	v_alignbit_b32 v16, v14, v9, v15
	s_delay_alu instid0(VALU_DEP_2) | instskip(NEXT) | instid1(VALU_DEP_2)
	v_dual_cndmask_b32 v7, v18, v8, vcc_lo :: v_dual_cndmask_b32 v8, v11, v10, s0
	v_cndmask_b32_e32 v10, v16, v14, vcc_lo
	s_delay_alu instid0(VALU_DEP_2) | instskip(NEXT) | instid1(VALU_DEP_3)
	v_bfe_u32 v11, v7, 29, 1
	v_cndmask_b32_e64 v8, v17, v8, s1
	s_delay_alu instid0(VALU_DEP_3) | instskip(NEXT) | instid1(VALU_DEP_2)
	v_alignbit_b32 v14, v7, v10, 30
	v_alignbit_b32 v15, v9, v8, v15
	s_delay_alu instid0(VALU_DEP_1) | instskip(NEXT) | instid1(VALU_DEP_1)
	v_dual_cndmask_b32 v9, v15, v9 :: v_dual_sub_nc_u32 v16, 0, v11
	v_xor_b32_e32 v14, v14, v16
	s_delay_alu instid0(VALU_DEP_2) | instskip(NEXT) | instid1(VALU_DEP_2)
	v_alignbit_b32 v10, v10, v9, 30
	v_clz_i32_u32_e32 v15, v14
	v_alignbit_b32 v8, v9, v8, 30
	s_delay_alu instid0(VALU_DEP_3) | instskip(NEXT) | instid1(VALU_DEP_3)
	v_xor_b32_e32 v9, v10, v16
	v_min_u32_e32 v15, 32, v15
	s_delay_alu instid0(VALU_DEP_3) | instskip(SKIP_1) | instid1(VALU_DEP_3)
	v_dual_lshrrev_b32 v16, 29, v7 :: v_dual_bitop2_b32 v8, v8, v16 bitop3:0x14
	v_lshrrev_b32_e32 v7, 30, v7
	v_dual_sub_nc_u32 v10, 31, v15 :: v_dual_lshlrev_b32 v17, 23, v15
	s_delay_alu instid0(VALU_DEP_1) | instskip(NEXT) | instid1(VALU_DEP_4)
	v_alignbit_b32 v14, v14, v9, v10
	v_alignbit_b32 v8, v9, v8, v10
	v_lshlrev_b32_e32 v9, 31, v16
	s_delay_alu instid0(VALU_DEP_2) | instskip(NEXT) | instid1(VALU_DEP_2)
	v_alignbit_b32 v10, v14, v8, 9
	v_dual_lshrrev_b32 v14, 9, v14 :: v_dual_bitop2_b32 v16, 0.5, v9 bitop3:0x54
	v_or_b32_e32 v9, 0x33000000, v9
	s_delay_alu instid0(VALU_DEP_3) | instskip(NEXT) | instid1(VALU_DEP_3)
	v_clz_i32_u32_e32 v18, v10
	v_sub_nc_u32_e32 v16, v16, v17
	s_delay_alu instid0(VALU_DEP_2) | instskip(NEXT) | instid1(VALU_DEP_1)
	v_min_u32_e32 v17, 32, v18
	v_add_lshl_u32 v15, v17, v15, 23
	s_delay_alu instid0(VALU_DEP_3) | instskip(SKIP_1) | instid1(VALU_DEP_2)
	v_or_b32_e32 v14, v14, v16
	v_not_b32_e32 v16, v17
	v_dual_mul_f32 v18, 0x3fc90fda, v14 :: v_dual_sub_nc_u32 v9, v9, v15
	s_delay_alu instid0(VALU_DEP_2) | instskip(SKIP_1) | instid1(VALU_DEP_3)
	v_alignbit_b32 v8, v10, v8, v16
	v_add_nc_u32_e32 v16, v11, v7
	v_fma_f32 v10, 0x3fc90fda, v14, -v18
	s_delay_alu instid0(VALU_DEP_3) | instskip(NEXT) | instid1(VALU_DEP_2)
	v_lshrrev_b32_e32 v8, 9, v8
	v_fmamk_f32 v10, v14, 0x33a22168, v10
	s_delay_alu instid0(VALU_DEP_2) | instskip(NEXT) | instid1(VALU_DEP_1)
	v_or_b32_e32 v8, v9, v8
	v_fmac_f32_e32 v10, 0x3fc90fda, v8
	s_delay_alu instid0(VALU_DEP_1)
	v_add_f32_e32 v8, v18, v10
.LBB17_2:
	s_and_not1_saveexec_b32 s0, s4
; %bb.3:
	v_mul_f32_e64 v7, 0x3f22f983, |v12|
	s_delay_alu instid0(VALU_DEP_1) | instskip(NEXT) | instid1(VALU_DEP_1)
	v_rndne_f32_e32 v7, v7
	v_fma_f32 v8, 0xbfc90fda, v7, |v12|
	v_cvt_i32_f32_e32 v16, v7
	s_delay_alu instid0(VALU_DEP_2) | instskip(NEXT) | instid1(VALU_DEP_1)
	v_fmamk_f32 v8, v7, 0xb3a22168, v8
	v_fmamk_f32 v8, v7, 0xa7c234c4, v8
; %bb.4:
	s_or_b32 exec_lo, exec_lo, s0
	v_lshrrev_b32_e32 v2, 16, v2
                                        ; implicit-def: $vgpr7
	s_mov_b32 s1, exec_lo
	s_delay_alu instid0(VALU_DEP_1) | instskip(NEXT) | instid1(VALU_DEP_1)
	v_cvt_f32_f16_e32 v14, v2
	v_and_b32_e32 v15, 0x7fffffff, v14
	v_cmpx_ngt_f32_e64 0x48000000, |v14|
	s_xor_b32 s4, exec_lo, s1
	s_cbranch_execz .LBB17_6
; %bb.5:
	s_mov_b32 s0, 0x7fffff
	v_mov_b32_e32 v11, 0
	v_and_or_b32 v10, v15, s0, 0x800000
	s_mov_b64 s[0:1], 0xfe5163ab
	v_lshrrev_b32_e32 v2, 23, v15
	s_delay_alu instid0(VALU_DEP_2) | instskip(NEXT) | instid1(VALU_DEP_1)
	v_mul_u64_e32 v[18:19], s[0:1], v[10:11]
	v_dual_mov_b32 v20, v19 :: v_dual_mov_b32 v21, v11
	v_dual_mov_b32 v23, v11 :: v_dual_mov_b32 v25, v11
	s_delay_alu instid0(VALU_DEP_4) | instskip(SKIP_1) | instid1(VALU_DEP_4)
	v_dual_mov_b32 v27, v11 :: v_dual_add_nc_u32 v2, 0xffffff88, v2
	v_mov_b32_e32 v31, v11
	v_mad_nc_u64_u32 v[20:21], 0x3c439041, v10, v[20:21]
	s_delay_alu instid0(VALU_DEP_3) | instskip(SKIP_1) | instid1(VALU_DEP_3)
	v_cmp_lt_u32_e32 vcc_lo, 63, v2
	v_cndmask_b32_e64 v7, 0, 0xffffffc0, vcc_lo
	v_mov_b32_e32 v22, v21
	s_delay_alu instid0(VALU_DEP_1) | instskip(NEXT) | instid1(VALU_DEP_1)
	v_mad_nc_u64_u32 v[22:23], 0xdb629599, v10, v[22:23]
	v_dual_mov_b32 v24, v23 :: v_dual_cndmask_b32 v18, v22, v18, vcc_lo
	s_delay_alu instid0(VALU_DEP_1) | instskip(NEXT) | instid1(VALU_DEP_1)
	v_mad_nc_u64_u32 v[24:25], 0xf534ddc0, v10, v[24:25]
	v_mov_b32_e32 v26, v25
	s_delay_alu instid0(VALU_DEP_1) | instskip(NEXT) | instid1(VALU_DEP_1)
	v_mad_nc_u64_u32 v[26:27], 0xfc2757d1, v10, v[26:27]
	v_dual_mov_b32 v29, v11 :: v_dual_mov_b32 v28, v27
	s_delay_alu instid0(VALU_DEP_2) | instskip(NEXT) | instid1(VALU_DEP_2)
	v_cndmask_b32_e32 v17, v26, v22, vcc_lo
	v_mad_nc_u64_u32 v[28:29], 0x4e441529, v10, v[28:29]
	s_delay_alu instid0(VALU_DEP_1) | instskip(NEXT) | instid1(VALU_DEP_1)
	v_dual_add_nc_u32 v2, v7, v2 :: v_dual_mov_b32 v30, v29
	v_cmp_lt_u32_e64 s0, 31, v2
	s_delay_alu instid0(VALU_DEP_3) | instskip(NEXT) | instid1(VALU_DEP_3)
	v_cndmask_b32_e32 v9, v28, v24, vcc_lo
	v_mad_nc_u64_u32 v[10:11], 0xa2f9836e, v10, v[30:31]
	s_delay_alu instid0(VALU_DEP_3) | instskip(NEXT) | instid1(VALU_DEP_1)
	v_cndmask_b32_e64 v7, 0, 0xffffffe0, s0
	v_add_nc_u32_e32 v2, v7, v2
	s_delay_alu instid0(VALU_DEP_1) | instskip(NEXT) | instid1(VALU_DEP_4)
	v_cmp_lt_u32_e64 s1, 31, v2
	v_dual_cndmask_b32 v10, v10, v26 :: v_dual_cndmask_b32 v11, v11, v28
	s_delay_alu instid0(VALU_DEP_2) | instskip(NEXT) | instid1(VALU_DEP_1)
	v_cndmask_b32_e64 v7, 0, 0xffffffe0, s1
	v_dual_cndmask_b32 v19, v10, v9, s0 :: v_dual_add_nc_u32 v2, v7, v2
	s_delay_alu instid0(VALU_DEP_3) | instskip(NEXT) | instid1(VALU_DEP_2)
	v_dual_cndmask_b32 v7, v24, v20, vcc_lo :: v_dual_cndmask_b32 v10, v11, v10, s0
	v_dual_cndmask_b32 v9, v9, v17, s0 :: v_dual_sub_nc_u32 v11, 32, v2
	s_delay_alu instid0(VALU_DEP_2) | instskip(NEXT) | instid1(VALU_DEP_2)
	v_cndmask_b32_e64 v17, v17, v7, s0
	v_dual_cndmask_b32 v10, v10, v19, s1 :: v_dual_cndmask_b32 v19, v19, v9, s1
	v_cmp_eq_u32_e32 vcc_lo, 0, v2
	s_delay_alu instid0(VALU_DEP_3) | instskip(NEXT) | instid1(VALU_DEP_3)
	v_dual_cndmask_b32 v7, v7, v18, s0 :: v_dual_cndmask_b32 v9, v9, v17, s1
	v_alignbit_b32 v20, v10, v19, v11
	s_delay_alu instid0(VALU_DEP_2) | instskip(NEXT) | instid1(VALU_DEP_1)
	v_alignbit_b32 v21, v19, v9, v11
	v_dual_cndmask_b32 v2, v20, v10, vcc_lo :: v_dual_cndmask_b32 v10, v21, v19, vcc_lo
	s_delay_alu instid0(VALU_DEP_1) | instskip(NEXT) | instid1(VALU_DEP_1)
	v_bfe_u32 v18, v2, 29, 1
	v_dual_sub_nc_u32 v19, 0, v18 :: v_dual_cndmask_b32 v7, v17, v7, s1
	s_delay_alu instid0(VALU_DEP_3) | instskip(NEXT) | instid1(VALU_DEP_2)
	v_alignbit_b32 v17, v2, v10, 30
	v_alignbit_b32 v11, v9, v7, v11
	s_delay_alu instid0(VALU_DEP_1) | instskip(NEXT) | instid1(VALU_DEP_1)
	v_dual_cndmask_b32 v9, v11, v9, vcc_lo :: v_dual_bitop2_b32 v17, v17, v19 bitop3:0x14
	v_alignbit_b32 v10, v10, v9, 30
	v_alignbit_b32 v7, v9, v7, 30
	s_delay_alu instid0(VALU_DEP_2) | instskip(NEXT) | instid1(VALU_DEP_2)
	v_xor_b32_e32 v9, v10, v19
	v_dual_lshrrev_b32 v19, 29, v2 :: v_dual_bitop2_b32 v7, v7, v19 bitop3:0x14
	v_clz_i32_u32_e32 v11, v17
	v_lshrrev_b32_e32 v2, 30, v2
	s_delay_alu instid0(VALU_DEP_2) | instskip(NEXT) | instid1(VALU_DEP_1)
	v_min_u32_e32 v11, 32, v11
	v_sub_nc_u32_e32 v10, 31, v11
	s_delay_alu instid0(VALU_DEP_1) | instskip(SKIP_3) | instid1(VALU_DEP_3)
	v_alignbit_b32 v17, v17, v9, v10
	v_alignbit_b32 v7, v9, v7, v10
	v_lshlrev_b32_e32 v9, 31, v19
	v_lshlrev_b32_e32 v20, 23, v11
	v_alignbit_b32 v10, v17, v7, 9
	s_delay_alu instid0(VALU_DEP_3) | instskip(SKIP_2) | instid1(VALU_DEP_4)
	v_or_b32_e32 v19, 0.5, v9
	v_lshrrev_b32_e32 v17, 9, v17
	v_or_b32_e32 v9, 0x33000000, v9
	v_clz_i32_u32_e32 v21, v10
	s_delay_alu instid0(VALU_DEP_4) | instskip(NEXT) | instid1(VALU_DEP_2)
	v_sub_nc_u32_e32 v19, v19, v20
	v_min_u32_e32 v20, 32, v21
	s_delay_alu instid0(VALU_DEP_2) | instskip(NEXT) | instid1(VALU_DEP_2)
	v_or_b32_e32 v17, v17, v19
	v_not_b32_e32 v19, v20
	v_add_lshl_u32 v11, v20, v11, 23
	s_delay_alu instid0(VALU_DEP_2) | instskip(NEXT) | instid1(VALU_DEP_2)
	v_alignbit_b32 v7, v10, v7, v19
	v_sub_nc_u32_e32 v9, v9, v11
	s_delay_alu instid0(VALU_DEP_2) | instskip(NEXT) | instid1(VALU_DEP_1)
	v_lshrrev_b32_e32 v7, 9, v7
	v_or_b32_e32 v7, v9, v7
	v_mul_f32_e32 v21, 0x3fc90fda, v17
	s_delay_alu instid0(VALU_DEP_1) | instskip(NEXT) | instid1(VALU_DEP_1)
	v_fma_f32 v10, 0x3fc90fda, v17, -v21
	v_fmamk_f32 v10, v17, 0x33a22168, v10
	s_delay_alu instid0(VALU_DEP_1) | instskip(NEXT) | instid1(VALU_DEP_1)
	v_dual_fmac_f32 v10, 0x3fc90fda, v7 :: v_dual_add_nc_u32 v7, v18, v2
	v_add_f32_e32 v9, v21, v10
.LBB17_6:
	s_and_not1_saveexec_b32 s0, s4
; %bb.7:
	v_mul_f32_e64 v2, 0x3f22f983, |v14|
	s_delay_alu instid0(VALU_DEP_1) | instskip(NEXT) | instid1(VALU_DEP_1)
	v_rndne_f32_e32 v2, v2
	v_fma_f32 v7, 0xbfc90fda, v2, |v14|
	s_delay_alu instid0(VALU_DEP_1) | instskip(NEXT) | instid1(VALU_DEP_1)
	v_fmamk_f32 v7, v2, 0xb3a22168, v7
	v_fmamk_f32 v9, v2, 0xa7c234c4, v7
	v_cvt_i32_f32_e32 v7, v2
; %bb.8:
	s_or_b32 exec_lo, exec_lo, s0
	v_cvt_f32_f16_e32 v17, v3
                                        ; implicit-def: $vgpr20
                                        ; implicit-def: $vgpr2
	s_mov_b32 s1, exec_lo
	s_delay_alu instid0(VALU_DEP_1)
	v_and_b32_e32 v18, 0x7fffffff, v17
	v_cmpx_ngt_f32_e64 0x48000000, |v17|
	s_xor_b32 s4, exec_lo, s1
	s_cbranch_execz .LBB17_10
; %bb.9:
	s_mov_b32 s0, 0x7fffff
	v_mov_b32_e32 v11, 0
	v_and_or_b32 v10, v18, s0, 0x800000
	s_mov_b64 s[0:1], 0xfe5163ab
	v_lshrrev_b32_e32 v2, 23, v18
	s_delay_alu instid0(VALU_DEP_2) | instskip(NEXT) | instid1(VALU_DEP_1)
	v_mul_u64_e32 v[20:21], s[0:1], v[10:11]
	v_dual_mov_b32 v22, v21 :: v_dual_mov_b32 v23, v11
	v_dual_mov_b32 v25, v11 :: v_dual_mov_b32 v27, v11
	s_delay_alu instid0(VALU_DEP_4) | instskip(SKIP_1) | instid1(VALU_DEP_4)
	v_dual_mov_b32 v29, v11 :: v_dual_add_nc_u32 v2, 0xffffff88, v2
	v_mov_b32_e32 v33, v11
	v_mad_nc_u64_u32 v[22:23], 0x3c439041, v10, v[22:23]
	s_delay_alu instid0(VALU_DEP_3) | instskip(SKIP_1) | instid1(VALU_DEP_3)
	v_cmp_lt_u32_e32 vcc_lo, 63, v2
	v_cndmask_b32_e64 v19, 0, 0xffffffc0, vcc_lo
	v_mov_b32_e32 v24, v23
	s_delay_alu instid0(VALU_DEP_1) | instskip(NEXT) | instid1(VALU_DEP_1)
	v_mad_nc_u64_u32 v[24:25], 0xdb629599, v10, v[24:25]
	v_dual_mov_b32 v26, v25 :: v_dual_cndmask_b32 v20, v24, v20, vcc_lo
	s_delay_alu instid0(VALU_DEP_1) | instskip(NEXT) | instid1(VALU_DEP_1)
	v_mad_nc_u64_u32 v[26:27], 0xf534ddc0, v10, v[26:27]
	v_mov_b32_e32 v28, v27
	s_delay_alu instid0(VALU_DEP_1) | instskip(NEXT) | instid1(VALU_DEP_1)
	v_mad_nc_u64_u32 v[28:29], 0xfc2757d1, v10, v[28:29]
	v_dual_mov_b32 v31, v11 :: v_dual_mov_b32 v30, v29
	s_delay_alu instid0(VALU_DEP_2) | instskip(NEXT) | instid1(VALU_DEP_2)
	v_cndmask_b32_e32 v23, v28, v24, vcc_lo
	v_mad_nc_u64_u32 v[30:31], 0x4e441529, v10, v[30:31]
	s_delay_alu instid0(VALU_DEP_1) | instskip(NEXT) | instid1(VALU_DEP_1)
	v_dual_mov_b32 v32, v31 :: v_dual_cndmask_b32 v21, v30, v26
	v_mad_nc_u64_u32 v[10:11], 0xa2f9836e, v10, v[32:33]
	s_delay_alu instid0(VALU_DEP_1) | instskip(NEXT) | instid1(VALU_DEP_1)
	v_dual_add_nc_u32 v2, v19, v2 :: v_dual_cndmask_b32 v10, v10, v28, vcc_lo
	v_cmp_lt_u32_e64 s0, 31, v2
	s_delay_alu instid0(VALU_DEP_3) | instskip(NEXT) | instid1(VALU_DEP_2)
	v_cndmask_b32_e32 v11, v11, v30, vcc_lo
	v_cndmask_b32_e64 v19, 0, 0xffffffe0, s0
	s_delay_alu instid0(VALU_DEP_1) | instskip(NEXT) | instid1(VALU_DEP_1)
	v_add_nc_u32_e32 v2, v19, v2
	v_cmp_lt_u32_e64 s1, 31, v2
	s_delay_alu instid0(VALU_DEP_1) | instskip(NEXT) | instid1(VALU_DEP_1)
	v_cndmask_b32_e64 v19, 0, 0xffffffe0, s1
	v_add_nc_u32_e32 v2, v19, v2
	v_cndmask_b32_e32 v19, v26, v22, vcc_lo
	v_dual_cndmask_b32 v22, v10, v21, s0 :: v_dual_cndmask_b32 v10, v11, v10, s0
	s_delay_alu instid0(VALU_DEP_3) | instskip(NEXT) | instid1(VALU_DEP_3)
	v_dual_cndmask_b32 v11, v21, v23, s0 :: v_dual_sub_nc_u32 v21, 32, v2
	v_cndmask_b32_e64 v23, v23, v19, s0
	v_cmp_eq_u32_e32 vcc_lo, 0, v2
	s_delay_alu instid0(VALU_DEP_4) | instskip(NEXT) | instid1(VALU_DEP_4)
	v_cndmask_b32_e64 v10, v10, v22, s1
	v_cndmask_b32_e64 v22, v22, v11, s1
	s_delay_alu instid0(VALU_DEP_4) | instskip(NEXT) | instid1(VALU_DEP_2)
	v_cndmask_b32_e64 v11, v11, v23, s1
	v_alignbit_b32 v25, v10, v22, v21
	s_delay_alu instid0(VALU_DEP_2) | instskip(NEXT) | instid1(VALU_DEP_2)
	v_alignbit_b32 v24, v22, v11, v21
	v_dual_cndmask_b32 v2, v25, v10, vcc_lo :: v_dual_cndmask_b32 v10, v19, v20, s0
	s_delay_alu instid0(VALU_DEP_1) | instskip(NEXT) | instid1(VALU_DEP_3)
	v_bfe_u32 v20, v2, 29, 1
	v_cndmask_b32_e32 v19, v24, v22, vcc_lo
	s_delay_alu instid0(VALU_DEP_2) | instskip(NEXT) | instid1(VALU_DEP_2)
	v_dual_cndmask_b32 v10, v23, v10, s1 :: v_dual_sub_nc_u32 v23, 0, v20
	v_alignbit_b32 v22, v2, v19, 30
	s_delay_alu instid0(VALU_DEP_1) | instskip(NEXT) | instid1(VALU_DEP_3)
	v_xor_b32_e32 v22, v22, v23
	v_alignbit_b32 v21, v11, v10, v21
	s_delay_alu instid0(VALU_DEP_1) | instskip(NEXT) | instid1(VALU_DEP_3)
	v_cndmask_b32_e32 v11, v21, v11, vcc_lo
	v_clz_i32_u32_e32 v21, v22
	s_delay_alu instid0(VALU_DEP_2) | instskip(NEXT) | instid1(VALU_DEP_2)
	v_alignbit_b32 v19, v19, v11, 30
	v_min_u32_e32 v21, 32, v21
	v_alignbit_b32 v10, v11, v10, 30
	s_delay_alu instid0(VALU_DEP_2) | instskip(NEXT) | instid1(VALU_DEP_2)
	v_dual_sub_nc_u32 v19, 31, v21 :: v_dual_bitop2_b32 v11, v19, v23 bitop3:0x14
	v_dual_lshrrev_b32 v23, 29, v2 :: v_dual_bitop2_b32 v10, v10, v23 bitop3:0x14
	v_lshlrev_b32_e32 v24, 23, v21
	s_delay_alu instid0(VALU_DEP_3) | instskip(NEXT) | instid1(VALU_DEP_3)
	v_alignbit_b32 v22, v22, v11, v19
	v_alignbit_b32 v10, v11, v10, v19
	s_delay_alu instid0(VALU_DEP_4) | instskip(NEXT) | instid1(VALU_DEP_2)
	v_lshlrev_b32_e32 v11, 31, v23
	v_alignbit_b32 v19, v22, v10, 9
	s_delay_alu instid0(VALU_DEP_2) | instskip(SKIP_1) | instid1(VALU_DEP_3)
	v_dual_lshrrev_b32 v22, 9, v22 :: v_dual_bitop2_b32 v23, 0.5, v11 bitop3:0x54
	v_or_b32_e32 v11, 0x33000000, v11
	v_clz_i32_u32_e32 v25, v19
	s_delay_alu instid0(VALU_DEP_3) | instskip(NEXT) | instid1(VALU_DEP_2)
	v_sub_nc_u32_e32 v23, v23, v24
	v_min_u32_e32 v24, 32, v25
	s_delay_alu instid0(VALU_DEP_1) | instskip(NEXT) | instid1(VALU_DEP_3)
	v_add_lshl_u32 v21, v24, v21, 23
	v_or_b32_e32 v22, v22, v23
	v_not_b32_e32 v23, v24
	s_delay_alu instid0(VALU_DEP_3) | instskip(NEXT) | instid1(VALU_DEP_3)
	v_sub_nc_u32_e32 v11, v11, v21
	v_mul_f32_e32 v25, 0x3fc90fda, v22
	s_delay_alu instid0(VALU_DEP_3) | instskip(NEXT) | instid1(VALU_DEP_2)
	v_alignbit_b32 v10, v19, v10, v23
	v_fma_f32 v19, 0x3fc90fda, v22, -v25
	s_delay_alu instid0(VALU_DEP_1) | instskip(NEXT) | instid1(VALU_DEP_1)
	v_dual_fmamk_f32 v19, v22, 0x33a22168, v19 :: v_dual_lshrrev_b32 v10, 9, v10
	v_or_b32_e32 v10, v11, v10
	s_delay_alu instid0(VALU_DEP_1) | instskip(SKIP_1) | instid1(VALU_DEP_1)
	v_fmac_f32_e32 v19, 0x3fc90fda, v10
	v_lshrrev_b32_e32 v10, 30, v2
	v_dual_add_nc_u32 v20, v20, v10 :: v_dual_add_f32 v2, v25, v19
.LBB17_10:
	s_and_not1_saveexec_b32 s0, s4
; %bb.11:
	v_mul_f32_e64 v2, 0x3f22f983, |v17|
	s_delay_alu instid0(VALU_DEP_1) | instskip(NEXT) | instid1(VALU_DEP_1)
	v_rndne_f32_e32 v10, v2
	v_fma_f32 v2, 0xbfc90fda, v10, |v17|
	v_cvt_i32_f32_e32 v20, v10
	s_delay_alu instid0(VALU_DEP_2) | instskip(NEXT) | instid1(VALU_DEP_1)
	v_fmamk_f32 v2, v10, 0xb3a22168, v2
	v_fmamk_f32 v2, v10, 0xa7c234c4, v2
; %bb.12:
	s_or_b32 exec_lo, exec_lo, s0
	v_lshrrev_b32_e32 v3, 16, v3
                                        ; implicit-def: $vgpr24
	s_mov_b32 s1, exec_lo
	s_delay_alu instid0(VALU_DEP_1) | instskip(NEXT) | instid1(VALU_DEP_1)
	v_cvt_f32_f16_e32 v19, v3
	v_and_b32_e32 v21, 0x7fffffff, v19
	v_cmpx_ngt_f32_e64 0x48000000, |v19|
	s_xor_b32 s4, exec_lo, s1
	s_cbranch_execz .LBB17_14
; %bb.13:
	s_mov_b32 s0, 0x7fffff
	v_mov_b32_e32 v11, 0
	v_and_or_b32 v10, v21, s0, 0x800000
	s_mov_b64 s[0:1], 0xfe5163ab
	v_lshrrev_b32_e32 v3, 23, v21
	s_delay_alu instid0(VALU_DEP_2) | instskip(NEXT) | instid1(VALU_DEP_1)
	v_mul_u64_e32 v[22:23], s[0:1], v[10:11]
	v_dual_mov_b32 v24, v23 :: v_dual_mov_b32 v25, v11
	v_dual_mov_b32 v27, v11 :: v_dual_mov_b32 v29, v11
	v_mov_b32_e32 v31, v11
	s_delay_alu instid0(VALU_DEP_3) | instskip(NEXT) | instid1(VALU_DEP_1)
	v_mad_nc_u64_u32 v[24:25], 0x3c439041, v10, v[24:25]
	v_mov_b32_e32 v26, v25
	s_delay_alu instid0(VALU_DEP_1) | instskip(NEXT) | instid1(VALU_DEP_1)
	v_mad_nc_u64_u32 v[26:27], 0xdb629599, v10, v[26:27]
	v_mov_b32_e32 v28, v27
	s_delay_alu instid0(VALU_DEP_1) | instskip(NEXT) | instid1(VALU_DEP_1)
	v_mad_nc_u64_u32 v[28:29], 0xf534ddc0, v10, v[28:29]
	v_mov_b32_e32 v30, v29
	s_delay_alu instid0(VALU_DEP_1) | instskip(NEXT) | instid1(VALU_DEP_1)
	v_mad_nc_u64_u32 v[30:31], 0xfc2757d1, v10, v[30:31]
	v_dual_mov_b32 v33, v11 :: v_dual_mov_b32 v32, v31
	s_delay_alu instid0(VALU_DEP_1) | instskip(NEXT) | instid1(VALU_DEP_1)
	v_mad_nc_u64_u32 v[32:33], 0x4e441529, v10, v[32:33]
	v_dual_mov_b32 v34, v33 :: v_dual_add_nc_u32 v3, 0xffffff88, v3
	s_delay_alu instid0(VALU_DEP_1) | instskip(SKIP_2) | instid1(VALU_DEP_2)
	v_cmp_lt_u32_e32 vcc_lo, 63, v3
	v_mov_b32_e32 v35, v11
	v_cndmask_b32_e64 v23, 0, 0xffffffc0, vcc_lo
	v_mad_nc_u64_u32 v[10:11], 0xa2f9836e, v10, v[34:35]
	v_dual_cndmask_b32 v25, v32, v28, vcc_lo :: v_dual_cndmask_b32 v27, v30, v26, vcc_lo
	s_delay_alu instid0(VALU_DEP_3) | instskip(NEXT) | instid1(VALU_DEP_1)
	v_dual_cndmask_b32 v22, v26, v22 :: v_dual_add_nc_u32 v3, v23, v3
	v_cmp_lt_u32_e64 s0, 31, v3
	s_delay_alu instid0(VALU_DEP_4) | instskip(NEXT) | instid1(VALU_DEP_2)
	v_dual_cndmask_b32 v10, v10, v30 :: v_dual_cndmask_b32 v11, v11, v32
	v_cndmask_b32_e64 v23, 0, 0xffffffe0, s0
	s_delay_alu instid0(VALU_DEP_1) | instskip(NEXT) | instid1(VALU_DEP_1)
	v_add_nc_u32_e32 v3, v23, v3
	v_cmp_lt_u32_e64 s1, 31, v3
	s_delay_alu instid0(VALU_DEP_1) | instskip(NEXT) | instid1(VALU_DEP_1)
	v_cndmask_b32_e64 v23, 0, 0xffffffe0, s1
	v_dual_add_nc_u32 v3, v23, v3 :: v_dual_cndmask_b32 v23, v28, v24, vcc_lo
	v_dual_cndmask_b32 v24, v10, v25, s0 :: v_dual_cndmask_b32 v10, v11, v10, s0
	v_cndmask_b32_e64 v11, v25, v27, s0
	s_delay_alu instid0(VALU_DEP_3) | instskip(NEXT) | instid1(VALU_DEP_4)
	v_sub_nc_u32_e32 v25, 32, v3
	v_cndmask_b32_e64 v27, v27, v23, s0
	v_cmp_eq_u32_e32 vcc_lo, 0, v3
	s_delay_alu instid0(VALU_DEP_4) | instskip(NEXT) | instid1(VALU_DEP_1)
	v_dual_cndmask_b32 v10, v10, v24, s1 :: v_dual_cndmask_b32 v24, v24, v11, s1
	v_alignbit_b32 v28, v10, v24, v25
	s_delay_alu instid0(VALU_DEP_1) | instskip(SKIP_1) | instid1(VALU_DEP_2)
	v_dual_cndmask_b32 v11, v11, v27, s1 :: v_dual_cndmask_b32 v3, v28, v10, vcc_lo
	v_cndmask_b32_e64 v10, v23, v22, s0
	v_alignbit_b32 v26, v24, v11, v25
	s_delay_alu instid0(VALU_DEP_3) | instskip(NEXT) | instid1(VALU_DEP_2)
	v_bfe_u32 v23, v3, 29, 1
	v_dual_cndmask_b32 v10, v27, v10, s1 :: v_dual_cndmask_b32 v22, v26, v24, vcc_lo
	s_delay_alu instid0(VALU_DEP_2) | instskip(NEXT) | instid1(VALU_DEP_2)
	v_sub_nc_u32_e32 v26, 0, v23
	v_alignbit_b32 v25, v11, v10, v25
	s_delay_alu instid0(VALU_DEP_3) | instskip(NEXT) | instid1(VALU_DEP_1)
	v_alignbit_b32 v24, v3, v22, 30
	v_dual_cndmask_b32 v11, v25, v11, vcc_lo :: v_dual_bitop2_b32 v24, v24, v26 bitop3:0x14
	s_delay_alu instid0(VALU_DEP_1) | instskip(NEXT) | instid1(VALU_DEP_2)
	v_alignbit_b32 v22, v22, v11, 30
	v_clz_i32_u32_e32 v25, v24
	v_alignbit_b32 v10, v11, v10, 30
	s_delay_alu instid0(VALU_DEP_3) | instskip(NEXT) | instid1(VALU_DEP_3)
	v_xor_b32_e32 v11, v22, v26
	v_min_u32_e32 v25, 32, v25
	s_delay_alu instid0(VALU_DEP_1) | instskip(SKIP_1) | instid1(VALU_DEP_2)
	v_dual_sub_nc_u32 v22, 31, v25 :: v_dual_bitop2_b32 v10, v10, v26 bitop3:0x14
	v_dual_lshrrev_b32 v26, 29, v3 :: v_dual_lshlrev_b32 v27, 23, v25
	v_alignbit_b32 v24, v24, v11, v22
	s_delay_alu instid0(VALU_DEP_3) | instskip(NEXT) | instid1(VALU_DEP_3)
	v_alignbit_b32 v10, v11, v10, v22
	v_lshlrev_b32_e32 v11, 31, v26
	s_delay_alu instid0(VALU_DEP_2) | instskip(NEXT) | instid1(VALU_DEP_2)
	v_alignbit_b32 v22, v24, v10, 9
	v_dual_lshrrev_b32 v24, 9, v24 :: v_dual_bitop2_b32 v26, 0.5, v11 bitop3:0x54
	v_or_b32_e32 v11, 0x33000000, v11
	s_delay_alu instid0(VALU_DEP_3) | instskip(NEXT) | instid1(VALU_DEP_3)
	v_clz_i32_u32_e32 v28, v22
	v_sub_nc_u32_e32 v26, v26, v27
	s_delay_alu instid0(VALU_DEP_2) | instskip(NEXT) | instid1(VALU_DEP_1)
	v_min_u32_e32 v27, 32, v28
	v_add_lshl_u32 v25, v27, v25, 23
	s_delay_alu instid0(VALU_DEP_3) | instskip(SKIP_1) | instid1(VALU_DEP_2)
	v_or_b32_e32 v24, v24, v26
	v_not_b32_e32 v26, v27
	v_dual_mul_f32 v28, 0x3fc90fda, v24 :: v_dual_sub_nc_u32 v11, v11, v25
	s_delay_alu instid0(VALU_DEP_2) | instskip(NEXT) | instid1(VALU_DEP_2)
	v_alignbit_b32 v10, v22, v10, v26
	v_fma_f32 v22, 0x3fc90fda, v24, -v28
	s_delay_alu instid0(VALU_DEP_2) | instskip(NEXT) | instid1(VALU_DEP_2)
	v_lshrrev_b32_e32 v10, 9, v10
	v_fmamk_f32 v22, v24, 0x33a22168, v22
	s_delay_alu instid0(VALU_DEP_2) | instskip(NEXT) | instid1(VALU_DEP_1)
	v_or_b32_e32 v10, v11, v10
	v_fmac_f32_e32 v22, 0x3fc90fda, v10
	s_delay_alu instid0(VALU_DEP_1) | instskip(NEXT) | instid1(VALU_DEP_1)
	v_dual_add_f32 v3, v28, v22 :: v_dual_lshrrev_b32 v10, 30, v3
	v_add_nc_u32_e32 v24, v23, v10
.LBB17_14:
	s_and_not1_saveexec_b32 s0, s4
; %bb.15:
	v_mul_f32_e64 v3, 0x3f22f983, |v19|
	s_delay_alu instid0(VALU_DEP_1) | instskip(NEXT) | instid1(VALU_DEP_1)
	v_rndne_f32_e32 v10, v3
	v_fma_f32 v3, 0xbfc90fda, v10, |v19|
	v_cvt_i32_f32_e32 v24, v10
	s_delay_alu instid0(VALU_DEP_2) | instskip(NEXT) | instid1(VALU_DEP_1)
	v_fmamk_f32 v3, v10, 0xb3a22168, v3
	v_fmamk_f32 v3, v10, 0xa7c234c4, v3
; %bb.16:
	s_or_b32 exec_lo, exec_lo, s0
	v_cvt_f32_f16_e32 v22, v4
                                        ; implicit-def: $vgpr27
                                        ; implicit-def: $vgpr10
	s_mov_b32 s1, exec_lo
	s_delay_alu instid0(VALU_DEP_1)
	v_and_b32_e32 v23, 0x7fffffff, v22
	v_cmpx_ngt_f32_e64 0x48000000, |v22|
	s_xor_b32 s4, exec_lo, s1
	s_cbranch_execz .LBB17_18
; %bb.17:
	s_mov_b32 s0, 0x7fffff
	v_mov_b32_e32 v11, 0
	v_and_or_b32 v10, v23, s0, 0x800000
	s_mov_b64 s[0:1], 0xfe5163ab
	v_lshrrev_b32_e32 v25, 23, v23
	s_delay_alu instid0(VALU_DEP_2) | instskip(NEXT) | instid1(VALU_DEP_1)
	v_mul_u64_e32 v[26:27], s[0:1], v[10:11]
	v_dual_mov_b32 v28, v27 :: v_dual_mov_b32 v29, v11
	v_dual_mov_b32 v31, v11 :: v_dual_mov_b32 v33, v11
	v_mov_b32_e32 v35, v11
	s_delay_alu instid0(VALU_DEP_3) | instskip(NEXT) | instid1(VALU_DEP_1)
	v_mad_nc_u64_u32 v[28:29], 0x3c439041, v10, v[28:29]
	v_mov_b32_e32 v30, v29
	s_delay_alu instid0(VALU_DEP_1) | instskip(NEXT) | instid1(VALU_DEP_1)
	v_mad_nc_u64_u32 v[30:31], 0xdb629599, v10, v[30:31]
	v_mov_b32_e32 v32, v31
	s_delay_alu instid0(VALU_DEP_1) | instskip(NEXT) | instid1(VALU_DEP_1)
	;; [unrolled: 3-line block ×3, first 2 shown]
	v_mad_nc_u64_u32 v[34:35], 0xfc2757d1, v10, v[34:35]
	v_dual_mov_b32 v37, v11 :: v_dual_mov_b32 v36, v35
	s_delay_alu instid0(VALU_DEP_1) | instskip(NEXT) | instid1(VALU_DEP_1)
	v_mad_nc_u64_u32 v[36:37], 0x4e441529, v10, v[36:37]
	v_dual_mov_b32 v38, v37 :: v_dual_add_nc_u32 v25, 0xffffff88, v25
	s_delay_alu instid0(VALU_DEP_1) | instskip(SKIP_2) | instid1(VALU_DEP_2)
	v_cmp_lt_u32_e32 vcc_lo, 63, v25
	v_mov_b32_e32 v39, v11
	v_cndmask_b32_e64 v27, 0, 0xffffffc0, vcc_lo
	v_mad_nc_u64_u32 v[10:11], 0xa2f9836e, v10, v[38:39]
	v_dual_cndmask_b32 v29, v36, v32, vcc_lo :: v_dual_cndmask_b32 v31, v34, v30, vcc_lo
	s_delay_alu instid0(VALU_DEP_3) | instskip(NEXT) | instid1(VALU_DEP_1)
	v_dual_cndmask_b32 v26, v30, v26 :: v_dual_add_nc_u32 v25, v27, v25
	v_cmp_lt_u32_e64 s0, 31, v25
	s_delay_alu instid0(VALU_DEP_4) | instskip(NEXT) | instid1(VALU_DEP_2)
	v_dual_cndmask_b32 v10, v10, v34 :: v_dual_cndmask_b32 v11, v11, v36
	v_cndmask_b32_e64 v27, 0, 0xffffffe0, s0
	s_delay_alu instid0(VALU_DEP_1) | instskip(NEXT) | instid1(VALU_DEP_1)
	v_add_nc_u32_e32 v25, v27, v25
	v_cmp_lt_u32_e64 s1, 31, v25
	s_delay_alu instid0(VALU_DEP_1) | instskip(NEXT) | instid1(VALU_DEP_1)
	v_cndmask_b32_e64 v27, 0, 0xffffffe0, s1
	v_dual_add_nc_u32 v25, v27, v25 :: v_dual_cndmask_b32 v27, v32, v28, vcc_lo
	v_dual_cndmask_b32 v28, v10, v29, s0 :: v_dual_cndmask_b32 v10, v11, v10, s0
	s_delay_alu instid0(VALU_DEP_2) | instskip(NEXT) | instid1(VALU_DEP_3)
	v_dual_cndmask_b32 v11, v29, v31, s0 :: v_dual_sub_nc_u32 v29, 32, v25
	v_cndmask_b32_e64 v31, v31, v27, s0
	v_cmp_eq_u32_e32 vcc_lo, 0, v25
	s_delay_alu instid0(VALU_DEP_3) | instskip(SKIP_1) | instid1(VALU_DEP_4)
	v_dual_cndmask_b32 v10, v10, v28, s1 :: v_dual_cndmask_b32 v28, v28, v11, s1
	v_cndmask_b32_e64 v25, v27, v26, s0
	v_cndmask_b32_e64 v11, v11, v31, s1
	s_delay_alu instid0(VALU_DEP_3) | instskip(NEXT) | instid1(VALU_DEP_2)
	v_alignbit_b32 v32, v10, v28, v29
	v_alignbit_b32 v30, v28, v11, v29
	s_delay_alu instid0(VALU_DEP_1) | instskip(NEXT) | instid1(VALU_DEP_1)
	v_dual_cndmask_b32 v10, v32, v10, vcc_lo :: v_dual_cndmask_b32 v26, v30, v28, vcc_lo
	v_bfe_u32 v27, v10, 29, 1
	s_delay_alu instid0(VALU_DEP_2) | instskip(NEXT) | instid1(VALU_DEP_2)
	v_alignbit_b32 v28, v10, v26, 30
	v_dual_sub_nc_u32 v30, 0, v27 :: v_dual_cndmask_b32 v25, v31, v25, s1
	s_delay_alu instid0(VALU_DEP_1) | instskip(NEXT) | instid1(VALU_DEP_2)
	v_xor_b32_e32 v28, v28, v30
	v_alignbit_b32 v29, v11, v25, v29
	s_delay_alu instid0(VALU_DEP_1) | instskip(NEXT) | instid1(VALU_DEP_3)
	v_cndmask_b32_e32 v11, v29, v11, vcc_lo
	v_clz_i32_u32_e32 v29, v28
	s_delay_alu instid0(VALU_DEP_2) | instskip(NEXT) | instid1(VALU_DEP_2)
	v_alignbit_b32 v26, v26, v11, 30
	v_min_u32_e32 v29, 32, v29
	v_alignbit_b32 v11, v11, v25, 30
	s_delay_alu instid0(VALU_DEP_2) | instskip(NEXT) | instid1(VALU_DEP_2)
	v_dual_sub_nc_u32 v26, 31, v29 :: v_dual_bitop2_b32 v25, v26, v30 bitop3:0x14
	v_xor_b32_e32 v11, v11, v30
	v_dual_lshrrev_b32 v30, 29, v10 :: v_dual_lshlrev_b32 v31, 23, v29
	s_delay_alu instid0(VALU_DEP_3) | instskip(NEXT) | instid1(VALU_DEP_3)
	v_alignbit_b32 v28, v28, v25, v26
	v_alignbit_b32 v11, v25, v11, v26
	s_delay_alu instid0(VALU_DEP_3) | instskip(NEXT) | instid1(VALU_DEP_2)
	v_lshlrev_b32_e32 v25, 31, v30
	v_alignbit_b32 v26, v28, v11, 9
	s_delay_alu instid0(VALU_DEP_2) | instskip(NEXT) | instid1(VALU_DEP_2)
	v_dual_lshrrev_b32 v28, 9, v28 :: v_dual_bitop2_b32 v30, 0.5, v25 bitop3:0x54
	v_clz_i32_u32_e32 v32, v26
	s_delay_alu instid0(VALU_DEP_2) | instskip(SKIP_1) | instid1(VALU_DEP_3)
	v_sub_nc_u32_e32 v30, v30, v31
	v_or_b32_e32 v25, 0x33000000, v25
	v_min_u32_e32 v31, 32, v32
	s_delay_alu instid0(VALU_DEP_1) | instskip(NEXT) | instid1(VALU_DEP_4)
	v_add_lshl_u32 v29, v31, v29, 23
	v_or_b32_e32 v28, v28, v30
	v_not_b32_e32 v30, v31
	s_delay_alu instid0(VALU_DEP_3) | instskip(NEXT) | instid1(VALU_DEP_2)
	v_sub_nc_u32_e32 v25, v25, v29
	v_alignbit_b32 v11, v26, v11, v30
	s_delay_alu instid0(VALU_DEP_1) | instskip(NEXT) | instid1(VALU_DEP_1)
	v_dual_mul_f32 v32, 0x3fc90fda, v28 :: v_dual_lshrrev_b32 v11, 9, v11
	v_fma_f32 v26, 0x3fc90fda, v28, -v32
	s_delay_alu instid0(VALU_DEP_2) | instskip(NEXT) | instid1(VALU_DEP_2)
	v_or_b32_e32 v11, v25, v11
	v_fmamk_f32 v26, v28, 0x33a22168, v26
	s_delay_alu instid0(VALU_DEP_1) | instskip(NEXT) | instid1(VALU_DEP_1)
	v_dual_fmac_f32 v26, 0x3fc90fda, v11 :: v_dual_lshrrev_b32 v11, 30, v10
	v_dual_add_f32 v10, v32, v26 :: v_dual_add_nc_u32 v27, v27, v11
.LBB17_18:
	s_and_not1_saveexec_b32 s0, s4
; %bb.19:
	v_mul_f32_e64 v10, 0x3f22f983, |v22|
	s_delay_alu instid0(VALU_DEP_1) | instskip(NEXT) | instid1(VALU_DEP_1)
	v_rndne_f32_e32 v11, v10
	v_fma_f32 v10, 0xbfc90fda, v11, |v22|
	v_cvt_i32_f32_e32 v27, v11
	s_delay_alu instid0(VALU_DEP_2) | instskip(NEXT) | instid1(VALU_DEP_1)
	v_fmamk_f32 v10, v11, 0xb3a22168, v10
	v_fmamk_f32 v10, v11, 0xa7c234c4, v10
; %bb.20:
	s_or_b32 exec_lo, exec_lo, s0
	v_lshrrev_b32_e32 v4, 16, v4
                                        ; implicit-def: $vgpr30
	s_mov_b32 s1, exec_lo
	s_delay_alu instid0(VALU_DEP_1) | instskip(NEXT) | instid1(VALU_DEP_1)
	v_cvt_f32_f16_e32 v25, v4
	v_and_b32_e32 v26, 0x7fffffff, v25
	v_cmpx_ngt_f32_e64 0x48000000, |v25|
	s_xor_b32 s4, exec_lo, s1
	s_cbranch_execz .LBB17_22
; %bb.21:
	s_mov_b32 s0, 0x7fffff
	v_mov_b32_e32 v29, 0
	v_and_or_b32 v28, v26, s0, 0x800000
	s_mov_b64 s[0:1], 0xfe5163ab
	v_lshrrev_b32_e32 v4, 23, v26
	s_delay_alu instid0(VALU_DEP_2) | instskip(NEXT) | instid1(VALU_DEP_1)
	v_mul_u64_e32 v[30:31], s[0:1], v[28:29]
	v_dual_mov_b32 v32, v31 :: v_dual_mov_b32 v33, v29
	v_dual_mov_b32 v35, v29 :: v_dual_mov_b32 v37, v29
	s_delay_alu instid0(VALU_DEP_4) | instskip(SKIP_1) | instid1(VALU_DEP_4)
	v_dual_mov_b32 v39, v29 :: v_dual_add_nc_u32 v4, 0xffffff88, v4
	v_mov_b32_e32 v51, v29
	v_mad_nc_u64_u32 v[32:33], 0x3c439041, v28, v[32:33]
	s_delay_alu instid0(VALU_DEP_3) | instskip(SKIP_1) | instid1(VALU_DEP_3)
	v_cmp_lt_u32_e32 vcc_lo, 63, v4
	v_cndmask_b32_e64 v11, 0, 0xffffffc0, vcc_lo
	v_mov_b32_e32 v34, v33
	s_delay_alu instid0(VALU_DEP_1) | instskip(NEXT) | instid1(VALU_DEP_1)
	v_mad_nc_u64_u32 v[34:35], 0xdb629599, v28, v[34:35]
	v_dual_mov_b32 v36, v35 :: v_dual_cndmask_b32 v30, v34, v30, vcc_lo
	s_delay_alu instid0(VALU_DEP_1) | instskip(NEXT) | instid1(VALU_DEP_1)
	v_mad_nc_u64_u32 v[36:37], 0xf534ddc0, v28, v[36:37]
	v_mov_b32_e32 v38, v37
	s_delay_alu instid0(VALU_DEP_1) | instskip(NEXT) | instid1(VALU_DEP_1)
	v_mad_nc_u64_u32 v[38:39], 0xfc2757d1, v28, v[38:39]
	v_dual_mov_b32 v49, v29 :: v_dual_mov_b32 v48, v39
	s_delay_alu instid0(VALU_DEP_2) | instskip(NEXT) | instid1(VALU_DEP_2)
	v_cndmask_b32_e32 v33, v38, v34, vcc_lo
	v_mad_nc_u64_u32 v[48:49], 0x4e441529, v28, v[48:49]
	s_delay_alu instid0(VALU_DEP_1) | instskip(NEXT) | instid1(VALU_DEP_1)
	v_dual_add_nc_u32 v4, v11, v4 :: v_dual_mov_b32 v50, v49
	v_cmp_lt_u32_e64 s0, 31, v4
	s_delay_alu instid0(VALU_DEP_3) | instskip(NEXT) | instid1(VALU_DEP_3)
	v_cndmask_b32_e32 v31, v48, v36, vcc_lo
	v_mad_nc_u64_u32 v[28:29], 0xa2f9836e, v28, v[50:51]
	s_delay_alu instid0(VALU_DEP_3) | instskip(NEXT) | instid1(VALU_DEP_1)
	v_cndmask_b32_e64 v11, 0, 0xffffffe0, s0
	v_dual_add_nc_u32 v4, v11, v4 :: v_dual_cndmask_b32 v28, v28, v38, vcc_lo
	s_delay_alu instid0(VALU_DEP_1) | instskip(NEXT) | instid1(VALU_DEP_4)
	v_cmp_lt_u32_e64 s1, 31, v4
	v_cndmask_b32_e32 v29, v29, v48, vcc_lo
	s_delay_alu instid0(VALU_DEP_2) | instskip(NEXT) | instid1(VALU_DEP_1)
	v_cndmask_b32_e64 v11, 0, 0xffffffe0, s1
	v_add_nc_u32_e32 v4, v11, v4
	v_cndmask_b32_e32 v11, v36, v32, vcc_lo
	s_delay_alu instid0(VALU_DEP_4) | instskip(NEXT) | instid1(VALU_DEP_2)
	v_dual_cndmask_b32 v32, v28, v31, s0 :: v_dual_cndmask_b32 v28, v29, v28, s0
	v_dual_cndmask_b32 v29, v31, v33, s0 :: v_dual_cndmask_b32 v33, v33, v11, s0
	s_delay_alu instid0(VALU_DEP_4) | instskip(NEXT) | instid1(VALU_DEP_3)
	v_sub_nc_u32_e32 v31, 32, v4
	v_cndmask_b32_e64 v28, v28, v32, s1
	s_delay_alu instid0(VALU_DEP_3) | instskip(SKIP_2) | instid1(VALU_DEP_3)
	v_cndmask_b32_e64 v32, v32, v29, s1
	v_cmp_eq_u32_e32 vcc_lo, 0, v4
	v_cndmask_b32_e64 v29, v29, v33, s1
	v_alignbit_b32 v35, v28, v32, v31
	s_delay_alu instid0(VALU_DEP_2) | instskip(SKIP_1) | instid1(VALU_DEP_3)
	v_alignbit_b32 v34, v32, v29, v31
	v_cndmask_b32_e64 v11, v11, v30, s0
	v_cndmask_b32_e32 v4, v35, v28, vcc_lo
	s_delay_alu instid0(VALU_DEP_2) | instskip(NEXT) | instid1(VALU_DEP_2)
	v_dual_cndmask_b32 v28, v34, v32, vcc_lo :: v_dual_cndmask_b32 v11, v33, v11, s1
	v_bfe_u32 v30, v4, 29, 1
	s_delay_alu instid0(VALU_DEP_2) | instskip(NEXT) | instid1(VALU_DEP_3)
	v_alignbit_b32 v32, v4, v28, 30
	v_alignbit_b32 v31, v29, v11, v31
	s_delay_alu instid0(VALU_DEP_1) | instskip(NEXT) | instid1(VALU_DEP_1)
	v_dual_sub_nc_u32 v33, 0, v30 :: v_dual_cndmask_b32 v29, v31, v29, vcc_lo
	v_xor_b32_e32 v32, v32, v33
	s_delay_alu instid0(VALU_DEP_2) | instskip(SKIP_1) | instid1(VALU_DEP_3)
	v_alignbit_b32 v28, v28, v29, 30
	v_alignbit_b32 v11, v29, v11, 30
	v_clz_i32_u32_e32 v31, v32
	s_delay_alu instid0(VALU_DEP_3) | instskip(NEXT) | instid1(VALU_DEP_3)
	v_xor_b32_e32 v28, v28, v33
	v_xor_b32_e32 v11, v11, v33
	s_delay_alu instid0(VALU_DEP_3) | instskip(SKIP_1) | instid1(VALU_DEP_2)
	v_min_u32_e32 v31, 32, v31
	v_dual_lshrrev_b32 v33, 29, v4 :: v_dual_lshrrev_b32 v4, 30, v4
	v_dual_sub_nc_u32 v29, 31, v31 :: v_dual_lshlrev_b32 v34, 23, v31
	s_delay_alu instid0(VALU_DEP_2) | instskip(NEXT) | instid1(VALU_DEP_2)
	v_add_nc_u32_e32 v30, v30, v4
	v_alignbit_b32 v32, v32, v28, v29
	v_alignbit_b32 v11, v28, v11, v29
	v_lshlrev_b32_e32 v28, 31, v33
	s_delay_alu instid0(VALU_DEP_2) | instskip(NEXT) | instid1(VALU_DEP_2)
	v_alignbit_b32 v29, v32, v11, 9
	v_or_b32_e32 v33, 0.5, v28
	v_lshrrev_b32_e32 v32, 9, v32
	v_or_b32_e32 v28, 0x33000000, v28
	s_delay_alu instid0(VALU_DEP_4) | instskip(NEXT) | instid1(VALU_DEP_4)
	v_clz_i32_u32_e32 v35, v29
	v_sub_nc_u32_e32 v33, v33, v34
	s_delay_alu instid0(VALU_DEP_2) | instskip(NEXT) | instid1(VALU_DEP_2)
	v_min_u32_e32 v34, 32, v35
	v_or_b32_e32 v32, v32, v33
	s_delay_alu instid0(VALU_DEP_2) | instskip(SKIP_1) | instid1(VALU_DEP_2)
	v_not_b32_e32 v33, v34
	v_add_lshl_u32 v31, v34, v31, 23
	v_alignbit_b32 v11, v29, v11, v33
	s_delay_alu instid0(VALU_DEP_2) | instskip(NEXT) | instid1(VALU_DEP_2)
	v_sub_nc_u32_e32 v28, v28, v31
	v_lshrrev_b32_e32 v11, 9, v11
	v_mul_f32_e32 v35, 0x3fc90fda, v32
	s_delay_alu instid0(VALU_DEP_2) | instskip(NEXT) | instid1(VALU_DEP_2)
	v_or_b32_e32 v11, v28, v11
	v_fma_f32 v29, 0x3fc90fda, v32, -v35
	s_delay_alu instid0(VALU_DEP_1) | instskip(NEXT) | instid1(VALU_DEP_1)
	v_fmamk_f32 v29, v32, 0x33a22168, v29
	v_fmac_f32_e32 v29, 0x3fc90fda, v11
	s_delay_alu instid0(VALU_DEP_1)
	v_add_f32_e32 v11, v35, v29
.LBB17_22:
	s_and_not1_saveexec_b32 s0, s4
; %bb.23:
	v_mul_f32_e64 v4, 0x3f22f983, |v25|
	s_delay_alu instid0(VALU_DEP_1) | instskip(NEXT) | instid1(VALU_DEP_1)
	v_rndne_f32_e32 v4, v4
	v_fma_f32 v11, 0xbfc90fda, v4, |v25|
	v_cvt_i32_f32_e32 v30, v4
	s_delay_alu instid0(VALU_DEP_2) | instskip(NEXT) | instid1(VALU_DEP_1)
	v_fmamk_f32 v11, v4, 0xb3a22168, v11
	v_fmamk_f32 v11, v4, 0xa7c234c4, v11
; %bb.24:
	s_or_b32 exec_lo, exec_lo, s0
	v_cvt_f32_f16_e32 v28, v5
                                        ; implicit-def: $vgpr33
                                        ; implicit-def: $vgpr4
	s_mov_b32 s1, exec_lo
	s_delay_alu instid0(VALU_DEP_1)
	v_and_b32_e32 v29, 0x7fffffff, v28
	v_cmpx_ngt_f32_e64 0x48000000, |v28|
	s_xor_b32 s4, exec_lo, s1
	s_cbranch_execz .LBB17_26
; %bb.25:
	s_mov_b32 s0, 0x7fffff
	v_mov_b32_e32 v33, 0
	v_and_or_b32 v32, v29, s0, 0x800000
	s_mov_b64 s[0:1], 0xfe5163ab
	v_lshrrev_b32_e32 v4, 23, v29
	s_delay_alu instid0(VALU_DEP_2) | instskip(NEXT) | instid1(VALU_DEP_1)
	v_mul_u64_e32 v[34:35], s[0:1], v[32:33]
	v_dual_mov_b32 v36, v35 :: v_dual_mov_b32 v37, v33
	v_dual_mov_b32 v39, v33 :: v_dual_mov_b32 v49, v33
	s_delay_alu instid0(VALU_DEP_4) | instskip(SKIP_1) | instid1(VALU_DEP_4)
	v_dual_mov_b32 v51, v33 :: v_dual_add_nc_u32 v4, 0xffffff88, v4
	v_mov_b32_e32 v55, v33
	v_mad_nc_u64_u32 v[36:37], 0x3c439041, v32, v[36:37]
	s_delay_alu instid0(VALU_DEP_3) | instskip(SKIP_1) | instid1(VALU_DEP_3)
	v_cmp_lt_u32_e32 vcc_lo, 63, v4
	v_cndmask_b32_e64 v31, 0, 0xffffffc0, vcc_lo
	v_mov_b32_e32 v38, v37
	s_delay_alu instid0(VALU_DEP_1) | instskip(NEXT) | instid1(VALU_DEP_1)
	v_mad_nc_u64_u32 v[38:39], 0xdb629599, v32, v[38:39]
	v_dual_mov_b32 v48, v39 :: v_dual_cndmask_b32 v34, v38, v34, vcc_lo
	s_delay_alu instid0(VALU_DEP_1) | instskip(NEXT) | instid1(VALU_DEP_1)
	v_mad_nc_u64_u32 v[48:49], 0xf534ddc0, v32, v[48:49]
	v_mov_b32_e32 v50, v49
	s_delay_alu instid0(VALU_DEP_1) | instskip(NEXT) | instid1(VALU_DEP_1)
	v_mad_nc_u64_u32 v[50:51], 0xfc2757d1, v32, v[50:51]
	v_dual_mov_b32 v53, v33 :: v_dual_mov_b32 v52, v51
	s_delay_alu instid0(VALU_DEP_2) | instskip(NEXT) | instid1(VALU_DEP_2)
	v_cndmask_b32_e32 v37, v50, v38, vcc_lo
	v_mad_nc_u64_u32 v[52:53], 0x4e441529, v32, v[52:53]
	s_delay_alu instid0(VALU_DEP_1) | instskip(NEXT) | instid1(VALU_DEP_1)
	v_dual_add_nc_u32 v4, v31, v4 :: v_dual_mov_b32 v54, v53
	v_cmp_lt_u32_e64 s0, 31, v4
	s_delay_alu instid0(VALU_DEP_3) | instskip(NEXT) | instid1(VALU_DEP_3)
	v_cndmask_b32_e32 v35, v52, v48, vcc_lo
	v_mad_nc_u64_u32 v[32:33], 0xa2f9836e, v32, v[54:55]
	s_delay_alu instid0(VALU_DEP_3) | instskip(NEXT) | instid1(VALU_DEP_1)
	v_cndmask_b32_e64 v31, 0, 0xffffffe0, s0
	v_dual_add_nc_u32 v4, v31, v4 :: v_dual_cndmask_b32 v32, v32, v50, vcc_lo
	s_delay_alu instid0(VALU_DEP_1) | instskip(NEXT) | instid1(VALU_DEP_4)
	v_cmp_lt_u32_e64 s1, 31, v4
	v_cndmask_b32_e32 v33, v33, v52, vcc_lo
	s_delay_alu instid0(VALU_DEP_2) | instskip(NEXT) | instid1(VALU_DEP_1)
	v_cndmask_b32_e64 v31, 0, 0xffffffe0, s1
	v_add_nc_u32_e32 v4, v31, v4
	v_cndmask_b32_e32 v31, v48, v36, vcc_lo
	s_delay_alu instid0(VALU_DEP_4) | instskip(NEXT) | instid1(VALU_DEP_2)
	v_dual_cndmask_b32 v36, v32, v35, s0 :: v_dual_cndmask_b32 v32, v33, v32, s0
	v_dual_cndmask_b32 v33, v35, v37, s0 :: v_dual_cndmask_b32 v37, v37, v31, s0
	s_delay_alu instid0(VALU_DEP_4) | instskip(NEXT) | instid1(VALU_DEP_3)
	v_sub_nc_u32_e32 v35, 32, v4
	v_cndmask_b32_e64 v32, v32, v36, s1
	s_delay_alu instid0(VALU_DEP_3) | instskip(SKIP_2) | instid1(VALU_DEP_3)
	v_cndmask_b32_e64 v36, v36, v33, s1
	v_cmp_eq_u32_e32 vcc_lo, 0, v4
	v_cndmask_b32_e64 v33, v33, v37, s1
	v_alignbit_b32 v39, v32, v36, v35
	s_delay_alu instid0(VALU_DEP_2) | instskip(SKIP_1) | instid1(VALU_DEP_3)
	v_alignbit_b32 v38, v36, v33, v35
	v_cndmask_b32_e64 v31, v31, v34, s0
	v_cndmask_b32_e32 v4, v39, v32, vcc_lo
	s_delay_alu instid0(VALU_DEP_2) | instskip(NEXT) | instid1(VALU_DEP_2)
	v_dual_cndmask_b32 v32, v38, v36, vcc_lo :: v_dual_cndmask_b32 v31, v37, v31, s1
	v_bfe_u32 v34, v4, 29, 1
	s_delay_alu instid0(VALU_DEP_2) | instskip(NEXT) | instid1(VALU_DEP_3)
	v_alignbit_b32 v36, v4, v32, 30
	v_alignbit_b32 v35, v33, v31, v35
	s_delay_alu instid0(VALU_DEP_1) | instskip(NEXT) | instid1(VALU_DEP_1)
	v_dual_sub_nc_u32 v37, 0, v34 :: v_dual_cndmask_b32 v33, v35, v33, vcc_lo
	v_xor_b32_e32 v36, v36, v37
	s_delay_alu instid0(VALU_DEP_2) | instskip(SKIP_1) | instid1(VALU_DEP_3)
	v_alignbit_b32 v32, v32, v33, 30
	v_alignbit_b32 v31, v33, v31, 30
	v_clz_i32_u32_e32 v35, v36
	s_delay_alu instid0(VALU_DEP_3) | instskip(NEXT) | instid1(VALU_DEP_3)
	v_xor_b32_e32 v32, v32, v37
	v_xor_b32_e32 v31, v31, v37
	s_delay_alu instid0(VALU_DEP_3) | instskip(NEXT) | instid1(VALU_DEP_1)
	v_min_u32_e32 v35, 32, v35
	v_dual_lshrrev_b32 v37, 29, v4 :: v_dual_sub_nc_u32 v33, 31, v35
	v_lshlrev_b32_e32 v38, 23, v35
	s_delay_alu instid0(VALU_DEP_2) | instskip(SKIP_1) | instid1(VALU_DEP_4)
	v_alignbit_b32 v36, v36, v32, v33
	v_alignbit_b32 v31, v32, v31, v33
	v_lshlrev_b32_e32 v32, 31, v37
	s_delay_alu instid0(VALU_DEP_2) | instskip(NEXT) | instid1(VALU_DEP_2)
	v_alignbit_b32 v33, v36, v31, 9
	v_or_b32_e32 v37, 0.5, v32
	v_lshrrev_b32_e32 v36, 9, v36
	v_or_b32_e32 v32, 0x33000000, v32
	s_delay_alu instid0(VALU_DEP_4) | instskip(NEXT) | instid1(VALU_DEP_4)
	v_clz_i32_u32_e32 v39, v33
	v_sub_nc_u32_e32 v37, v37, v38
	s_delay_alu instid0(VALU_DEP_2) | instskip(NEXT) | instid1(VALU_DEP_2)
	v_min_u32_e32 v38, 32, v39
	v_or_b32_e32 v36, v36, v37
	s_delay_alu instid0(VALU_DEP_2) | instskip(SKIP_1) | instid1(VALU_DEP_2)
	v_not_b32_e32 v37, v38
	v_add_lshl_u32 v35, v38, v35, 23
	v_alignbit_b32 v31, v33, v31, v37
	s_delay_alu instid0(VALU_DEP_2) | instskip(NEXT) | instid1(VALU_DEP_2)
	v_sub_nc_u32_e32 v32, v32, v35
	v_lshrrev_b32_e32 v31, 9, v31
	v_mul_f32_e32 v39, 0x3fc90fda, v36
	s_delay_alu instid0(VALU_DEP_2) | instskip(NEXT) | instid1(VALU_DEP_2)
	v_or_b32_e32 v31, v32, v31
	v_fma_f32 v33, 0x3fc90fda, v36, -v39
	s_delay_alu instid0(VALU_DEP_1) | instskip(NEXT) | instid1(VALU_DEP_1)
	v_fmamk_f32 v33, v36, 0x33a22168, v33
	v_fmac_f32_e32 v33, 0x3fc90fda, v31
	s_delay_alu instid0(VALU_DEP_1) | instskip(NEXT) | instid1(VALU_DEP_1)
	v_dual_add_f32 v4, v39, v33 :: v_dual_lshrrev_b32 v31, 30, v4
	v_add_nc_u32_e32 v33, v34, v31
.LBB17_26:
	s_and_not1_saveexec_b32 s0, s4
; %bb.27:
	v_mul_f32_e64 v4, 0x3f22f983, |v28|
	s_delay_alu instid0(VALU_DEP_1) | instskip(NEXT) | instid1(VALU_DEP_1)
	v_rndne_f32_e32 v31, v4
	v_fma_f32 v4, 0xbfc90fda, v31, |v28|
	v_cvt_i32_f32_e32 v33, v31
	s_delay_alu instid0(VALU_DEP_2) | instskip(NEXT) | instid1(VALU_DEP_1)
	v_fmamk_f32 v4, v31, 0xb3a22168, v4
	v_fmamk_f32 v4, v31, 0xa7c234c4, v4
; %bb.28:
	s_or_b32 exec_lo, exec_lo, s0
	v_lshrrev_b32_e32 v5, 16, v5
                                        ; implicit-def: $vgpr34
	s_mov_b32 s1, exec_lo
	s_delay_alu instid0(VALU_DEP_1) | instskip(NEXT) | instid1(VALU_DEP_1)
	v_cvt_f32_f16_e32 v31, v5
	v_and_b32_e32 v32, 0x7fffffff, v31
	v_cmpx_ngt_f32_e64 0x48000000, |v31|
	s_xor_b32 s4, exec_lo, s1
	s_cbranch_execz .LBB17_30
; %bb.29:
	s_mov_b32 s0, 0x7fffff
	v_mov_b32_e32 v35, 0
	v_and_or_b32 v34, v32, s0, 0x800000
	s_mov_b64 s[0:1], 0xfe5163ab
	v_lshrrev_b32_e32 v5, 23, v32
	s_delay_alu instid0(VALU_DEP_2) | instskip(NEXT) | instid1(VALU_DEP_1)
	v_mul_u64_e32 v[36:37], s[0:1], v[34:35]
	v_dual_mov_b32 v38, v37 :: v_dual_mov_b32 v39, v35
	v_dual_mov_b32 v49, v35 :: v_dual_mov_b32 v51, v35
	;; [unrolled: 1-line block ×3, first 2 shown]
	s_delay_alu instid0(VALU_DEP_3) | instskip(NEXT) | instid1(VALU_DEP_1)
	v_mad_nc_u64_u32 v[38:39], 0x3c439041, v34, v[38:39]
	v_mov_b32_e32 v48, v39
	s_delay_alu instid0(VALU_DEP_1) | instskip(NEXT) | instid1(VALU_DEP_1)
	v_mad_nc_u64_u32 v[48:49], 0xdb629599, v34, v[48:49]
	v_mov_b32_e32 v50, v49
	s_delay_alu instid0(VALU_DEP_1) | instskip(NEXT) | instid1(VALU_DEP_1)
	;; [unrolled: 3-line block ×3, first 2 shown]
	v_mad_nc_u64_u32 v[52:53], 0xfc2757d1, v34, v[52:53]
	v_dual_mov_b32 v55, v35 :: v_dual_mov_b32 v54, v53
	s_delay_alu instid0(VALU_DEP_1) | instskip(NEXT) | instid1(VALU_DEP_1)
	v_mad_nc_u64_u32 v[54:55], 0x4e441529, v34, v[54:55]
	v_dual_mov_b32 v64, v55 :: v_dual_add_nc_u32 v5, 0xffffff88, v5
	s_delay_alu instid0(VALU_DEP_1) | instskip(NEXT) | instid1(VALU_DEP_2)
	v_cmp_lt_u32_e32 vcc_lo, 63, v5
	v_mad_nc_u64_u32 v[34:35], 0xa2f9836e, v34, v[64:65]
	v_cndmask_b32_e64 v37, 0, 0xffffffc0, vcc_lo
	v_dual_cndmask_b32 v39, v54, v50 :: v_dual_cndmask_b32 v36, v48, v36
	s_delay_alu instid0(VALU_DEP_2) | instskip(NEXT) | instid1(VALU_DEP_1)
	v_add_nc_u32_e32 v5, v37, v5
	v_cmp_lt_u32_e64 s0, 31, v5
	v_dual_cndmask_b32 v34, v34, v52 :: v_dual_cndmask_b32 v35, v35, v54
	s_delay_alu instid0(VALU_DEP_2) | instskip(NEXT) | instid1(VALU_DEP_1)
	v_cndmask_b32_e64 v37, 0, 0xffffffe0, s0
	v_add_nc_u32_e32 v5, v37, v5
	s_delay_alu instid0(VALU_DEP_1) | instskip(NEXT) | instid1(VALU_DEP_1)
	v_cmp_lt_u32_e64 s1, 31, v5
	v_cndmask_b32_e64 v37, 0, 0xffffffe0, s1
	s_delay_alu instid0(VALU_DEP_1) | instskip(SKIP_2) | instid1(VALU_DEP_3)
	v_dual_cndmask_b32 v49, v52, v48, vcc_lo :: v_dual_add_nc_u32 v5, v37, v5
	v_cndmask_b32_e32 v37, v50, v38, vcc_lo
	v_dual_cndmask_b32 v38, v34, v39, s0 :: v_dual_cndmask_b32 v34, v35, v34, s0
	v_cndmask_b32_e64 v35, v39, v49, s0
	s_delay_alu instid0(VALU_DEP_4) | instskip(NEXT) | instid1(VALU_DEP_4)
	v_sub_nc_u32_e32 v39, 32, v5
	v_cndmask_b32_e64 v49, v49, v37, s0
	v_cmp_eq_u32_e32 vcc_lo, 0, v5
	v_cndmask_b32_e64 v34, v34, v38, s1
	s_delay_alu instid0(VALU_DEP_3) | instskip(NEXT) | instid1(VALU_DEP_1)
	v_dual_cndmask_b32 v38, v38, v35, s1 :: v_dual_cndmask_b32 v35, v35, v49, s1
	v_alignbit_b32 v50, v34, v38, v39
	s_delay_alu instid0(VALU_DEP_2) | instskip(NEXT) | instid1(VALU_DEP_2)
	v_alignbit_b32 v48, v38, v35, v39
	v_dual_cndmask_b32 v5, v50, v34, vcc_lo :: v_dual_cndmask_b32 v34, v37, v36, s0
	s_delay_alu instid0(VALU_DEP_1) | instskip(NEXT) | instid1(VALU_DEP_1)
	v_bfe_u32 v37, v5, 29, 1
	v_dual_cndmask_b32 v36, v48, v38, vcc_lo :: v_dual_sub_nc_u32 v48, 0, v37
	s_delay_alu instid0(VALU_DEP_1) | instskip(NEXT) | instid1(VALU_DEP_1)
	v_alignbit_b32 v38, v5, v36, 30
	v_dual_cndmask_b32 v34, v49, v34, s1 :: v_dual_bitop2_b32 v38, v38, v48 bitop3:0x14
	s_delay_alu instid0(VALU_DEP_1) | instskip(NEXT) | instid1(VALU_DEP_1)
	v_alignbit_b32 v39, v35, v34, v39
	v_cndmask_b32_e32 v35, v39, v35, vcc_lo
	s_delay_alu instid0(VALU_DEP_3) | instskip(NEXT) | instid1(VALU_DEP_2)
	v_clz_i32_u32_e32 v39, v38
	v_alignbit_b32 v34, v35, v34, 30
	s_delay_alu instid0(VALU_DEP_2) | instskip(NEXT) | instid1(VALU_DEP_2)
	v_min_u32_e32 v39, 32, v39
	v_xor_b32_e32 v34, v34, v48
	v_alignbit_b32 v36, v36, v35, 30
	s_delay_alu instid0(VALU_DEP_1) | instskip(SKIP_1) | instid1(VALU_DEP_1)
	v_dual_lshlrev_b32 v49, 23, v39 :: v_dual_bitop2_b32 v35, v36, v48 bitop3:0x14
	v_dual_sub_nc_u32 v36, 31, v39 :: v_dual_lshrrev_b32 v48, 29, v5
	v_alignbit_b32 v38, v38, v35, v36
	v_alignbit_b32 v34, v35, v34, v36
	s_delay_alu instid0(VALU_DEP_3) | instskip(NEXT) | instid1(VALU_DEP_2)
	v_lshlrev_b32_e32 v35, 31, v48
	v_alignbit_b32 v36, v38, v34, 9
	s_delay_alu instid0(VALU_DEP_2) | instskip(NEXT) | instid1(VALU_DEP_2)
	v_dual_lshrrev_b32 v38, 9, v38 :: v_dual_bitop2_b32 v48, 0.5, v35 bitop3:0x54
	v_clz_i32_u32_e32 v50, v36
	s_delay_alu instid0(VALU_DEP_2) | instskip(SKIP_1) | instid1(VALU_DEP_3)
	v_sub_nc_u32_e32 v48, v48, v49
	v_or_b32_e32 v35, 0x33000000, v35
	v_min_u32_e32 v49, 32, v50
	s_delay_alu instid0(VALU_DEP_1) | instskip(NEXT) | instid1(VALU_DEP_4)
	v_add_lshl_u32 v39, v49, v39, 23
	v_or_b32_e32 v38, v38, v48
	v_not_b32_e32 v48, v49
	s_delay_alu instid0(VALU_DEP_2) | instskip(NEXT) | instid1(VALU_DEP_2)
	v_dual_mul_f32 v50, 0x3fc90fda, v38 :: v_dual_sub_nc_u32 v35, v35, v39
	v_alignbit_b32 v34, v36, v34, v48
	s_delay_alu instid0(VALU_DEP_2) | instskip(NEXT) | instid1(VALU_DEP_2)
	v_fma_f32 v36, 0x3fc90fda, v38, -v50
	v_lshrrev_b32_e32 v34, 9, v34
	s_delay_alu instid0(VALU_DEP_2) | instskip(NEXT) | instid1(VALU_DEP_2)
	v_fmamk_f32 v36, v38, 0x33a22168, v36
	v_or_b32_e32 v34, v35, v34
	s_delay_alu instid0(VALU_DEP_1) | instskip(NEXT) | instid1(VALU_DEP_1)
	v_fmac_f32_e32 v36, 0x3fc90fda, v34
	v_dual_add_f32 v5, v50, v36 :: v_dual_lshrrev_b32 v34, 30, v5
	s_delay_alu instid0(VALU_DEP_1)
	v_add_nc_u32_e32 v34, v37, v34
.LBB17_30:
	s_and_not1_saveexec_b32 s0, s4
; %bb.31:
	v_mul_f32_e64 v5, 0x3f22f983, |v31|
	s_delay_alu instid0(VALU_DEP_1) | instskip(NEXT) | instid1(VALU_DEP_1)
	v_rndne_f32_e32 v34, v5
	v_fma_f32 v5, 0xbfc90fda, v34, |v31|
	s_delay_alu instid0(VALU_DEP_1) | instskip(NEXT) | instid1(VALU_DEP_1)
	v_fmamk_f32 v5, v34, 0xb3a22168, v5
	v_fmamk_f32 v5, v34, 0xa7c234c4, v5
	v_cvt_i32_f32_e32 v34, v34
; %bb.32:
	s_or_b32 exec_lo, exec_lo, s0
	s_delay_alu instid0(VALU_DEP_1)
	v_dual_lshlrev_b32 v64, 30, v34 :: v_dual_lshlrev_b32 v65, 30, v33
	v_dual_lshlrev_b32 v50, 30, v24 :: v_dual_bitop2_b32 v68, 1, v34 bitop3:0x40
	v_dual_lshlrev_b32 v51, 30, v20 :: v_dual_bitop2_b32 v33, 1, v33 bitop3:0x40
	;; [unrolled: 1-line block ×4, first 2 shown]
	v_lshlrev_b32_e32 v52, 30, v7
	v_dual_lshlrev_b32 v53, 30, v16 :: v_dual_bitop2_b32 v27, 1, v27 bitop3:0x40
	v_pk_mul_f32 v[38:39], v[8:9], v[8:9]
	v_pk_mul_f32 v[48:49], v[2:3], v[2:3]
	v_cmp_eq_u32_e32 vcc_lo, 0, v70
	v_and_b32_e32 v69, 1, v20
	v_and_b32_e32 v20, 0x80000000, v50
	v_and_b32_e32 v50, 0x80000000, v51
	v_lshl_add_u64 v[0:1], s[2:3], 1, v[0:1]
	s_mov_b32 s0, 0x3c0881c4
	s_mov_b32 s2, 0xb94c1982
	;; [unrolled: 1-line block ×4, first 2 shown]
	v_and_b32_e32 v71, 0x80000000, v53
	v_and_b32_e32 v80, 0x80000000, v52
	v_xor3_b32 v81, v21, v19, v20
	v_xor3_b32 v18, v18, v17, v50
	v_pk_fma_f32 v[20:21], v[48:49], s[2:3], s[0:1] op_sel_hi:[1,0,0]
	v_pk_fma_f32 v[50:51], v[38:39], s[2:3], s[0:1] op_sel_hi:[1,0,0]
	;; [unrolled: 1-line block ×4, first 2 shown]
	s_mov_b32 s8, 0xbe2aaa9d
	s_mov_b32 s10, 0x3d2aabf7
	v_pk_fma_f32 v[50:51], v[38:39], v[50:51], s[8:9] op_sel_hi:[1,1,0]
	v_pk_fma_f32 v[52:53], v[38:39], v[52:53], s[10:11] op_sel_hi:[1,1,0]
	;; [unrolled: 1-line block ×4, first 2 shown]
	s_mov_b32 s12, 0xbf000004
	v_pk_mul_f32 v[50:51], v[38:39], v[50:51]
	v_pk_fma_f32 v[52:53], v[38:39], v[52:53], s[12:13] op_sel_hi:[1,1,0]
	v_pk_mul_f32 v[20:21], v[48:49], v[20:21]
	v_pk_fma_f32 v[54:55], v[48:49], v[54:55], s[12:13] op_sel_hi:[1,1,0]
	v_dual_mov_b32 v7, 0 :: v_dual_bitop2_b32 v24, 1, v24 bitop3:0x40
	v_pk_fma_f32 v[8:9], v[8:9], v[50:51], v[8:9]
	v_pk_fma_f32 v[38:39], v[38:39], v[52:53], 1.0 op_sel_hi:[1,1,0]
	v_pk_fma_f32 v[2:3], v[2:3], v[20:21], v[2:3]
	v_pk_fma_f32 v[20:21], v[48:49], v[54:55], 1.0 op_sel_hi:[1,1,0]
	v_and_b32_e32 v16, 1, v16
	v_xor3_b32 v15, v15, v14, v80
	v_cndmask_b32_e32 v9, v39, v9, vcc_lo
	v_pk_mul_f32 v[36:37], v[4:5], v[4:5]
	v_xor3_b32 v13, v13, v12, v71
	v_cmp_eq_u32_e32 vcc_lo, 0, v16
	v_pk_mul_f32 v[34:35], v[10:11], v[10:11]
	v_cndmask_b32_e32 v8, v38, v8, vcc_lo
	v_cmp_eq_u32_e32 vcc_lo, 0, v24
	v_dual_cndmask_b32 v16, v21, v3, vcc_lo :: v_dual_bitop2_b32 v3, v15, v9 bitop3:0x14
	v_cmp_eq_u32_e32 vcc_lo, 0, v69
	v_cndmask_b32_e32 v20, v20, v2, vcc_lo
	v_cmp_class_f32_e64 vcc_lo, v14, 0x1f8
	v_pk_fma_f32 v[14:15], v[34:35], s[6:7], s[4:5] op_sel_hi:[1,0,0]
	v_cndmask_b32_e32 v21, 0x7fc00000, v3, vcc_lo
	v_pk_fma_f32 v[2:3], v[36:37], s[2:3], s[0:1] op_sel_hi:[1,0,0]
	v_cmp_class_f32_e64 vcc_lo, v12, 0x1f8
	s_delay_alu instid0(VALU_DEP_4) | instskip(NEXT) | instid1(VALU_DEP_3)
	v_pk_fma_f32 v[14:15], v[34:35], v[14:15], s[10:11] op_sel_hi:[1,1,0]
	v_pk_fma_f32 v[2:3], v[36:37], v[2:3], s[8:9] op_sel_hi:[1,1,0]
	s_delay_alu instid0(VALU_DEP_1) | instskip(NEXT) | instid1(VALU_DEP_1)
	v_pk_mul_f32 v[2:3], v[36:37], v[2:3]
	v_pk_fma_f32 v[2:3], v[4:5], v[2:3], v[4:5]
	v_xor_b32_e32 v13, v13, v8
	v_pk_fma_f32 v[8:9], v[36:37], s[6:7], s[4:5] op_sel_hi:[1,0,0]
	v_pk_fma_f32 v[4:5], v[34:35], v[14:15], s[12:13] op_sel_hi:[1,1,0]
	s_delay_alu instid0(VALU_DEP_3) | instskip(SKIP_1) | instid1(VALU_DEP_4)
	v_cndmask_b32_e32 v24, 0x7fc00000, v13, vcc_lo
	v_pk_fma_f32 v[12:13], v[34:35], s[2:3], s[0:1] op_sel_hi:[1,0,0]
	v_pk_fma_f32 v[8:9], v[36:37], v[8:9], s[10:11] op_sel_hi:[1,1,0]
	v_cmp_class_f32_e64 vcc_lo, v19, 0x1f8
	v_pk_fma_f32 v[4:5], v[34:35], v[4:5], 1.0 op_sel_hi:[1,1,0]
	s_delay_alu instid0(VALU_DEP_4) | instskip(NEXT) | instid1(VALU_DEP_4)
	v_pk_fma_f32 v[12:13], v[34:35], v[12:13], s[8:9] op_sel_hi:[1,1,0]
	v_pk_fma_f32 v[8:9], v[36:37], v[8:9], s[12:13] op_sel_hi:[1,1,0]
	s_delay_alu instid0(VALU_DEP_2) | instskip(NEXT) | instid1(VALU_DEP_2)
	v_pk_mul_f32 v[12:13], v[34:35], v[12:13]
	v_pk_fma_f32 v[8:9], v[36:37], v[8:9], 1.0 op_sel_hi:[1,1,0]
	s_delay_alu instid0(VALU_DEP_2) | instskip(SKIP_2) | instid1(VALU_DEP_2)
	v_pk_fma_f32 v[10:11], v[10:11], v[12:13], v[10:11]
	v_xor_b32_e32 v16, v81, v16
	v_and_b32_e32 v12, 0x80000000, v65
	v_cndmask_b32_e32 v14, 0x7fc00000, v16, vcc_lo
	v_cmp_eq_u32_e32 vcc_lo, 0, v68
	v_dual_cndmask_b32 v3, v9, v3, vcc_lo :: v_dual_bitop2_b32 v18, v18, v20 bitop3:0x14
	v_cmp_eq_u32_e32 vcc_lo, 0, v33
	v_and_b32_e32 v9, 0x80000000, v64
	v_cndmask_b32_e32 v2, v8, v2, vcc_lo
	v_cmp_eq_u32_e32 vcc_lo, 0, v30
	v_and_b32_e32 v8, 0x80000000, v67
	s_delay_alu instid0(VALU_DEP_4) | instskip(NEXT) | instid1(VALU_DEP_2)
	v_xor3_b32 v9, v32, v31, v9
	v_xor3_b32 v8, v23, v22, v8
	v_cndmask_b32_e32 v5, v5, v11, vcc_lo
	v_and_b32_e32 v11, 0x80000000, v66
	v_cmp_eq_u32_e32 vcc_lo, 0, v27
	v_dual_cndmask_b32 v4, v4, v10, vcc_lo :: v_dual_bitop2_b32 v3, v9, v3 bitop3:0x14
	s_delay_alu instid0(VALU_DEP_3) | instskip(SKIP_2) | instid1(VALU_DEP_4)
	v_xor3_b32 v10, v26, v25, v11
	v_cmp_class_f32_e64 vcc_lo, v17, 0x1f8
	v_xor3_b32 v11, v29, v28, v12
	v_xor_b32_e32 v4, v8, v4
	s_delay_alu instid0(VALU_DEP_4) | instskip(SKIP_3) | instid1(VALU_DEP_4)
	v_xor_b32_e32 v5, v10, v5
	v_cndmask_b32_e32 v12, 0x7fc00000, v18, vcc_lo
	v_cmp_class_f32_e64 vcc_lo, v25, 0x1f8
	v_xor_b32_e32 v2, v11, v2
	v_cndmask_b32_e32 v8, 0x7fc00000, v5, vcc_lo
	v_cmp_class_f32_e64 vcc_lo, v31, 0x1f8
	v_cndmask_b32_e32 v3, 0x7fc00000, v3, vcc_lo
	v_cmp_class_f32_e64 vcc_lo, v28, 0x1f8
	v_cndmask_b32_e32 v2, 0x7fc00000, v2, vcc_lo
	v_cmp_class_f32_e64 vcc_lo, v22, 0x1f8
	s_delay_alu instid0(VALU_DEP_2) | instskip(SKIP_4) | instid1(VALU_DEP_4)
	v_cvt_pk_f16_f32 v3, v2, v3
	v_cndmask_b32_e32 v9, 0x7fc00000, v4, vcc_lo
	v_add_nc_u64_e32 v[4:5], v[0:1], v[6:7]
	v_cvt_pk_f16_f32 v1, v12, v14
	v_cvt_pk_f16_f32 v0, v24, v21
	;; [unrolled: 1-line block ×3, first 2 shown]
	flat_store_b128 v[4:5], v[0:3]
	s_wait_dscnt 0x0
	s_set_pc_i64 s[30:31]
.Lfunc_end17:
	.size	_ZN2at6native25elementwise_kernel_helperILb0EZZZNS0_15sin_kernel_cudaERNS_18TensorIteratorBaseEENKUlvE0_clEvENKUlvE1_clEvEUlN3c104HalfEE_NS0_6memory8policies10vectorizedILi8ESt5arrayIPcLm2EELi8EEEEEvT0_T1_, .Lfunc_end17-_ZN2at6native25elementwise_kernel_helperILb0EZZZNS0_15sin_kernel_cudaERNS_18TensorIteratorBaseEENKUlvE0_clEvENKUlvE1_clEvEUlN3c104HalfEE_NS0_6memory8policies10vectorizedILi8ESt5arrayIPcLm2EELi8EEEEEvT0_T1_
                                        ; -- End function
	.set .L_ZN2at6native25elementwise_kernel_helperILb0EZZZNS0_15sin_kernel_cudaERNS_18TensorIteratorBaseEENKUlvE0_clEvENKUlvE1_clEvEUlN3c104HalfEE_NS0_6memory8policies10vectorizedILi8ESt5arrayIPcLm2EELi8EEEEEvT0_T1_.num_vgpr, 82
	.set .L_ZN2at6native25elementwise_kernel_helperILb0EZZZNS0_15sin_kernel_cudaERNS_18TensorIteratorBaseEENKUlvE0_clEvENKUlvE1_clEvEUlN3c104HalfEE_NS0_6memory8policies10vectorizedILi8ESt5arrayIPcLm2EELi8EEEEEvT0_T1_.num_agpr, 0
	.set .L_ZN2at6native25elementwise_kernel_helperILb0EZZZNS0_15sin_kernel_cudaERNS_18TensorIteratorBaseEENKUlvE0_clEvENKUlvE1_clEvEUlN3c104HalfEE_NS0_6memory8policies10vectorizedILi8ESt5arrayIPcLm2EELi8EEEEEvT0_T1_.numbered_sgpr, 32
	.set .L_ZN2at6native25elementwise_kernel_helperILb0EZZZNS0_15sin_kernel_cudaERNS_18TensorIteratorBaseEENKUlvE0_clEvENKUlvE1_clEvEUlN3c104HalfEE_NS0_6memory8policies10vectorizedILi8ESt5arrayIPcLm2EELi8EEEEEvT0_T1_.num_named_barrier, 0
	.set .L_ZN2at6native25elementwise_kernel_helperILb0EZZZNS0_15sin_kernel_cudaERNS_18TensorIteratorBaseEENKUlvE0_clEvENKUlvE1_clEvEUlN3c104HalfEE_NS0_6memory8policies10vectorizedILi8ESt5arrayIPcLm2EELi8EEEEEvT0_T1_.private_seg_size, 0
	.set .L_ZN2at6native25elementwise_kernel_helperILb0EZZZNS0_15sin_kernel_cudaERNS_18TensorIteratorBaseEENKUlvE0_clEvENKUlvE1_clEvEUlN3c104HalfEE_NS0_6memory8policies10vectorizedILi8ESt5arrayIPcLm2EELi8EEEEEvT0_T1_.uses_vcc, 1
	.set .L_ZN2at6native25elementwise_kernel_helperILb0EZZZNS0_15sin_kernel_cudaERNS_18TensorIteratorBaseEENKUlvE0_clEvENKUlvE1_clEvEUlN3c104HalfEE_NS0_6memory8policies10vectorizedILi8ESt5arrayIPcLm2EELi8EEEEEvT0_T1_.uses_flat_scratch, 0
	.set .L_ZN2at6native25elementwise_kernel_helperILb0EZZZNS0_15sin_kernel_cudaERNS_18TensorIteratorBaseEENKUlvE0_clEvENKUlvE1_clEvEUlN3c104HalfEE_NS0_6memory8policies10vectorizedILi8ESt5arrayIPcLm2EELi8EEEEEvT0_T1_.has_dyn_sized_stack, 0
	.set .L_ZN2at6native25elementwise_kernel_helperILb0EZZZNS0_15sin_kernel_cudaERNS_18TensorIteratorBaseEENKUlvE0_clEvENKUlvE1_clEvEUlN3c104HalfEE_NS0_6memory8policies10vectorizedILi8ESt5arrayIPcLm2EELi8EEEEEvT0_T1_.has_recursion, 0
	.set .L_ZN2at6native25elementwise_kernel_helperILb0EZZZNS0_15sin_kernel_cudaERNS_18TensorIteratorBaseEENKUlvE0_clEvENKUlvE1_clEvEUlN3c104HalfEE_NS0_6memory8policies10vectorizedILi8ESt5arrayIPcLm2EELi8EEEEEvT0_T1_.has_indirect_call, 0
	.section	.AMDGPU.csdata,"",@progbits
; Function info:
; codeLenInByte = 7680
; TotalNumSgprs: 34
; NumVgprs: 82
; ScratchSize: 0
; MemoryBound: 0
	.section	.text._ZN2at6native29vectorized_elementwise_kernelILi16EZZZNS0_15sin_kernel_cudaERNS_18TensorIteratorBaseEENKUlvE0_clEvENKUlvE1_clEvEUlN3c104HalfEE_St5arrayIPcLm2EEEEviT0_T1_,"axG",@progbits,_ZN2at6native29vectorized_elementwise_kernelILi16EZZZNS0_15sin_kernel_cudaERNS_18TensorIteratorBaseEENKUlvE0_clEvENKUlvE1_clEvEUlN3c104HalfEE_St5arrayIPcLm2EEEEviT0_T1_,comdat
	.globl	_ZN2at6native29vectorized_elementwise_kernelILi16EZZZNS0_15sin_kernel_cudaERNS_18TensorIteratorBaseEENKUlvE0_clEvENKUlvE1_clEvEUlN3c104HalfEE_St5arrayIPcLm2EEEEviT0_T1_ ; -- Begin function _ZN2at6native29vectorized_elementwise_kernelILi16EZZZNS0_15sin_kernel_cudaERNS_18TensorIteratorBaseEENKUlvE0_clEvENKUlvE1_clEvEUlN3c104HalfEE_St5arrayIPcLm2EEEEviT0_T1_
	.p2align	8
	.type	_ZN2at6native29vectorized_elementwise_kernelILi16EZZZNS0_15sin_kernel_cudaERNS_18TensorIteratorBaseEENKUlvE0_clEvENKUlvE1_clEvEUlN3c104HalfEE_St5arrayIPcLm2EEEEviT0_T1_,@function
_ZN2at6native29vectorized_elementwise_kernelILi16EZZZNS0_15sin_kernel_cudaERNS_18TensorIteratorBaseEENKUlvE0_clEvENKUlvE1_clEvEUlN3c104HalfEE_St5arrayIPcLm2EEEEviT0_T1_: ; @_ZN2at6native29vectorized_elementwise_kernelILi16EZZZNS0_15sin_kernel_cudaERNS_18TensorIteratorBaseEENKUlvE0_clEvENKUlvE1_clEvEUlN3c104HalfEE_St5arrayIPcLm2EEEEviT0_T1_
; %bb.0:
	s_clause 0x1
	s_load_b32 s2, s[0:1], 0x0
	s_load_b128 s[16:19], s[0:1], 0x8
	s_wait_xcnt 0x0
	s_bfe_u32 s0, ttmp6, 0x4000c
	s_and_b32 s1, ttmp6, 15
	s_add_co_i32 s0, s0, 1
	s_getreg_b32 s3, hwreg(HW_REG_IB_STS2, 6, 4)
	s_mul_i32 s0, ttmp9, s0
	v_mov_b32_e32 v40, v0
	s_add_co_i32 s1, s1, s0
	s_cmp_eq_u32 s3, 0
	s_mov_b32 s32, 0
	s_cselect_b32 s0, ttmp9, s1
	s_delay_alu instid0(SALU_CYCLE_1)
	s_lshl_b32 s0, s0, 11
	s_wait_kmcnt 0x0
	s_sub_co_i32 s5, s2, s0
	s_mov_b32 s0, -1
	s_cmp_gt_i32 s5, 0x7ff
	s_cbranch_scc1 .LBB18_3
; %bb.1:
	s_and_not1_b32 vcc_lo, exec_lo, s0
	s_cbranch_vccz .LBB18_4
.LBB18_2:
	s_endpgm
.LBB18_3:
	v_dual_mov_b32 v31, v40 :: v_dual_mov_b32 v0, s16
	v_dual_mov_b32 v1, s17 :: v_dual_mov_b32 v2, s18
	v_mov_b32_e32 v3, s19
	s_get_pc_i64 s[0:1]
	s_add_nc_u64 s[0:1], s[0:1], _ZN2at6native25elementwise_kernel_helperILb0EZZZNS0_15sin_kernel_cudaERNS_18TensorIteratorBaseEENKUlvE0_clEvENKUlvE1_clEvEUlN3c104HalfEE_NS0_6memory8policies10vectorizedILi8ESt5arrayIPcLm2EELi8EEEEEvT0_T1_@rel64+4
	s_delay_alu instid0(SALU_CYCLE_1)
	s_swap_pc_i64 s[30:31], s[0:1]
	s_cbranch_execnz .LBB18_2
.LBB18_4:
	v_dual_mov_b32 v31, v40 :: v_dual_mov_b32 v0, s16
	v_dual_mov_b32 v1, s17 :: v_dual_mov_b32 v2, s18
	;; [unrolled: 1-line block ×3, first 2 shown]
	s_get_pc_i64 s[0:1]
	s_add_nc_u64 s[0:1], s[0:1], _ZN2at6native25elementwise_kernel_helperILb0EZZZNS0_15sin_kernel_cudaERNS_18TensorIteratorBaseEENKUlvE0_clEvENKUlvE1_clEvEUlN3c104HalfEE_NS0_6memory8policies11unroll_baseILi256ESt5arrayIPcLm2EE23TrivialOffsetCalculatorILi1EjESG_NS9_15LoadWithoutCastENS9_16StoreWithoutCastELi8ELi1EEEEEvT0_T1_@rel64+4
	s_delay_alu instid0(SALU_CYCLE_1)
	s_swap_pc_i64 s[30:31], s[0:1]
	s_endpgm
	.section	.rodata,"a",@progbits
	.p2align	6, 0x0
	.amdhsa_kernel _ZN2at6native29vectorized_elementwise_kernelILi16EZZZNS0_15sin_kernel_cudaERNS_18TensorIteratorBaseEENKUlvE0_clEvENKUlvE1_clEvEUlN3c104HalfEE_St5arrayIPcLm2EEEEviT0_T1_
		.amdhsa_group_segment_fixed_size 0
		.amdhsa_private_segment_fixed_size 0
		.amdhsa_kernarg_size 24
		.amdhsa_user_sgpr_count 2
		.amdhsa_user_sgpr_dispatch_ptr 0
		.amdhsa_user_sgpr_queue_ptr 0
		.amdhsa_user_sgpr_kernarg_segment_ptr 1
		.amdhsa_user_sgpr_dispatch_id 0
		.amdhsa_user_sgpr_kernarg_preload_length 0
		.amdhsa_user_sgpr_kernarg_preload_offset 0
		.amdhsa_user_sgpr_private_segment_size 0
		.amdhsa_wavefront_size32 1
		.amdhsa_uses_dynamic_stack 0
		.amdhsa_enable_private_segment 0
		.amdhsa_system_sgpr_workgroup_id_x 1
		.amdhsa_system_sgpr_workgroup_id_y 0
		.amdhsa_system_sgpr_workgroup_id_z 0
		.amdhsa_system_sgpr_workgroup_info 0
		.amdhsa_system_vgpr_workitem_id 0
		.amdhsa_next_free_vgpr 82
		.amdhsa_next_free_sgpr 33
		.amdhsa_named_barrier_count 0
		.amdhsa_reserve_vcc 1
		.amdhsa_float_round_mode_32 0
		.amdhsa_float_round_mode_16_64 0
		.amdhsa_float_denorm_mode_32 3
		.amdhsa_float_denorm_mode_16_64 3
		.amdhsa_fp16_overflow 0
		.amdhsa_memory_ordered 1
		.amdhsa_forward_progress 1
		.amdhsa_inst_pref_size 2
		.amdhsa_round_robin_scheduling 0
		.amdhsa_exception_fp_ieee_invalid_op 0
		.amdhsa_exception_fp_denorm_src 0
		.amdhsa_exception_fp_ieee_div_zero 0
		.amdhsa_exception_fp_ieee_overflow 0
		.amdhsa_exception_fp_ieee_underflow 0
		.amdhsa_exception_fp_ieee_inexact 0
		.amdhsa_exception_int_div_zero 0
	.end_amdhsa_kernel
	.section	.text._ZN2at6native29vectorized_elementwise_kernelILi16EZZZNS0_15sin_kernel_cudaERNS_18TensorIteratorBaseEENKUlvE0_clEvENKUlvE1_clEvEUlN3c104HalfEE_St5arrayIPcLm2EEEEviT0_T1_,"axG",@progbits,_ZN2at6native29vectorized_elementwise_kernelILi16EZZZNS0_15sin_kernel_cudaERNS_18TensorIteratorBaseEENKUlvE0_clEvENKUlvE1_clEvEUlN3c104HalfEE_St5arrayIPcLm2EEEEviT0_T1_,comdat
.Lfunc_end18:
	.size	_ZN2at6native29vectorized_elementwise_kernelILi16EZZZNS0_15sin_kernel_cudaERNS_18TensorIteratorBaseEENKUlvE0_clEvENKUlvE1_clEvEUlN3c104HalfEE_St5arrayIPcLm2EEEEviT0_T1_, .Lfunc_end18-_ZN2at6native29vectorized_elementwise_kernelILi16EZZZNS0_15sin_kernel_cudaERNS_18TensorIteratorBaseEENKUlvE0_clEvENKUlvE1_clEvEUlN3c104HalfEE_St5arrayIPcLm2EEEEviT0_T1_
                                        ; -- End function
	.set _ZN2at6native29vectorized_elementwise_kernelILi16EZZZNS0_15sin_kernel_cudaERNS_18TensorIteratorBaseEENKUlvE0_clEvENKUlvE1_clEvEUlN3c104HalfEE_St5arrayIPcLm2EEEEviT0_T1_.num_vgpr, max(41, .L_ZN2at6native25elementwise_kernel_helperILb0EZZZNS0_15sin_kernel_cudaERNS_18TensorIteratorBaseEENKUlvE0_clEvENKUlvE1_clEvEUlN3c104HalfEE_NS0_6memory8policies10vectorizedILi8ESt5arrayIPcLm2EELi8EEEEEvT0_T1_.num_vgpr, .L_ZN2at6native25elementwise_kernel_helperILb0EZZZNS0_15sin_kernel_cudaERNS_18TensorIteratorBaseEENKUlvE0_clEvENKUlvE1_clEvEUlN3c104HalfEE_NS0_6memory8policies11unroll_baseILi256ESt5arrayIPcLm2EE23TrivialOffsetCalculatorILi1EjESG_NS9_15LoadWithoutCastENS9_16StoreWithoutCastELi8ELi1EEEEEvT0_T1_.num_vgpr)
	.set _ZN2at6native29vectorized_elementwise_kernelILi16EZZZNS0_15sin_kernel_cudaERNS_18TensorIteratorBaseEENKUlvE0_clEvENKUlvE1_clEvEUlN3c104HalfEE_St5arrayIPcLm2EEEEviT0_T1_.num_agpr, max(0, .L_ZN2at6native25elementwise_kernel_helperILb0EZZZNS0_15sin_kernel_cudaERNS_18TensorIteratorBaseEENKUlvE0_clEvENKUlvE1_clEvEUlN3c104HalfEE_NS0_6memory8policies10vectorizedILi8ESt5arrayIPcLm2EELi8EEEEEvT0_T1_.num_agpr, .L_ZN2at6native25elementwise_kernel_helperILb0EZZZNS0_15sin_kernel_cudaERNS_18TensorIteratorBaseEENKUlvE0_clEvENKUlvE1_clEvEUlN3c104HalfEE_NS0_6memory8policies11unroll_baseILi256ESt5arrayIPcLm2EE23TrivialOffsetCalculatorILi1EjESG_NS9_15LoadWithoutCastENS9_16StoreWithoutCastELi8ELi1EEEEEvT0_T1_.num_agpr)
	.set _ZN2at6native29vectorized_elementwise_kernelILi16EZZZNS0_15sin_kernel_cudaERNS_18TensorIteratorBaseEENKUlvE0_clEvENKUlvE1_clEvEUlN3c104HalfEE_St5arrayIPcLm2EEEEviT0_T1_.numbered_sgpr, max(33, .L_ZN2at6native25elementwise_kernel_helperILb0EZZZNS0_15sin_kernel_cudaERNS_18TensorIteratorBaseEENKUlvE0_clEvENKUlvE1_clEvEUlN3c104HalfEE_NS0_6memory8policies10vectorizedILi8ESt5arrayIPcLm2EELi8EEEEEvT0_T1_.numbered_sgpr, .L_ZN2at6native25elementwise_kernel_helperILb0EZZZNS0_15sin_kernel_cudaERNS_18TensorIteratorBaseEENKUlvE0_clEvENKUlvE1_clEvEUlN3c104HalfEE_NS0_6memory8policies11unroll_baseILi256ESt5arrayIPcLm2EE23TrivialOffsetCalculatorILi1EjESG_NS9_15LoadWithoutCastENS9_16StoreWithoutCastELi8ELi1EEEEEvT0_T1_.numbered_sgpr)
	.set _ZN2at6native29vectorized_elementwise_kernelILi16EZZZNS0_15sin_kernel_cudaERNS_18TensorIteratorBaseEENKUlvE0_clEvENKUlvE1_clEvEUlN3c104HalfEE_St5arrayIPcLm2EEEEviT0_T1_.num_named_barrier, max(0, .L_ZN2at6native25elementwise_kernel_helperILb0EZZZNS0_15sin_kernel_cudaERNS_18TensorIteratorBaseEENKUlvE0_clEvENKUlvE1_clEvEUlN3c104HalfEE_NS0_6memory8policies10vectorizedILi8ESt5arrayIPcLm2EELi8EEEEEvT0_T1_.num_named_barrier, .L_ZN2at6native25elementwise_kernel_helperILb0EZZZNS0_15sin_kernel_cudaERNS_18TensorIteratorBaseEENKUlvE0_clEvENKUlvE1_clEvEUlN3c104HalfEE_NS0_6memory8policies11unroll_baseILi256ESt5arrayIPcLm2EE23TrivialOffsetCalculatorILi1EjESG_NS9_15LoadWithoutCastENS9_16StoreWithoutCastELi8ELi1EEEEEvT0_T1_.num_named_barrier)
	.set _ZN2at6native29vectorized_elementwise_kernelILi16EZZZNS0_15sin_kernel_cudaERNS_18TensorIteratorBaseEENKUlvE0_clEvENKUlvE1_clEvEUlN3c104HalfEE_St5arrayIPcLm2EEEEviT0_T1_.private_seg_size, 0+max(.L_ZN2at6native25elementwise_kernel_helperILb0EZZZNS0_15sin_kernel_cudaERNS_18TensorIteratorBaseEENKUlvE0_clEvENKUlvE1_clEvEUlN3c104HalfEE_NS0_6memory8policies10vectorizedILi8ESt5arrayIPcLm2EELi8EEEEEvT0_T1_.private_seg_size, .L_ZN2at6native25elementwise_kernel_helperILb0EZZZNS0_15sin_kernel_cudaERNS_18TensorIteratorBaseEENKUlvE0_clEvENKUlvE1_clEvEUlN3c104HalfEE_NS0_6memory8policies11unroll_baseILi256ESt5arrayIPcLm2EE23TrivialOffsetCalculatorILi1EjESG_NS9_15LoadWithoutCastENS9_16StoreWithoutCastELi8ELi1EEEEEvT0_T1_.private_seg_size)
	.set _ZN2at6native29vectorized_elementwise_kernelILi16EZZZNS0_15sin_kernel_cudaERNS_18TensorIteratorBaseEENKUlvE0_clEvENKUlvE1_clEvEUlN3c104HalfEE_St5arrayIPcLm2EEEEviT0_T1_.uses_vcc, or(1, .L_ZN2at6native25elementwise_kernel_helperILb0EZZZNS0_15sin_kernel_cudaERNS_18TensorIteratorBaseEENKUlvE0_clEvENKUlvE1_clEvEUlN3c104HalfEE_NS0_6memory8policies10vectorizedILi8ESt5arrayIPcLm2EELi8EEEEEvT0_T1_.uses_vcc, .L_ZN2at6native25elementwise_kernel_helperILb0EZZZNS0_15sin_kernel_cudaERNS_18TensorIteratorBaseEENKUlvE0_clEvENKUlvE1_clEvEUlN3c104HalfEE_NS0_6memory8policies11unroll_baseILi256ESt5arrayIPcLm2EE23TrivialOffsetCalculatorILi1EjESG_NS9_15LoadWithoutCastENS9_16StoreWithoutCastELi8ELi1EEEEEvT0_T1_.uses_vcc)
	.set _ZN2at6native29vectorized_elementwise_kernelILi16EZZZNS0_15sin_kernel_cudaERNS_18TensorIteratorBaseEENKUlvE0_clEvENKUlvE1_clEvEUlN3c104HalfEE_St5arrayIPcLm2EEEEviT0_T1_.uses_flat_scratch, or(0, .L_ZN2at6native25elementwise_kernel_helperILb0EZZZNS0_15sin_kernel_cudaERNS_18TensorIteratorBaseEENKUlvE0_clEvENKUlvE1_clEvEUlN3c104HalfEE_NS0_6memory8policies10vectorizedILi8ESt5arrayIPcLm2EELi8EEEEEvT0_T1_.uses_flat_scratch, .L_ZN2at6native25elementwise_kernel_helperILb0EZZZNS0_15sin_kernel_cudaERNS_18TensorIteratorBaseEENKUlvE0_clEvENKUlvE1_clEvEUlN3c104HalfEE_NS0_6memory8policies11unroll_baseILi256ESt5arrayIPcLm2EE23TrivialOffsetCalculatorILi1EjESG_NS9_15LoadWithoutCastENS9_16StoreWithoutCastELi8ELi1EEEEEvT0_T1_.uses_flat_scratch)
	.set _ZN2at6native29vectorized_elementwise_kernelILi16EZZZNS0_15sin_kernel_cudaERNS_18TensorIteratorBaseEENKUlvE0_clEvENKUlvE1_clEvEUlN3c104HalfEE_St5arrayIPcLm2EEEEviT0_T1_.has_dyn_sized_stack, or(0, .L_ZN2at6native25elementwise_kernel_helperILb0EZZZNS0_15sin_kernel_cudaERNS_18TensorIteratorBaseEENKUlvE0_clEvENKUlvE1_clEvEUlN3c104HalfEE_NS0_6memory8policies10vectorizedILi8ESt5arrayIPcLm2EELi8EEEEEvT0_T1_.has_dyn_sized_stack, .L_ZN2at6native25elementwise_kernel_helperILb0EZZZNS0_15sin_kernel_cudaERNS_18TensorIteratorBaseEENKUlvE0_clEvENKUlvE1_clEvEUlN3c104HalfEE_NS0_6memory8policies11unroll_baseILi256ESt5arrayIPcLm2EE23TrivialOffsetCalculatorILi1EjESG_NS9_15LoadWithoutCastENS9_16StoreWithoutCastELi8ELi1EEEEEvT0_T1_.has_dyn_sized_stack)
	.set _ZN2at6native29vectorized_elementwise_kernelILi16EZZZNS0_15sin_kernel_cudaERNS_18TensorIteratorBaseEENKUlvE0_clEvENKUlvE1_clEvEUlN3c104HalfEE_St5arrayIPcLm2EEEEviT0_T1_.has_recursion, or(0, .L_ZN2at6native25elementwise_kernel_helperILb0EZZZNS0_15sin_kernel_cudaERNS_18TensorIteratorBaseEENKUlvE0_clEvENKUlvE1_clEvEUlN3c104HalfEE_NS0_6memory8policies10vectorizedILi8ESt5arrayIPcLm2EELi8EEEEEvT0_T1_.has_recursion, .L_ZN2at6native25elementwise_kernel_helperILb0EZZZNS0_15sin_kernel_cudaERNS_18TensorIteratorBaseEENKUlvE0_clEvENKUlvE1_clEvEUlN3c104HalfEE_NS0_6memory8policies11unroll_baseILi256ESt5arrayIPcLm2EE23TrivialOffsetCalculatorILi1EjESG_NS9_15LoadWithoutCastENS9_16StoreWithoutCastELi8ELi1EEEEEvT0_T1_.has_recursion)
	.set _ZN2at6native29vectorized_elementwise_kernelILi16EZZZNS0_15sin_kernel_cudaERNS_18TensorIteratorBaseEENKUlvE0_clEvENKUlvE1_clEvEUlN3c104HalfEE_St5arrayIPcLm2EEEEviT0_T1_.has_indirect_call, or(0, .L_ZN2at6native25elementwise_kernel_helperILb0EZZZNS0_15sin_kernel_cudaERNS_18TensorIteratorBaseEENKUlvE0_clEvENKUlvE1_clEvEUlN3c104HalfEE_NS0_6memory8policies10vectorizedILi8ESt5arrayIPcLm2EELi8EEEEEvT0_T1_.has_indirect_call, .L_ZN2at6native25elementwise_kernel_helperILb0EZZZNS0_15sin_kernel_cudaERNS_18TensorIteratorBaseEENKUlvE0_clEvENKUlvE1_clEvEUlN3c104HalfEE_NS0_6memory8policies11unroll_baseILi256ESt5arrayIPcLm2EE23TrivialOffsetCalculatorILi1EjESG_NS9_15LoadWithoutCastENS9_16StoreWithoutCastELi8ELi1EEEEEvT0_T1_.has_indirect_call)
	.section	.AMDGPU.csdata,"",@progbits
; Kernel info:
; codeLenInByte = 212
; TotalNumSgprs: 35
; NumVgprs: 82
; ScratchSize: 0
; MemoryBound: 0
; FloatMode: 240
; IeeeMode: 1
; LDSByteSize: 0 bytes/workgroup (compile time only)
; SGPRBlocks: 0
; VGPRBlocks: 5
; NumSGPRsForWavesPerEU: 35
; NumVGPRsForWavesPerEU: 82
; NamedBarCnt: 0
; Occupancy: 10
; WaveLimiterHint : 0
; COMPUTE_PGM_RSRC2:SCRATCH_EN: 0
; COMPUTE_PGM_RSRC2:USER_SGPR: 2
; COMPUTE_PGM_RSRC2:TRAP_HANDLER: 0
; COMPUTE_PGM_RSRC2:TGID_X_EN: 1
; COMPUTE_PGM_RSRC2:TGID_Y_EN: 0
; COMPUTE_PGM_RSRC2:TGID_Z_EN: 0
; COMPUTE_PGM_RSRC2:TIDIG_COMP_CNT: 0
	.section	.text._ZN2at6native29vectorized_elementwise_kernelILi8EZZZNS0_15sin_kernel_cudaERNS_18TensorIteratorBaseEENKUlvE0_clEvENKUlvE1_clEvEUlN3c104HalfEE_St5arrayIPcLm2EEEEviT0_T1_,"axG",@progbits,_ZN2at6native29vectorized_elementwise_kernelILi8EZZZNS0_15sin_kernel_cudaERNS_18TensorIteratorBaseEENKUlvE0_clEvENKUlvE1_clEvEUlN3c104HalfEE_St5arrayIPcLm2EEEEviT0_T1_,comdat
	.globl	_ZN2at6native29vectorized_elementwise_kernelILi8EZZZNS0_15sin_kernel_cudaERNS_18TensorIteratorBaseEENKUlvE0_clEvENKUlvE1_clEvEUlN3c104HalfEE_St5arrayIPcLm2EEEEviT0_T1_ ; -- Begin function _ZN2at6native29vectorized_elementwise_kernelILi8EZZZNS0_15sin_kernel_cudaERNS_18TensorIteratorBaseEENKUlvE0_clEvENKUlvE1_clEvEUlN3c104HalfEE_St5arrayIPcLm2EEEEviT0_T1_
	.p2align	8
	.type	_ZN2at6native29vectorized_elementwise_kernelILi8EZZZNS0_15sin_kernel_cudaERNS_18TensorIteratorBaseEENKUlvE0_clEvENKUlvE1_clEvEUlN3c104HalfEE_St5arrayIPcLm2EEEEviT0_T1_,@function
_ZN2at6native29vectorized_elementwise_kernelILi8EZZZNS0_15sin_kernel_cudaERNS_18TensorIteratorBaseEENKUlvE0_clEvENKUlvE1_clEvEUlN3c104HalfEE_St5arrayIPcLm2EEEEviT0_T1_: ; @_ZN2at6native29vectorized_elementwise_kernelILi8EZZZNS0_15sin_kernel_cudaERNS_18TensorIteratorBaseEENKUlvE0_clEvENKUlvE1_clEvEUlN3c104HalfEE_St5arrayIPcLm2EEEEviT0_T1_
; %bb.0:
	s_clause 0x1
	s_load_b32 s2, s[0:1], 0x0
	s_load_b128 s[16:19], s[0:1], 0x8
	s_wait_xcnt 0x0
	s_bfe_u32 s0, ttmp6, 0x4000c
	s_and_b32 s1, ttmp6, 15
	s_add_co_i32 s0, s0, 1
	s_getreg_b32 s3, hwreg(HW_REG_IB_STS2, 6, 4)
	s_mul_i32 s0, ttmp9, s0
	v_mov_b32_e32 v40, v0
	s_add_co_i32 s1, s1, s0
	s_cmp_eq_u32 s3, 0
	s_mov_b32 s32, 0
	s_cselect_b32 s0, ttmp9, s1
	s_delay_alu instid0(SALU_CYCLE_1)
	s_lshl_b32 s0, s0, 11
	s_wait_kmcnt 0x0
	s_sub_co_i32 s5, s2, s0
	s_mov_b32 s0, -1
	s_cmp_gt_i32 s5, 0x7ff
	s_cbranch_scc1 .LBB19_3
; %bb.1:
	s_and_not1_b32 vcc_lo, exec_lo, s0
	s_cbranch_vccz .LBB19_4
.LBB19_2:
	s_endpgm
.LBB19_3:
	v_dual_mov_b32 v31, v40 :: v_dual_mov_b32 v0, s16
	v_dual_mov_b32 v1, s17 :: v_dual_mov_b32 v2, s18
	v_mov_b32_e32 v3, s19
	s_get_pc_i64 s[0:1]
	s_add_nc_u64 s[0:1], s[0:1], _ZN2at6native25elementwise_kernel_helperILb0EZZZNS0_15sin_kernel_cudaERNS_18TensorIteratorBaseEENKUlvE0_clEvENKUlvE1_clEvEUlN3c104HalfEE_NS0_6memory8policies10vectorizedILi8ESt5arrayIPcLm2EELi8EEEEEvT0_T1_@rel64+4
	s_delay_alu instid0(SALU_CYCLE_1)
	s_swap_pc_i64 s[30:31], s[0:1]
	s_cbranch_execnz .LBB19_2
.LBB19_4:
	v_dual_mov_b32 v31, v40 :: v_dual_mov_b32 v0, s16
	v_dual_mov_b32 v1, s17 :: v_dual_mov_b32 v2, s18
	v_dual_mov_b32 v3, s19 :: v_dual_mov_b32 v4, s5
	s_get_pc_i64 s[0:1]
	s_add_nc_u64 s[0:1], s[0:1], _ZN2at6native25elementwise_kernel_helperILb0EZZZNS0_15sin_kernel_cudaERNS_18TensorIteratorBaseEENKUlvE0_clEvENKUlvE1_clEvEUlN3c104HalfEE_NS0_6memory8policies11unroll_baseILi256ESt5arrayIPcLm2EE23TrivialOffsetCalculatorILi1EjESG_NS9_15LoadWithoutCastENS9_16StoreWithoutCastELi8ELi1EEEEEvT0_T1_@rel64+4
	s_delay_alu instid0(SALU_CYCLE_1)
	s_swap_pc_i64 s[30:31], s[0:1]
	s_endpgm
	.section	.rodata,"a",@progbits
	.p2align	6, 0x0
	.amdhsa_kernel _ZN2at6native29vectorized_elementwise_kernelILi8EZZZNS0_15sin_kernel_cudaERNS_18TensorIteratorBaseEENKUlvE0_clEvENKUlvE1_clEvEUlN3c104HalfEE_St5arrayIPcLm2EEEEviT0_T1_
		.amdhsa_group_segment_fixed_size 0
		.amdhsa_private_segment_fixed_size 0
		.amdhsa_kernarg_size 24
		.amdhsa_user_sgpr_count 2
		.amdhsa_user_sgpr_dispatch_ptr 0
		.amdhsa_user_sgpr_queue_ptr 0
		.amdhsa_user_sgpr_kernarg_segment_ptr 1
		.amdhsa_user_sgpr_dispatch_id 0
		.amdhsa_user_sgpr_kernarg_preload_length 0
		.amdhsa_user_sgpr_kernarg_preload_offset 0
		.amdhsa_user_sgpr_private_segment_size 0
		.amdhsa_wavefront_size32 1
		.amdhsa_uses_dynamic_stack 0
		.amdhsa_enable_private_segment 0
		.amdhsa_system_sgpr_workgroup_id_x 1
		.amdhsa_system_sgpr_workgroup_id_y 0
		.amdhsa_system_sgpr_workgroup_id_z 0
		.amdhsa_system_sgpr_workgroup_info 0
		.amdhsa_system_vgpr_workitem_id 0
		.amdhsa_next_free_vgpr 82
		.amdhsa_next_free_sgpr 33
		.amdhsa_named_barrier_count 0
		.amdhsa_reserve_vcc 1
		.amdhsa_float_round_mode_32 0
		.amdhsa_float_round_mode_16_64 0
		.amdhsa_float_denorm_mode_32 3
		.amdhsa_float_denorm_mode_16_64 3
		.amdhsa_fp16_overflow 0
		.amdhsa_memory_ordered 1
		.amdhsa_forward_progress 1
		.amdhsa_inst_pref_size 2
		.amdhsa_round_robin_scheduling 0
		.amdhsa_exception_fp_ieee_invalid_op 0
		.amdhsa_exception_fp_denorm_src 0
		.amdhsa_exception_fp_ieee_div_zero 0
		.amdhsa_exception_fp_ieee_overflow 0
		.amdhsa_exception_fp_ieee_underflow 0
		.amdhsa_exception_fp_ieee_inexact 0
		.amdhsa_exception_int_div_zero 0
	.end_amdhsa_kernel
	.section	.text._ZN2at6native29vectorized_elementwise_kernelILi8EZZZNS0_15sin_kernel_cudaERNS_18TensorIteratorBaseEENKUlvE0_clEvENKUlvE1_clEvEUlN3c104HalfEE_St5arrayIPcLm2EEEEviT0_T1_,"axG",@progbits,_ZN2at6native29vectorized_elementwise_kernelILi8EZZZNS0_15sin_kernel_cudaERNS_18TensorIteratorBaseEENKUlvE0_clEvENKUlvE1_clEvEUlN3c104HalfEE_St5arrayIPcLm2EEEEviT0_T1_,comdat
.Lfunc_end19:
	.size	_ZN2at6native29vectorized_elementwise_kernelILi8EZZZNS0_15sin_kernel_cudaERNS_18TensorIteratorBaseEENKUlvE0_clEvENKUlvE1_clEvEUlN3c104HalfEE_St5arrayIPcLm2EEEEviT0_T1_, .Lfunc_end19-_ZN2at6native29vectorized_elementwise_kernelILi8EZZZNS0_15sin_kernel_cudaERNS_18TensorIteratorBaseEENKUlvE0_clEvENKUlvE1_clEvEUlN3c104HalfEE_St5arrayIPcLm2EEEEviT0_T1_
                                        ; -- End function
	.set _ZN2at6native29vectorized_elementwise_kernelILi8EZZZNS0_15sin_kernel_cudaERNS_18TensorIteratorBaseEENKUlvE0_clEvENKUlvE1_clEvEUlN3c104HalfEE_St5arrayIPcLm2EEEEviT0_T1_.num_vgpr, max(41, .L_ZN2at6native25elementwise_kernel_helperILb0EZZZNS0_15sin_kernel_cudaERNS_18TensorIteratorBaseEENKUlvE0_clEvENKUlvE1_clEvEUlN3c104HalfEE_NS0_6memory8policies10vectorizedILi8ESt5arrayIPcLm2EELi8EEEEEvT0_T1_.num_vgpr, .L_ZN2at6native25elementwise_kernel_helperILb0EZZZNS0_15sin_kernel_cudaERNS_18TensorIteratorBaseEENKUlvE0_clEvENKUlvE1_clEvEUlN3c104HalfEE_NS0_6memory8policies11unroll_baseILi256ESt5arrayIPcLm2EE23TrivialOffsetCalculatorILi1EjESG_NS9_15LoadWithoutCastENS9_16StoreWithoutCastELi8ELi1EEEEEvT0_T1_.num_vgpr)
	.set _ZN2at6native29vectorized_elementwise_kernelILi8EZZZNS0_15sin_kernel_cudaERNS_18TensorIteratorBaseEENKUlvE0_clEvENKUlvE1_clEvEUlN3c104HalfEE_St5arrayIPcLm2EEEEviT0_T1_.num_agpr, max(0, .L_ZN2at6native25elementwise_kernel_helperILb0EZZZNS0_15sin_kernel_cudaERNS_18TensorIteratorBaseEENKUlvE0_clEvENKUlvE1_clEvEUlN3c104HalfEE_NS0_6memory8policies10vectorizedILi8ESt5arrayIPcLm2EELi8EEEEEvT0_T1_.num_agpr, .L_ZN2at6native25elementwise_kernel_helperILb0EZZZNS0_15sin_kernel_cudaERNS_18TensorIteratorBaseEENKUlvE0_clEvENKUlvE1_clEvEUlN3c104HalfEE_NS0_6memory8policies11unroll_baseILi256ESt5arrayIPcLm2EE23TrivialOffsetCalculatorILi1EjESG_NS9_15LoadWithoutCastENS9_16StoreWithoutCastELi8ELi1EEEEEvT0_T1_.num_agpr)
	.set _ZN2at6native29vectorized_elementwise_kernelILi8EZZZNS0_15sin_kernel_cudaERNS_18TensorIteratorBaseEENKUlvE0_clEvENKUlvE1_clEvEUlN3c104HalfEE_St5arrayIPcLm2EEEEviT0_T1_.numbered_sgpr, max(33, .L_ZN2at6native25elementwise_kernel_helperILb0EZZZNS0_15sin_kernel_cudaERNS_18TensorIteratorBaseEENKUlvE0_clEvENKUlvE1_clEvEUlN3c104HalfEE_NS0_6memory8policies10vectorizedILi8ESt5arrayIPcLm2EELi8EEEEEvT0_T1_.numbered_sgpr, .L_ZN2at6native25elementwise_kernel_helperILb0EZZZNS0_15sin_kernel_cudaERNS_18TensorIteratorBaseEENKUlvE0_clEvENKUlvE1_clEvEUlN3c104HalfEE_NS0_6memory8policies11unroll_baseILi256ESt5arrayIPcLm2EE23TrivialOffsetCalculatorILi1EjESG_NS9_15LoadWithoutCastENS9_16StoreWithoutCastELi8ELi1EEEEEvT0_T1_.numbered_sgpr)
	.set _ZN2at6native29vectorized_elementwise_kernelILi8EZZZNS0_15sin_kernel_cudaERNS_18TensorIteratorBaseEENKUlvE0_clEvENKUlvE1_clEvEUlN3c104HalfEE_St5arrayIPcLm2EEEEviT0_T1_.num_named_barrier, max(0, .L_ZN2at6native25elementwise_kernel_helperILb0EZZZNS0_15sin_kernel_cudaERNS_18TensorIteratorBaseEENKUlvE0_clEvENKUlvE1_clEvEUlN3c104HalfEE_NS0_6memory8policies10vectorizedILi8ESt5arrayIPcLm2EELi8EEEEEvT0_T1_.num_named_barrier, .L_ZN2at6native25elementwise_kernel_helperILb0EZZZNS0_15sin_kernel_cudaERNS_18TensorIteratorBaseEENKUlvE0_clEvENKUlvE1_clEvEUlN3c104HalfEE_NS0_6memory8policies11unroll_baseILi256ESt5arrayIPcLm2EE23TrivialOffsetCalculatorILi1EjESG_NS9_15LoadWithoutCastENS9_16StoreWithoutCastELi8ELi1EEEEEvT0_T1_.num_named_barrier)
	.set _ZN2at6native29vectorized_elementwise_kernelILi8EZZZNS0_15sin_kernel_cudaERNS_18TensorIteratorBaseEENKUlvE0_clEvENKUlvE1_clEvEUlN3c104HalfEE_St5arrayIPcLm2EEEEviT0_T1_.private_seg_size, 0+max(.L_ZN2at6native25elementwise_kernel_helperILb0EZZZNS0_15sin_kernel_cudaERNS_18TensorIteratorBaseEENKUlvE0_clEvENKUlvE1_clEvEUlN3c104HalfEE_NS0_6memory8policies10vectorizedILi8ESt5arrayIPcLm2EELi8EEEEEvT0_T1_.private_seg_size, .L_ZN2at6native25elementwise_kernel_helperILb0EZZZNS0_15sin_kernel_cudaERNS_18TensorIteratorBaseEENKUlvE0_clEvENKUlvE1_clEvEUlN3c104HalfEE_NS0_6memory8policies11unroll_baseILi256ESt5arrayIPcLm2EE23TrivialOffsetCalculatorILi1EjESG_NS9_15LoadWithoutCastENS9_16StoreWithoutCastELi8ELi1EEEEEvT0_T1_.private_seg_size)
	.set _ZN2at6native29vectorized_elementwise_kernelILi8EZZZNS0_15sin_kernel_cudaERNS_18TensorIteratorBaseEENKUlvE0_clEvENKUlvE1_clEvEUlN3c104HalfEE_St5arrayIPcLm2EEEEviT0_T1_.uses_vcc, or(1, .L_ZN2at6native25elementwise_kernel_helperILb0EZZZNS0_15sin_kernel_cudaERNS_18TensorIteratorBaseEENKUlvE0_clEvENKUlvE1_clEvEUlN3c104HalfEE_NS0_6memory8policies10vectorizedILi8ESt5arrayIPcLm2EELi8EEEEEvT0_T1_.uses_vcc, .L_ZN2at6native25elementwise_kernel_helperILb0EZZZNS0_15sin_kernel_cudaERNS_18TensorIteratorBaseEENKUlvE0_clEvENKUlvE1_clEvEUlN3c104HalfEE_NS0_6memory8policies11unroll_baseILi256ESt5arrayIPcLm2EE23TrivialOffsetCalculatorILi1EjESG_NS9_15LoadWithoutCastENS9_16StoreWithoutCastELi8ELi1EEEEEvT0_T1_.uses_vcc)
	.set _ZN2at6native29vectorized_elementwise_kernelILi8EZZZNS0_15sin_kernel_cudaERNS_18TensorIteratorBaseEENKUlvE0_clEvENKUlvE1_clEvEUlN3c104HalfEE_St5arrayIPcLm2EEEEviT0_T1_.uses_flat_scratch, or(0, .L_ZN2at6native25elementwise_kernel_helperILb0EZZZNS0_15sin_kernel_cudaERNS_18TensorIteratorBaseEENKUlvE0_clEvENKUlvE1_clEvEUlN3c104HalfEE_NS0_6memory8policies10vectorizedILi8ESt5arrayIPcLm2EELi8EEEEEvT0_T1_.uses_flat_scratch, .L_ZN2at6native25elementwise_kernel_helperILb0EZZZNS0_15sin_kernel_cudaERNS_18TensorIteratorBaseEENKUlvE0_clEvENKUlvE1_clEvEUlN3c104HalfEE_NS0_6memory8policies11unroll_baseILi256ESt5arrayIPcLm2EE23TrivialOffsetCalculatorILi1EjESG_NS9_15LoadWithoutCastENS9_16StoreWithoutCastELi8ELi1EEEEEvT0_T1_.uses_flat_scratch)
	.set _ZN2at6native29vectorized_elementwise_kernelILi8EZZZNS0_15sin_kernel_cudaERNS_18TensorIteratorBaseEENKUlvE0_clEvENKUlvE1_clEvEUlN3c104HalfEE_St5arrayIPcLm2EEEEviT0_T1_.has_dyn_sized_stack, or(0, .L_ZN2at6native25elementwise_kernel_helperILb0EZZZNS0_15sin_kernel_cudaERNS_18TensorIteratorBaseEENKUlvE0_clEvENKUlvE1_clEvEUlN3c104HalfEE_NS0_6memory8policies10vectorizedILi8ESt5arrayIPcLm2EELi8EEEEEvT0_T1_.has_dyn_sized_stack, .L_ZN2at6native25elementwise_kernel_helperILb0EZZZNS0_15sin_kernel_cudaERNS_18TensorIteratorBaseEENKUlvE0_clEvENKUlvE1_clEvEUlN3c104HalfEE_NS0_6memory8policies11unroll_baseILi256ESt5arrayIPcLm2EE23TrivialOffsetCalculatorILi1EjESG_NS9_15LoadWithoutCastENS9_16StoreWithoutCastELi8ELi1EEEEEvT0_T1_.has_dyn_sized_stack)
	.set _ZN2at6native29vectorized_elementwise_kernelILi8EZZZNS0_15sin_kernel_cudaERNS_18TensorIteratorBaseEENKUlvE0_clEvENKUlvE1_clEvEUlN3c104HalfEE_St5arrayIPcLm2EEEEviT0_T1_.has_recursion, or(0, .L_ZN2at6native25elementwise_kernel_helperILb0EZZZNS0_15sin_kernel_cudaERNS_18TensorIteratorBaseEENKUlvE0_clEvENKUlvE1_clEvEUlN3c104HalfEE_NS0_6memory8policies10vectorizedILi8ESt5arrayIPcLm2EELi8EEEEEvT0_T1_.has_recursion, .L_ZN2at6native25elementwise_kernel_helperILb0EZZZNS0_15sin_kernel_cudaERNS_18TensorIteratorBaseEENKUlvE0_clEvENKUlvE1_clEvEUlN3c104HalfEE_NS0_6memory8policies11unroll_baseILi256ESt5arrayIPcLm2EE23TrivialOffsetCalculatorILi1EjESG_NS9_15LoadWithoutCastENS9_16StoreWithoutCastELi8ELi1EEEEEvT0_T1_.has_recursion)
	.set _ZN2at6native29vectorized_elementwise_kernelILi8EZZZNS0_15sin_kernel_cudaERNS_18TensorIteratorBaseEENKUlvE0_clEvENKUlvE1_clEvEUlN3c104HalfEE_St5arrayIPcLm2EEEEviT0_T1_.has_indirect_call, or(0, .L_ZN2at6native25elementwise_kernel_helperILb0EZZZNS0_15sin_kernel_cudaERNS_18TensorIteratorBaseEENKUlvE0_clEvENKUlvE1_clEvEUlN3c104HalfEE_NS0_6memory8policies10vectorizedILi8ESt5arrayIPcLm2EELi8EEEEEvT0_T1_.has_indirect_call, .L_ZN2at6native25elementwise_kernel_helperILb0EZZZNS0_15sin_kernel_cudaERNS_18TensorIteratorBaseEENKUlvE0_clEvENKUlvE1_clEvEUlN3c104HalfEE_NS0_6memory8policies11unroll_baseILi256ESt5arrayIPcLm2EE23TrivialOffsetCalculatorILi1EjESG_NS9_15LoadWithoutCastENS9_16StoreWithoutCastELi8ELi1EEEEEvT0_T1_.has_indirect_call)
	.section	.AMDGPU.csdata,"",@progbits
; Kernel info:
; codeLenInByte = 212
; TotalNumSgprs: 35
; NumVgprs: 82
; ScratchSize: 0
; MemoryBound: 0
; FloatMode: 240
; IeeeMode: 1
; LDSByteSize: 0 bytes/workgroup (compile time only)
; SGPRBlocks: 0
; VGPRBlocks: 5
; NumSGPRsForWavesPerEU: 35
; NumVGPRsForWavesPerEU: 82
; NamedBarCnt: 0
; Occupancy: 10
; WaveLimiterHint : 0
; COMPUTE_PGM_RSRC2:SCRATCH_EN: 0
; COMPUTE_PGM_RSRC2:USER_SGPR: 2
; COMPUTE_PGM_RSRC2:TRAP_HANDLER: 0
; COMPUTE_PGM_RSRC2:TGID_X_EN: 1
; COMPUTE_PGM_RSRC2:TGID_Y_EN: 0
; COMPUTE_PGM_RSRC2:TGID_Z_EN: 0
; COMPUTE_PGM_RSRC2:TIDIG_COMP_CNT: 0
	.section	.text._ZN2at6native29vectorized_elementwise_kernelILi4EZZZNS0_15sin_kernel_cudaERNS_18TensorIteratorBaseEENKUlvE0_clEvENKUlvE1_clEvEUlN3c104HalfEE_St5arrayIPcLm2EEEEviT0_T1_,"axG",@progbits,_ZN2at6native29vectorized_elementwise_kernelILi4EZZZNS0_15sin_kernel_cudaERNS_18TensorIteratorBaseEENKUlvE0_clEvENKUlvE1_clEvEUlN3c104HalfEE_St5arrayIPcLm2EEEEviT0_T1_,comdat
	.globl	_ZN2at6native29vectorized_elementwise_kernelILi4EZZZNS0_15sin_kernel_cudaERNS_18TensorIteratorBaseEENKUlvE0_clEvENKUlvE1_clEvEUlN3c104HalfEE_St5arrayIPcLm2EEEEviT0_T1_ ; -- Begin function _ZN2at6native29vectorized_elementwise_kernelILi4EZZZNS0_15sin_kernel_cudaERNS_18TensorIteratorBaseEENKUlvE0_clEvENKUlvE1_clEvEUlN3c104HalfEE_St5arrayIPcLm2EEEEviT0_T1_
	.p2align	8
	.type	_ZN2at6native29vectorized_elementwise_kernelILi4EZZZNS0_15sin_kernel_cudaERNS_18TensorIteratorBaseEENKUlvE0_clEvENKUlvE1_clEvEUlN3c104HalfEE_St5arrayIPcLm2EEEEviT0_T1_,@function
_ZN2at6native29vectorized_elementwise_kernelILi4EZZZNS0_15sin_kernel_cudaERNS_18TensorIteratorBaseEENKUlvE0_clEvENKUlvE1_clEvEUlN3c104HalfEE_St5arrayIPcLm2EEEEviT0_T1_: ; @_ZN2at6native29vectorized_elementwise_kernelILi4EZZZNS0_15sin_kernel_cudaERNS_18TensorIteratorBaseEENKUlvE0_clEvENKUlvE1_clEvEUlN3c104HalfEE_St5arrayIPcLm2EEEEviT0_T1_
; %bb.0:
	s_clause 0x1
	s_load_b32 s2, s[0:1], 0x0
	s_load_b128 s[4:7], s[0:1], 0x8
	s_wait_xcnt 0x0
	s_bfe_u32 s0, ttmp6, 0x4000c
	s_and_b32 s1, ttmp6, 15
	s_add_co_i32 s0, s0, 1
	s_getreg_b32 s3, hwreg(HW_REG_IB_STS2, 6, 4)
	s_mul_i32 s0, ttmp9, s0
	s_mov_b32 s32, 0
	s_add_co_i32 s1, s1, s0
	s_cmp_eq_u32 s3, 0
	s_cselect_b32 s0, ttmp9, s1
	s_mov_b32 s1, -1
	s_lshl_b32 s0, s0, 11
	s_wait_kmcnt 0x0
	s_sub_co_i32 s8, s2, s0
	s_delay_alu instid0(SALU_CYCLE_1)
	s_cmp_gt_i32 s8, 0x7ff
	s_cbranch_scc1 .LBB20_3
; %bb.1:
	s_and_b32 vcc_lo, exec_lo, s1
	s_cbranch_vccnz .LBB20_36
.LBB20_2:
	s_sendmsg sendmsg(MSG_DEALLOC_VGPRS)
	s_endpgm
.LBB20_3:
	s_ashr_i32 s1, s0, 31
	v_mov_b32_e32 v3, 0
	s_lshl_b64 s[2:3], s[0:1], 1
                                        ; implicit-def: $vgpr13
                                        ; implicit-def: $vgpr2
	s_delay_alu instid0(SALU_CYCLE_1)
	s_add_nc_u64 s[0:1], s[6:7], s[2:3]
	s_clause 0x1
	global_load_b64 v[6:7], v0, s[0:1] scale_offset
	global_load_b64 v[4:5], v0, s[0:1] offset:2048 scale_offset
	s_wait_xcnt 0x0
	s_mov_b32 s1, exec_lo
	s_wait_loadcnt 0x1
	v_cvt_f32_f16_e32 v1, v6
	s_delay_alu instid0(VALU_DEP_1)
	v_and_b32_e32 v10, 0x7fffffff, v1
	v_cmpx_ngt_f32_e64 0x48000000, |v1|
	s_xor_b32 s9, exec_lo, s1
	s_cbranch_execz .LBB20_5
; %bb.4:
	s_mov_b32 s0, 0x7fffff
	v_mov_b32_e32 v21, v3
	v_and_or_b32 v2, v10, s0, 0x800000
	s_mov_b64 s[0:1], 0xfe5163ab
	s_delay_alu instid0(VALU_DEP_1) | instid1(SALU_CYCLE_1)
	v_mul_u64_e32 v[8:9], s[0:1], v[2:3]
	s_delay_alu instid0(VALU_DEP_1) | instskip(SKIP_1) | instid1(VALU_DEP_2)
	v_dual_mov_b32 v13, v3 :: v_dual_mov_b32 v12, v9
	v_lshrrev_b32_e32 v9, 23, v10
	v_mad_nc_u64_u32 v[12:13], 0x3c439041, v2, v[12:13]
	v_mov_b32_e32 v15, v3
	s_delay_alu instid0(VALU_DEP_3) | instskip(NEXT) | instid1(VALU_DEP_1)
	v_add_nc_u32_e32 v9, 0xffffff88, v9
	v_cmp_lt_u32_e32 vcc_lo, 63, v9
	s_delay_alu instid0(VALU_DEP_4) | instskip(SKIP_1) | instid1(VALU_DEP_2)
	v_mov_b32_e32 v14, v13
	v_cndmask_b32_e64 v11, 0, 0xffffffc0, vcc_lo
	v_mad_nc_u64_u32 v[14:15], 0xdb629599, v2, v[14:15]
	s_delay_alu instid0(VALU_DEP_1) | instskip(NEXT) | instid1(VALU_DEP_2)
	v_dual_mov_b32 v17, v3 :: v_dual_mov_b32 v16, v15
	v_cndmask_b32_e32 v8, v14, v8, vcc_lo
	s_delay_alu instid0(VALU_DEP_2) | instskip(NEXT) | instid1(VALU_DEP_1)
	v_mad_nc_u64_u32 v[16:17], 0xf534ddc0, v2, v[16:17]
	v_dual_mov_b32 v19, v3 :: v_dual_mov_b32 v18, v17
	s_delay_alu instid0(VALU_DEP_1) | instskip(NEXT) | instid1(VALU_DEP_1)
	v_mad_nc_u64_u32 v[18:19], 0xfc2757d1, v2, v[18:19]
	v_dual_mov_b32 v20, v19 :: v_dual_cndmask_b32 v15, v18, v14
	s_delay_alu instid0(VALU_DEP_1) | instskip(SKIP_1) | instid1(VALU_DEP_2)
	v_mad_nc_u64_u32 v[20:21], 0x4e441529, v2, v[20:21]
	v_add_nc_u32_e32 v9, v11, v9
	v_dual_mov_b32 v23, v3 :: v_dual_cndmask_b32 v13, v20, v16, vcc_lo
	s_delay_alu instid0(VALU_DEP_3) | instskip(NEXT) | instid1(VALU_DEP_3)
	v_mov_b32_e32 v22, v21
	v_cmp_lt_u32_e64 s0, 31, v9
	s_delay_alu instid0(VALU_DEP_2) | instskip(NEXT) | instid1(VALU_DEP_2)
	v_mad_nc_u64_u32 v[2:3], 0xa2f9836e, v2, v[22:23]
	v_cndmask_b32_e64 v11, 0, 0xffffffe0, s0
	s_delay_alu instid0(VALU_DEP_1) | instskip(NEXT) | instid1(VALU_DEP_1)
	v_dual_cndmask_b32 v2, v2, v18 :: v_dual_add_nc_u32 v9, v11, v9
	v_cmp_lt_u32_e64 s1, 31, v9
	s_delay_alu instid0(VALU_DEP_4) | instskip(NEXT) | instid1(VALU_DEP_2)
	v_cndmask_b32_e32 v3, v3, v20, vcc_lo
	v_cndmask_b32_e64 v11, 0, 0xffffffe0, s1
	s_delay_alu instid0(VALU_DEP_1) | instskip(NEXT) | instid1(VALU_DEP_3)
	v_dual_add_nc_u32 v9, v11, v9 :: v_dual_cndmask_b32 v11, v16, v12, vcc_lo
	v_dual_cndmask_b32 v12, v2, v13, s0 :: v_dual_cndmask_b32 v2, v3, v2, s0
	s_delay_alu instid0(VALU_DEP_2) | instskip(NEXT) | instid1(VALU_DEP_3)
	v_dual_cndmask_b32 v3, v13, v15, s0 :: v_dual_sub_nc_u32 v13, 32, v9
	v_cndmask_b32_e64 v15, v15, v11, s0
	v_cmp_eq_u32_e32 vcc_lo, 0, v9
	s_delay_alu instid0(VALU_DEP_3) | instskip(SKIP_1) | instid1(VALU_DEP_2)
	v_dual_cndmask_b32 v2, v2, v12, s1 :: v_dual_cndmask_b32 v12, v12, v3, s1
	v_cndmask_b32_e64 v8, v11, v8, s0
	v_alignbit_b32 v16, v2, v12, v13
	s_delay_alu instid0(VALU_DEP_1) | instskip(NEXT) | instid1(VALU_DEP_1)
	v_dual_cndmask_b32 v3, v3, v15, s1 :: v_dual_cndmask_b32 v2, v16, v2, vcc_lo
	v_alignbit_b32 v14, v12, v3, v13
	s_delay_alu instid0(VALU_DEP_2) | instskip(NEXT) | instid1(VALU_DEP_1)
	v_bfe_u32 v11, v2, 29, 1
	v_dual_cndmask_b32 v9, v14, v12 :: v_dual_sub_nc_u32 v14, 0, v11
	v_cndmask_b32_e64 v8, v15, v8, s1
	s_delay_alu instid0(VALU_DEP_2) | instskip(NEXT) | instid1(VALU_DEP_2)
	v_alignbit_b32 v12, v2, v9, 30
	v_alignbit_b32 v13, v3, v8, v13
	s_delay_alu instid0(VALU_DEP_1) | instskip(NEXT) | instid1(VALU_DEP_1)
	v_dual_cndmask_b32 v3, v13, v3, vcc_lo :: v_dual_bitop2_b32 v12, v12, v14 bitop3:0x14
	v_clz_i32_u32_e32 v13, v12
	s_delay_alu instid0(VALU_DEP_2) | instskip(NEXT) | instid1(VALU_DEP_2)
	v_alignbit_b32 v9, v9, v3, 30
	v_min_u32_e32 v13, 32, v13
	v_alignbit_b32 v3, v3, v8, 30
	s_delay_alu instid0(VALU_DEP_2) | instskip(NEXT) | instid1(VALU_DEP_2)
	v_dual_sub_nc_u32 v9, 31, v13 :: v_dual_bitop2_b32 v8, v9, v14 bitop3:0x14
	v_xor_b32_e32 v3, v3, v14
	v_dual_lshrrev_b32 v14, 29, v2 :: v_dual_lshlrev_b32 v15, 23, v13
	s_delay_alu instid0(VALU_DEP_3) | instskip(NEXT) | instid1(VALU_DEP_3)
	v_alignbit_b32 v12, v12, v8, v9
	v_alignbit_b32 v3, v8, v3, v9
	s_delay_alu instid0(VALU_DEP_3) | instskip(NEXT) | instid1(VALU_DEP_2)
	v_lshlrev_b32_e32 v8, 31, v14
	v_alignbit_b32 v9, v12, v3, 9
	s_delay_alu instid0(VALU_DEP_2) | instskip(SKIP_2) | instid1(VALU_DEP_4)
	v_or_b32_e32 v14, 0.5, v8
	v_lshrrev_b32_e32 v12, 9, v12
	v_or_b32_e32 v8, 0x33000000, v8
	v_clz_i32_u32_e32 v16, v9
	s_delay_alu instid0(VALU_DEP_4) | instskip(NEXT) | instid1(VALU_DEP_2)
	v_sub_nc_u32_e32 v14, v14, v15
	v_min_u32_e32 v15, 32, v16
	s_delay_alu instid0(VALU_DEP_2) | instskip(NEXT) | instid1(VALU_DEP_2)
	v_or_b32_e32 v12, v12, v14
	v_not_b32_e32 v14, v15
	v_add_lshl_u32 v13, v15, v13, 23
	s_delay_alu instid0(VALU_DEP_2) | instskip(NEXT) | instid1(VALU_DEP_1)
	v_alignbit_b32 v3, v9, v3, v14
	v_dual_sub_nc_u32 v8, v8, v13 :: v_dual_lshrrev_b32 v3, 9, v3
	s_delay_alu instid0(VALU_DEP_1) | instskip(SKIP_1) | instid1(VALU_DEP_1)
	v_or_b32_e32 v3, v8, v3
	v_mul_f32_e32 v16, 0x3fc90fda, v12
	v_fma_f32 v9, 0x3fc90fda, v12, -v16
	s_delay_alu instid0(VALU_DEP_1) | instskip(NEXT) | instid1(VALU_DEP_1)
	v_fmamk_f32 v9, v12, 0x33a22168, v9
	v_fmac_f32_e32 v9, 0x3fc90fda, v3
	s_delay_alu instid0(VALU_DEP_1) | instskip(NEXT) | instid1(VALU_DEP_1)
	v_dual_add_f32 v2, v16, v9 :: v_dual_lshrrev_b32 v3, 30, v2
	v_add_nc_u32_e32 v13, v11, v3
.LBB20_5:
	s_and_not1_saveexec_b32 s0, s9
; %bb.6:
	v_mul_f32_e64 v2, 0x3f22f983, |v1|
	s_delay_alu instid0(VALU_DEP_1) | instskip(NEXT) | instid1(VALU_DEP_1)
	v_rndne_f32_e32 v3, v2
	v_fma_f32 v2, 0xbfc90fda, v3, |v1|
	v_cvt_i32_f32_e32 v13, v3
	s_delay_alu instid0(VALU_DEP_2) | instskip(NEXT) | instid1(VALU_DEP_1)
	v_fmamk_f32 v2, v3, 0xb3a22168, v2
	v_fmamk_f32 v2, v3, 0xa7c234c4, v2
; %bb.7:
	s_or_b32 exec_lo, exec_lo, s0
	v_lshrrev_b32_e32 v3, 16, v6
                                        ; implicit-def: $vgpr15
	s_mov_b32 s1, exec_lo
	s_delay_alu instid0(VALU_DEP_1) | instskip(NEXT) | instid1(VALU_DEP_1)
	v_cvt_f32_f16_e32 v11, v3
	v_and_b32_e32 v12, 0x7fffffff, v11
	v_cmpx_ngt_f32_e64 0x48000000, |v11|
	s_xor_b32 s9, exec_lo, s1
	s_cbranch_execz .LBB20_9
; %bb.8:
	s_mov_b32 s0, 0x7fffff
	v_mov_b32_e32 v9, 0
	v_and_or_b32 v8, v12, s0, 0x800000
	s_mov_b64 s[0:1], 0xfe5163ab
	v_lshrrev_b32_e32 v3, 23, v12
	s_delay_alu instid0(VALU_DEP_2) | instskip(NEXT) | instid1(VALU_DEP_1)
	v_mul_u64_e32 v[14:15], s[0:1], v[8:9]
	v_dual_mov_b32 v16, v15 :: v_dual_mov_b32 v17, v9
	v_dual_mov_b32 v19, v9 :: v_dual_mov_b32 v21, v9
	;; [unrolled: 1-line block ×3, first 2 shown]
	s_delay_alu instid0(VALU_DEP_3) | instskip(NEXT) | instid1(VALU_DEP_1)
	v_mad_nc_u64_u32 v[16:17], 0x3c439041, v8, v[16:17]
	v_mov_b32_e32 v18, v17
	s_delay_alu instid0(VALU_DEP_1) | instskip(NEXT) | instid1(VALU_DEP_1)
	v_mad_nc_u64_u32 v[18:19], 0xdb629599, v8, v[18:19]
	v_mov_b32_e32 v20, v19
	s_delay_alu instid0(VALU_DEP_1) | instskip(NEXT) | instid1(VALU_DEP_1)
	;; [unrolled: 3-line block ×3, first 2 shown]
	v_mad_nc_u64_u32 v[22:23], 0xfc2757d1, v8, v[22:23]
	v_dual_mov_b32 v25, v9 :: v_dual_mov_b32 v24, v23
	s_delay_alu instid0(VALU_DEP_1) | instskip(NEXT) | instid1(VALU_DEP_1)
	v_mad_nc_u64_u32 v[24:25], 0x4e441529, v8, v[24:25]
	v_dual_mov_b32 v26, v25 :: v_dual_add_nc_u32 v3, 0xffffff88, v3
	s_delay_alu instid0(VALU_DEP_1) | instskip(NEXT) | instid1(VALU_DEP_2)
	v_cmp_lt_u32_e32 vcc_lo, 63, v3
	v_mad_nc_u64_u32 v[8:9], 0xa2f9836e, v8, v[26:27]
	v_cndmask_b32_e64 v6, 0, 0xffffffc0, vcc_lo
	v_dual_cndmask_b32 v17, v22, v18, vcc_lo :: v_dual_cndmask_b32 v15, v24, v20, vcc_lo
	v_cndmask_b32_e32 v14, v18, v14, vcc_lo
	s_delay_alu instid0(VALU_DEP_3) | instskip(NEXT) | instid1(VALU_DEP_1)
	v_add_nc_u32_e32 v3, v6, v3
	v_cmp_lt_u32_e64 s0, 31, v3
	v_dual_cndmask_b32 v8, v8, v22 :: v_dual_cndmask_b32 v9, v9, v24
	s_delay_alu instid0(VALU_DEP_2) | instskip(NEXT) | instid1(VALU_DEP_1)
	v_cndmask_b32_e64 v6, 0, 0xffffffe0, s0
	v_add_nc_u32_e32 v3, v6, v3
	s_delay_alu instid0(VALU_DEP_1) | instskip(NEXT) | instid1(VALU_DEP_1)
	v_cmp_lt_u32_e64 s1, 31, v3
	v_cndmask_b32_e64 v6, 0, 0xffffffe0, s1
	s_delay_alu instid0(VALU_DEP_1) | instskip(SKIP_1) | instid1(VALU_DEP_2)
	v_dual_cndmask_b32 v6, v20, v16 :: v_dual_add_nc_u32 v3, v6, v3
	v_dual_cndmask_b32 v16, v8, v15, s0 :: v_dual_cndmask_b32 v8, v9, v8, s0
	v_dual_cndmask_b32 v9, v15, v17, s0 :: v_dual_sub_nc_u32 v15, 32, v3
	s_delay_alu instid0(VALU_DEP_3) | instskip(SKIP_1) | instid1(VALU_DEP_4)
	v_cndmask_b32_e64 v17, v17, v6, s0
	v_cmp_eq_u32_e32 vcc_lo, 0, v3
	v_cndmask_b32_e64 v8, v8, v16, s1
	s_delay_alu instid0(VALU_DEP_4) | instskip(NEXT) | instid1(VALU_DEP_4)
	v_dual_cndmask_b32 v16, v16, v9, s1 :: v_dual_cndmask_b32 v6, v6, v14, s0
	v_cndmask_b32_e64 v9, v9, v17, s1
	s_delay_alu instid0(VALU_DEP_2) | instskip(NEXT) | instid1(VALU_DEP_3)
	v_alignbit_b32 v19, v8, v16, v15
	v_cndmask_b32_e64 v6, v17, v6, s1
	s_delay_alu instid0(VALU_DEP_3) | instskip(NEXT) | instid1(VALU_DEP_3)
	v_alignbit_b32 v18, v16, v9, v15
	v_cndmask_b32_e32 v3, v19, v8, vcc_lo
	s_delay_alu instid0(VALU_DEP_3) | instskip(NEXT) | instid1(VALU_DEP_3)
	v_alignbit_b32 v15, v9, v6, v15
	v_cndmask_b32_e32 v8, v18, v16, vcc_lo
	s_delay_alu instid0(VALU_DEP_3) | instskip(NEXT) | instid1(VALU_DEP_3)
	v_bfe_u32 v14, v3, 29, 1
	v_cndmask_b32_e32 v9, v15, v9, vcc_lo
	s_delay_alu instid0(VALU_DEP_3) | instskip(NEXT) | instid1(VALU_DEP_3)
	v_alignbit_b32 v16, v3, v8, 30
	v_sub_nc_u32_e32 v17, 0, v14
	s_delay_alu instid0(VALU_DEP_3) | instskip(SKIP_1) | instid1(VALU_DEP_3)
	v_alignbit_b32 v8, v8, v9, 30
	v_alignbit_b32 v6, v9, v6, 30
	v_xor_b32_e32 v16, v16, v17
	s_delay_alu instid0(VALU_DEP_3) | instskip(NEXT) | instid1(VALU_DEP_3)
	v_xor_b32_e32 v8, v8, v17
	v_dual_lshrrev_b32 v17, 29, v3 :: v_dual_bitop2_b32 v6, v6, v17 bitop3:0x14
	s_delay_alu instid0(VALU_DEP_3) | instskip(NEXT) | instid1(VALU_DEP_1)
	v_clz_i32_u32_e32 v15, v16
	v_min_u32_e32 v15, 32, v15
	s_delay_alu instid0(VALU_DEP_1) | instskip(NEXT) | instid1(VALU_DEP_1)
	v_dual_sub_nc_u32 v9, 31, v15 :: v_dual_lshlrev_b32 v18, 23, v15
	v_alignbit_b32 v16, v16, v8, v9
	v_alignbit_b32 v6, v8, v6, v9
	v_lshlrev_b32_e32 v8, 31, v17
	s_delay_alu instid0(VALU_DEP_2) | instskip(NEXT) | instid1(VALU_DEP_2)
	v_alignbit_b32 v9, v16, v6, 9
	v_or_b32_e32 v17, 0.5, v8
	v_lshrrev_b32_e32 v16, 9, v16
	v_or_b32_e32 v8, 0x33000000, v8
	s_delay_alu instid0(VALU_DEP_4) | instskip(NEXT) | instid1(VALU_DEP_4)
	v_clz_i32_u32_e32 v19, v9
	v_sub_nc_u32_e32 v17, v17, v18
	s_delay_alu instid0(VALU_DEP_2) | instskip(NEXT) | instid1(VALU_DEP_2)
	v_min_u32_e32 v18, 32, v19
	v_or_b32_e32 v16, v16, v17
	s_delay_alu instid0(VALU_DEP_2) | instskip(SKIP_1) | instid1(VALU_DEP_2)
	v_not_b32_e32 v17, v18
	v_add_lshl_u32 v15, v18, v15, 23
	v_alignbit_b32 v6, v9, v6, v17
	s_delay_alu instid0(VALU_DEP_1) | instskip(SKIP_1) | instid1(VALU_DEP_2)
	v_dual_sub_nc_u32 v8, v8, v15 :: v_dual_lshrrev_b32 v6, 9, v6
	v_mul_f32_e32 v19, 0x3fc90fda, v16
	v_or_b32_e32 v6, v8, v6
	s_delay_alu instid0(VALU_DEP_2) | instskip(NEXT) | instid1(VALU_DEP_1)
	v_fma_f32 v9, 0x3fc90fda, v16, -v19
	v_fmamk_f32 v9, v16, 0x33a22168, v9
	s_delay_alu instid0(VALU_DEP_1) | instskip(NEXT) | instid1(VALU_DEP_1)
	v_dual_fmac_f32 v9, 0x3fc90fda, v6 :: v_dual_lshrrev_b32 v6, 30, v3
	v_dual_add_f32 v3, v19, v9 :: v_dual_add_nc_u32 v15, v14, v6
.LBB20_9:
	s_and_not1_saveexec_b32 s0, s9
; %bb.10:
	v_mul_f32_e64 v3, 0x3f22f983, |v11|
	s_delay_alu instid0(VALU_DEP_1) | instskip(NEXT) | instid1(VALU_DEP_1)
	v_rndne_f32_e32 v6, v3
	v_fma_f32 v3, 0xbfc90fda, v6, |v11|
	v_cvt_i32_f32_e32 v15, v6
	s_delay_alu instid0(VALU_DEP_2) | instskip(NEXT) | instid1(VALU_DEP_1)
	v_fmamk_f32 v3, v6, 0xb3a22168, v3
	v_fmamk_f32 v3, v6, 0xa7c234c4, v3
; %bb.11:
	s_or_b32 exec_lo, exec_lo, s0
	v_cvt_f32_f16_e32 v14, v7
                                        ; implicit-def: $vgpr18
                                        ; implicit-def: $vgpr6
	s_mov_b32 s1, exec_lo
	s_delay_alu instid0(VALU_DEP_1)
	v_and_b32_e32 v16, 0x7fffffff, v14
	v_cmpx_ngt_f32_e64 0x48000000, |v14|
	s_xor_b32 s9, exec_lo, s1
	s_cbranch_execz .LBB20_13
; %bb.12:
	s_mov_b32 s0, 0x7fffff
	v_mov_b32_e32 v9, 0
	v_and_or_b32 v8, v16, s0, 0x800000
	s_mov_b64 s[0:1], 0xfe5163ab
	v_lshrrev_b32_e32 v6, 23, v16
	s_delay_alu instid0(VALU_DEP_2) | instskip(NEXT) | instid1(VALU_DEP_1)
	v_mul_u64_e32 v[18:19], s[0:1], v[8:9]
	v_dual_mov_b32 v20, v19 :: v_dual_mov_b32 v21, v9
	v_dual_mov_b32 v23, v9 :: v_dual_mov_b32 v25, v9
	s_delay_alu instid0(VALU_DEP_4) | instskip(SKIP_1) | instid1(VALU_DEP_4)
	v_dual_mov_b32 v27, v9 :: v_dual_add_nc_u32 v6, 0xffffff88, v6
	v_mov_b32_e32 v31, v9
	v_mad_nc_u64_u32 v[20:21], 0x3c439041, v8, v[20:21]
	s_delay_alu instid0(VALU_DEP_3) | instskip(SKIP_1) | instid1(VALU_DEP_3)
	v_cmp_lt_u32_e32 vcc_lo, 63, v6
	v_cndmask_b32_e64 v17, 0, 0xffffffc0, vcc_lo
	v_mov_b32_e32 v22, v21
	s_delay_alu instid0(VALU_DEP_1) | instskip(NEXT) | instid1(VALU_DEP_1)
	v_mad_nc_u64_u32 v[22:23], 0xdb629599, v8, v[22:23]
	v_dual_mov_b32 v24, v23 :: v_dual_cndmask_b32 v18, v22, v18, vcc_lo
	s_delay_alu instid0(VALU_DEP_1) | instskip(NEXT) | instid1(VALU_DEP_1)
	v_mad_nc_u64_u32 v[24:25], 0xf534ddc0, v8, v[24:25]
	v_mov_b32_e32 v26, v25
	s_delay_alu instid0(VALU_DEP_1) | instskip(NEXT) | instid1(VALU_DEP_1)
	v_mad_nc_u64_u32 v[26:27], 0xfc2757d1, v8, v[26:27]
	v_dual_mov_b32 v29, v9 :: v_dual_mov_b32 v28, v27
	s_delay_alu instid0(VALU_DEP_2) | instskip(NEXT) | instid1(VALU_DEP_2)
	v_cndmask_b32_e32 v21, v26, v22, vcc_lo
	v_mad_nc_u64_u32 v[28:29], 0x4e441529, v8, v[28:29]
	s_delay_alu instid0(VALU_DEP_1) | instskip(NEXT) | instid1(VALU_DEP_1)
	v_dual_cndmask_b32 v19, v28, v24 :: v_dual_add_nc_u32 v6, v17, v6
	v_cmp_lt_u32_e64 s0, 31, v6
	s_delay_alu instid0(VALU_DEP_3) | instskip(NEXT) | instid1(VALU_DEP_2)
	v_mov_b32_e32 v30, v29
	v_cndmask_b32_e64 v17, 0, 0xffffffe0, s0
	s_delay_alu instid0(VALU_DEP_2) | instskip(NEXT) | instid1(VALU_DEP_2)
	v_mad_nc_u64_u32 v[8:9], 0xa2f9836e, v8, v[30:31]
	v_add_nc_u32_e32 v6, v17, v6
	s_delay_alu instid0(VALU_DEP_1) | instskip(NEXT) | instid1(VALU_DEP_3)
	v_cmp_lt_u32_e64 s1, 31, v6
	v_dual_cndmask_b32 v8, v8, v26 :: v_dual_cndmask_b32 v9, v9, v28
	s_delay_alu instid0(VALU_DEP_2) | instskip(NEXT) | instid1(VALU_DEP_1)
	v_cndmask_b32_e64 v17, 0, 0xffffffe0, s1
	v_dual_cndmask_b32 v17, v24, v20 :: v_dual_add_nc_u32 v6, v17, v6
	s_delay_alu instid0(VALU_DEP_3) | instskip(NEXT) | instid1(VALU_DEP_2)
	v_dual_cndmask_b32 v20, v8, v19, s0 :: v_dual_cndmask_b32 v8, v9, v8, s0
	v_dual_cndmask_b32 v9, v19, v21, s0 :: v_dual_sub_nc_u32 v19, 32, v6
	s_delay_alu instid0(VALU_DEP_3) | instskip(SKIP_1) | instid1(VALU_DEP_4)
	v_cndmask_b32_e64 v21, v21, v17, s0
	v_cmp_eq_u32_e32 vcc_lo, 0, v6
	v_cndmask_b32_e64 v8, v8, v20, s1
	s_delay_alu instid0(VALU_DEP_4) | instskip(NEXT) | instid1(VALU_DEP_4)
	v_cndmask_b32_e64 v20, v20, v9, s1
	v_cndmask_b32_e64 v9, v9, v21, s1
	s_delay_alu instid0(VALU_DEP_2) | instskip(NEXT) | instid1(VALU_DEP_2)
	v_alignbit_b32 v23, v8, v20, v19
	v_alignbit_b32 v22, v20, v9, v19
	s_delay_alu instid0(VALU_DEP_2) | instskip(NEXT) | instid1(VALU_DEP_1)
	v_dual_cndmask_b32 v6, v23, v8, vcc_lo :: v_dual_cndmask_b32 v8, v17, v18, s0
	v_bfe_u32 v18, v6, 29, 1
	s_delay_alu instid0(VALU_DEP_3) | instskip(NEXT) | instid1(VALU_DEP_2)
	v_cndmask_b32_e32 v17, v22, v20, vcc_lo
	v_dual_cndmask_b32 v8, v21, v8, s1 :: v_dual_sub_nc_u32 v21, 0, v18
	s_delay_alu instid0(VALU_DEP_2) | instskip(NEXT) | instid1(VALU_DEP_1)
	v_alignbit_b32 v20, v6, v17, 30
	v_xor_b32_e32 v20, v20, v21
	s_delay_alu instid0(VALU_DEP_3) | instskip(NEXT) | instid1(VALU_DEP_1)
	v_alignbit_b32 v19, v9, v8, v19
	v_cndmask_b32_e32 v9, v19, v9, vcc_lo
	s_delay_alu instid0(VALU_DEP_3) | instskip(NEXT) | instid1(VALU_DEP_2)
	v_clz_i32_u32_e32 v19, v20
	v_alignbit_b32 v17, v17, v9, 30
	s_delay_alu instid0(VALU_DEP_2) | instskip(SKIP_1) | instid1(VALU_DEP_2)
	v_min_u32_e32 v19, 32, v19
	v_alignbit_b32 v8, v9, v8, 30
	v_dual_sub_nc_u32 v17, 31, v19 :: v_dual_bitop2_b32 v9, v17, v21 bitop3:0x14
	s_delay_alu instid0(VALU_DEP_2) | instskip(SKIP_1) | instid1(VALU_DEP_3)
	v_dual_lshrrev_b32 v21, 29, v6 :: v_dual_bitop2_b32 v8, v8, v21 bitop3:0x14
	v_lshlrev_b32_e32 v22, 23, v19
	v_alignbit_b32 v20, v20, v9, v17
	s_delay_alu instid0(VALU_DEP_3) | instskip(NEXT) | instid1(VALU_DEP_4)
	v_alignbit_b32 v8, v9, v8, v17
	v_lshlrev_b32_e32 v9, 31, v21
	s_delay_alu instid0(VALU_DEP_2) | instskip(NEXT) | instid1(VALU_DEP_2)
	v_alignbit_b32 v17, v20, v8, 9
	v_dual_lshrrev_b32 v20, 9, v20 :: v_dual_bitop2_b32 v21, 0.5, v9 bitop3:0x54
	v_or_b32_e32 v9, 0x33000000, v9
	s_delay_alu instid0(VALU_DEP_3) | instskip(NEXT) | instid1(VALU_DEP_3)
	v_clz_i32_u32_e32 v23, v17
	v_sub_nc_u32_e32 v21, v21, v22
	s_delay_alu instid0(VALU_DEP_2) | instskip(NEXT) | instid1(VALU_DEP_1)
	v_min_u32_e32 v22, 32, v23
	v_add_lshl_u32 v19, v22, v19, 23
	s_delay_alu instid0(VALU_DEP_3) | instskip(SKIP_1) | instid1(VALU_DEP_3)
	v_or_b32_e32 v20, v20, v21
	v_not_b32_e32 v21, v22
	v_sub_nc_u32_e32 v9, v9, v19
	s_delay_alu instid0(VALU_DEP_3) | instskip(NEXT) | instid1(VALU_DEP_3)
	v_mul_f32_e32 v23, 0x3fc90fda, v20
	v_alignbit_b32 v8, v17, v8, v21
	s_delay_alu instid0(VALU_DEP_2) | instskip(NEXT) | instid1(VALU_DEP_1)
	v_fma_f32 v17, 0x3fc90fda, v20, -v23
	v_dual_fmamk_f32 v17, v20, 0x33a22168, v17 :: v_dual_lshrrev_b32 v8, 9, v8
	s_delay_alu instid0(VALU_DEP_1) | instskip(NEXT) | instid1(VALU_DEP_1)
	v_or_b32_e32 v8, v9, v8
	v_dual_fmac_f32 v17, 0x3fc90fda, v8 :: v_dual_lshrrev_b32 v8, 30, v6
	s_delay_alu instid0(VALU_DEP_1)
	v_dual_add_nc_u32 v18, v18, v8 :: v_dual_add_f32 v6, v23, v17
.LBB20_13:
	s_and_not1_saveexec_b32 s0, s9
; %bb.14:
	v_mul_f32_e64 v6, 0x3f22f983, |v14|
	s_delay_alu instid0(VALU_DEP_1) | instskip(NEXT) | instid1(VALU_DEP_1)
	v_rndne_f32_e32 v8, v6
	v_fma_f32 v6, 0xbfc90fda, v8, |v14|
	v_cvt_i32_f32_e32 v18, v8
	s_delay_alu instid0(VALU_DEP_2) | instskip(NEXT) | instid1(VALU_DEP_1)
	v_fmamk_f32 v6, v8, 0xb3a22168, v6
	v_fmamk_f32 v6, v8, 0xa7c234c4, v6
; %bb.15:
	s_or_b32 exec_lo, exec_lo, s0
	v_lshrrev_b32_e32 v7, 16, v7
                                        ; implicit-def: $vgpr22
	s_mov_b32 s1, exec_lo
	s_delay_alu instid0(VALU_DEP_1) | instskip(NEXT) | instid1(VALU_DEP_1)
	v_cvt_f32_f16_e32 v17, v7
	v_and_b32_e32 v19, 0x7fffffff, v17
	v_cmpx_ngt_f32_e64 0x48000000, |v17|
	s_xor_b32 s9, exec_lo, s1
	s_cbranch_execz .LBB20_17
; %bb.16:
	s_mov_b32 s0, 0x7fffff
	v_mov_b32_e32 v9, 0
	v_and_or_b32 v8, v19, s0, 0x800000
	s_mov_b64 s[0:1], 0xfe5163ab
	v_lshrrev_b32_e32 v7, 23, v19
	s_delay_alu instid0(VALU_DEP_2) | instskip(NEXT) | instid1(VALU_DEP_1)
	v_mul_u64_e32 v[20:21], s[0:1], v[8:9]
	v_dual_mov_b32 v22, v21 :: v_dual_mov_b32 v23, v9
	v_dual_mov_b32 v25, v9 :: v_dual_mov_b32 v27, v9
	v_mov_b32_e32 v29, v9
	s_delay_alu instid0(VALU_DEP_3) | instskip(NEXT) | instid1(VALU_DEP_1)
	v_mad_nc_u64_u32 v[22:23], 0x3c439041, v8, v[22:23]
	v_mov_b32_e32 v24, v23
	s_delay_alu instid0(VALU_DEP_1) | instskip(NEXT) | instid1(VALU_DEP_1)
	v_mad_nc_u64_u32 v[24:25], 0xdb629599, v8, v[24:25]
	v_mov_b32_e32 v26, v25
	s_delay_alu instid0(VALU_DEP_1) | instskip(NEXT) | instid1(VALU_DEP_1)
	;; [unrolled: 3-line block ×3, first 2 shown]
	v_mad_nc_u64_u32 v[28:29], 0xfc2757d1, v8, v[28:29]
	v_dual_mov_b32 v31, v9 :: v_dual_mov_b32 v30, v29
	s_delay_alu instid0(VALU_DEP_1) | instskip(NEXT) | instid1(VALU_DEP_1)
	v_mad_nc_u64_u32 v[30:31], 0x4e441529, v8, v[30:31]
	v_dual_mov_b32 v32, v31 :: v_dual_add_nc_u32 v7, 0xffffff88, v7
	s_delay_alu instid0(VALU_DEP_1) | instskip(SKIP_2) | instid1(VALU_DEP_2)
	v_cmp_lt_u32_e32 vcc_lo, 63, v7
	v_mov_b32_e32 v33, v9
	v_cndmask_b32_e64 v21, 0, 0xffffffc0, vcc_lo
	v_mad_nc_u64_u32 v[8:9], 0xa2f9836e, v8, v[32:33]
	v_dual_cndmask_b32 v23, v30, v26, vcc_lo :: v_dual_cndmask_b32 v25, v28, v24, vcc_lo
	s_delay_alu instid0(VALU_DEP_3) | instskip(NEXT) | instid1(VALU_DEP_1)
	v_dual_cndmask_b32 v20, v24, v20 :: v_dual_add_nc_u32 v7, v21, v7
	v_cmp_lt_u32_e64 s0, 31, v7
	s_delay_alu instid0(VALU_DEP_4) | instskip(NEXT) | instid1(VALU_DEP_2)
	v_dual_cndmask_b32 v8, v8, v28 :: v_dual_cndmask_b32 v9, v9, v30
	v_cndmask_b32_e64 v21, 0, 0xffffffe0, s0
	s_delay_alu instid0(VALU_DEP_1) | instskip(NEXT) | instid1(VALU_DEP_1)
	v_add_nc_u32_e32 v7, v21, v7
	v_cmp_lt_u32_e64 s1, 31, v7
	s_delay_alu instid0(VALU_DEP_1) | instskip(NEXT) | instid1(VALU_DEP_1)
	v_cndmask_b32_e64 v21, 0, 0xffffffe0, s1
	v_dual_add_nc_u32 v7, v21, v7 :: v_dual_cndmask_b32 v21, v26, v22, vcc_lo
	v_dual_cndmask_b32 v22, v8, v23, s0 :: v_dual_cndmask_b32 v8, v9, v8, s0
	s_delay_alu instid0(VALU_DEP_2) | instskip(NEXT) | instid1(VALU_DEP_3)
	v_dual_cndmask_b32 v9, v23, v25, s0 :: v_dual_sub_nc_u32 v23, 32, v7
	v_cndmask_b32_e64 v25, v25, v21, s0
	v_cmp_eq_u32_e32 vcc_lo, 0, v7
	s_delay_alu instid0(VALU_DEP_3) | instskip(NEXT) | instid1(VALU_DEP_3)
	v_dual_cndmask_b32 v8, v8, v22, s1 :: v_dual_cndmask_b32 v22, v22, v9, s1
	v_cndmask_b32_e64 v9, v9, v25, s1
	s_delay_alu instid0(VALU_DEP_2) | instskip(NEXT) | instid1(VALU_DEP_2)
	v_alignbit_b32 v26, v8, v22, v23
	v_alignbit_b32 v24, v22, v9, v23
	s_delay_alu instid0(VALU_DEP_2) | instskip(NEXT) | instid1(VALU_DEP_2)
	v_cndmask_b32_e32 v7, v26, v8, vcc_lo
	v_dual_cndmask_b32 v8, v21, v20, s0 :: v_dual_cndmask_b32 v20, v24, v22, vcc_lo
	s_delay_alu instid0(VALU_DEP_2) | instskip(NEXT) | instid1(VALU_DEP_2)
	v_bfe_u32 v21, v7, 29, 1
	v_alignbit_b32 v22, v7, v20, 30
	s_delay_alu instid0(VALU_DEP_2) | instskip(NEXT) | instid1(VALU_DEP_1)
	v_dual_sub_nc_u32 v24, 0, v21 :: v_dual_cndmask_b32 v8, v25, v8, s1
	v_xor_b32_e32 v22, v22, v24
	s_delay_alu instid0(VALU_DEP_2) | instskip(NEXT) | instid1(VALU_DEP_1)
	v_alignbit_b32 v23, v9, v8, v23
	v_cndmask_b32_e32 v9, v23, v9, vcc_lo
	s_delay_alu instid0(VALU_DEP_3) | instskip(NEXT) | instid1(VALU_DEP_2)
	v_clz_i32_u32_e32 v23, v22
	v_alignbit_b32 v20, v20, v9, 30
	s_delay_alu instid0(VALU_DEP_2) | instskip(SKIP_1) | instid1(VALU_DEP_2)
	v_min_u32_e32 v23, 32, v23
	v_alignbit_b32 v8, v9, v8, 30
	v_dual_sub_nc_u32 v20, 31, v23 :: v_dual_bitop2_b32 v9, v20, v24 bitop3:0x14
	s_delay_alu instid0(VALU_DEP_2) | instskip(SKIP_1) | instid1(VALU_DEP_3)
	v_dual_lshrrev_b32 v24, 29, v7 :: v_dual_bitop2_b32 v8, v8, v24 bitop3:0x14
	v_lshlrev_b32_e32 v25, 23, v23
	v_alignbit_b32 v22, v22, v9, v20
	s_delay_alu instid0(VALU_DEP_3) | instskip(NEXT) | instid1(VALU_DEP_4)
	v_alignbit_b32 v8, v9, v8, v20
	v_lshlrev_b32_e32 v9, 31, v24
	s_delay_alu instid0(VALU_DEP_2) | instskip(NEXT) | instid1(VALU_DEP_2)
	v_alignbit_b32 v20, v22, v8, 9
	v_dual_lshrrev_b32 v22, 9, v22 :: v_dual_bitop2_b32 v24, 0.5, v9 bitop3:0x54
	v_or_b32_e32 v9, 0x33000000, v9
	s_delay_alu instid0(VALU_DEP_3) | instskip(NEXT) | instid1(VALU_DEP_3)
	v_clz_i32_u32_e32 v26, v20
	v_sub_nc_u32_e32 v24, v24, v25
	s_delay_alu instid0(VALU_DEP_2) | instskip(NEXT) | instid1(VALU_DEP_1)
	v_min_u32_e32 v25, 32, v26
	v_add_lshl_u32 v23, v25, v23, 23
	s_delay_alu instid0(VALU_DEP_3) | instskip(SKIP_1) | instid1(VALU_DEP_2)
	v_or_b32_e32 v22, v22, v24
	v_not_b32_e32 v24, v25
	v_dual_mul_f32 v26, 0x3fc90fda, v22 :: v_dual_sub_nc_u32 v9, v9, v23
	s_delay_alu instid0(VALU_DEP_2) | instskip(NEXT) | instid1(VALU_DEP_2)
	v_alignbit_b32 v8, v20, v8, v24
	v_fma_f32 v20, 0x3fc90fda, v22, -v26
	s_delay_alu instid0(VALU_DEP_2) | instskip(NEXT) | instid1(VALU_DEP_2)
	v_lshrrev_b32_e32 v8, 9, v8
	v_fmamk_f32 v20, v22, 0x33a22168, v20
	s_delay_alu instid0(VALU_DEP_2) | instskip(NEXT) | instid1(VALU_DEP_1)
	v_or_b32_e32 v8, v9, v8
	v_fmac_f32_e32 v20, 0x3fc90fda, v8
	s_delay_alu instid0(VALU_DEP_1) | instskip(NEXT) | instid1(VALU_DEP_1)
	v_dual_add_f32 v7, v26, v20 :: v_dual_lshrrev_b32 v8, 30, v7
	v_add_nc_u32_e32 v22, v21, v8
.LBB20_17:
	s_and_not1_saveexec_b32 s0, s9
; %bb.18:
	v_mul_f32_e64 v7, 0x3f22f983, |v17|
	s_delay_alu instid0(VALU_DEP_1) | instskip(NEXT) | instid1(VALU_DEP_1)
	v_rndne_f32_e32 v8, v7
	v_fma_f32 v7, 0xbfc90fda, v8, |v17|
	v_cvt_i32_f32_e32 v22, v8
	s_delay_alu instid0(VALU_DEP_2) | instskip(NEXT) | instid1(VALU_DEP_1)
	v_fmamk_f32 v7, v8, 0xb3a22168, v7
	v_fmamk_f32 v7, v8, 0xa7c234c4, v7
; %bb.19:
	s_or_b32 exec_lo, exec_lo, s0
	s_wait_loadcnt 0x0
	v_cvt_f32_f16_e32 v20, v4
                                        ; implicit-def: $vgpr25
                                        ; implicit-def: $vgpr8
	s_mov_b32 s1, exec_lo
	s_delay_alu instid0(VALU_DEP_1)
	v_and_b32_e32 v21, 0x7fffffff, v20
	v_cmpx_ngt_f32_e64 0x48000000, |v20|
	s_xor_b32 s9, exec_lo, s1
	s_cbranch_execz .LBB20_21
; %bb.20:
	s_mov_b32 s0, 0x7fffff
	v_mov_b32_e32 v9, 0
	v_and_or_b32 v8, v21, s0, 0x800000
	s_mov_b64 s[0:1], 0xfe5163ab
	v_lshrrev_b32_e32 v23, 23, v21
	s_delay_alu instid0(VALU_DEP_2) | instskip(NEXT) | instid1(VALU_DEP_1)
	v_mul_u64_e32 v[24:25], s[0:1], v[8:9]
	v_dual_mov_b32 v26, v25 :: v_dual_mov_b32 v27, v9
	v_dual_mov_b32 v29, v9 :: v_dual_mov_b32 v31, v9
	v_mov_b32_e32 v33, v9
	s_delay_alu instid0(VALU_DEP_3) | instskip(NEXT) | instid1(VALU_DEP_1)
	v_mad_nc_u64_u32 v[26:27], 0x3c439041, v8, v[26:27]
	v_mov_b32_e32 v28, v27
	s_delay_alu instid0(VALU_DEP_1) | instskip(NEXT) | instid1(VALU_DEP_1)
	v_mad_nc_u64_u32 v[28:29], 0xdb629599, v8, v[28:29]
	v_mov_b32_e32 v30, v29
	s_delay_alu instid0(VALU_DEP_1) | instskip(NEXT) | instid1(VALU_DEP_1)
	;; [unrolled: 3-line block ×3, first 2 shown]
	v_mad_nc_u64_u32 v[32:33], 0xfc2757d1, v8, v[32:33]
	v_dual_mov_b32 v35, v9 :: v_dual_mov_b32 v34, v33
	s_delay_alu instid0(VALU_DEP_1) | instskip(NEXT) | instid1(VALU_DEP_1)
	v_mad_nc_u64_u32 v[34:35], 0x4e441529, v8, v[34:35]
	v_dual_mov_b32 v36, v35 :: v_dual_add_nc_u32 v23, 0xffffff88, v23
	s_delay_alu instid0(VALU_DEP_1) | instskip(SKIP_2) | instid1(VALU_DEP_2)
	v_cmp_lt_u32_e32 vcc_lo, 63, v23
	v_mov_b32_e32 v37, v9
	v_cndmask_b32_e64 v25, 0, 0xffffffc0, vcc_lo
	v_mad_nc_u64_u32 v[8:9], 0xa2f9836e, v8, v[36:37]
	v_dual_cndmask_b32 v27, v34, v30, vcc_lo :: v_dual_cndmask_b32 v29, v32, v28, vcc_lo
	s_delay_alu instid0(VALU_DEP_3) | instskip(NEXT) | instid1(VALU_DEP_1)
	v_dual_cndmask_b32 v24, v28, v24 :: v_dual_add_nc_u32 v23, v25, v23
	v_cmp_lt_u32_e64 s0, 31, v23
	s_delay_alu instid0(VALU_DEP_4) | instskip(NEXT) | instid1(VALU_DEP_2)
	v_dual_cndmask_b32 v8, v8, v32 :: v_dual_cndmask_b32 v9, v9, v34
	v_cndmask_b32_e64 v25, 0, 0xffffffe0, s0
	s_delay_alu instid0(VALU_DEP_1) | instskip(NEXT) | instid1(VALU_DEP_1)
	v_add_nc_u32_e32 v23, v25, v23
	v_cmp_lt_u32_e64 s1, 31, v23
	s_delay_alu instid0(VALU_DEP_1) | instskip(NEXT) | instid1(VALU_DEP_1)
	v_cndmask_b32_e64 v25, 0, 0xffffffe0, s1
	v_dual_add_nc_u32 v23, v25, v23 :: v_dual_cndmask_b32 v25, v30, v26, vcc_lo
	v_dual_cndmask_b32 v26, v8, v27, s0 :: v_dual_cndmask_b32 v8, v9, v8, s0
	s_delay_alu instid0(VALU_DEP_2) | instskip(NEXT) | instid1(VALU_DEP_3)
	v_dual_cndmask_b32 v9, v27, v29, s0 :: v_dual_sub_nc_u32 v27, 32, v23
	v_cndmask_b32_e64 v29, v29, v25, s0
	v_cmp_eq_u32_e32 vcc_lo, 0, v23
	s_delay_alu instid0(VALU_DEP_3) | instskip(SKIP_1) | instid1(VALU_DEP_4)
	v_dual_cndmask_b32 v8, v8, v26, s1 :: v_dual_cndmask_b32 v26, v26, v9, s1
	v_cndmask_b32_e64 v23, v25, v24, s0
	v_cndmask_b32_e64 v9, v9, v29, s1
	s_delay_alu instid0(VALU_DEP_3) | instskip(NEXT) | instid1(VALU_DEP_2)
	v_alignbit_b32 v30, v8, v26, v27
	v_alignbit_b32 v28, v26, v9, v27
	s_delay_alu instid0(VALU_DEP_1) | instskip(NEXT) | instid1(VALU_DEP_1)
	v_dual_cndmask_b32 v8, v30, v8, vcc_lo :: v_dual_cndmask_b32 v24, v28, v26, vcc_lo
	v_bfe_u32 v25, v8, 29, 1
	s_delay_alu instid0(VALU_DEP_2) | instskip(NEXT) | instid1(VALU_DEP_2)
	v_alignbit_b32 v26, v8, v24, 30
	v_dual_sub_nc_u32 v28, 0, v25 :: v_dual_cndmask_b32 v23, v29, v23, s1
	s_delay_alu instid0(VALU_DEP_1) | instskip(NEXT) | instid1(VALU_DEP_2)
	v_xor_b32_e32 v26, v26, v28
	v_alignbit_b32 v27, v9, v23, v27
	s_delay_alu instid0(VALU_DEP_1) | instskip(NEXT) | instid1(VALU_DEP_3)
	v_cndmask_b32_e32 v9, v27, v9, vcc_lo
	v_clz_i32_u32_e32 v27, v26
	s_delay_alu instid0(VALU_DEP_2) | instskip(NEXT) | instid1(VALU_DEP_2)
	v_alignbit_b32 v24, v24, v9, 30
	v_min_u32_e32 v27, 32, v27
	v_alignbit_b32 v9, v9, v23, 30
	s_delay_alu instid0(VALU_DEP_2) | instskip(NEXT) | instid1(VALU_DEP_2)
	v_dual_sub_nc_u32 v24, 31, v27 :: v_dual_bitop2_b32 v23, v24, v28 bitop3:0x14
	v_xor_b32_e32 v9, v9, v28
	v_dual_lshrrev_b32 v28, 29, v8 :: v_dual_lshlrev_b32 v29, 23, v27
	s_delay_alu instid0(VALU_DEP_3) | instskip(NEXT) | instid1(VALU_DEP_3)
	v_alignbit_b32 v26, v26, v23, v24
	v_alignbit_b32 v9, v23, v9, v24
	s_delay_alu instid0(VALU_DEP_3) | instskip(NEXT) | instid1(VALU_DEP_2)
	v_lshlrev_b32_e32 v23, 31, v28
	v_alignbit_b32 v24, v26, v9, 9
	s_delay_alu instid0(VALU_DEP_2) | instskip(NEXT) | instid1(VALU_DEP_2)
	v_dual_lshrrev_b32 v26, 9, v26 :: v_dual_bitop2_b32 v28, 0.5, v23 bitop3:0x54
	v_clz_i32_u32_e32 v30, v24
	s_delay_alu instid0(VALU_DEP_2) | instskip(SKIP_1) | instid1(VALU_DEP_3)
	v_sub_nc_u32_e32 v28, v28, v29
	v_or_b32_e32 v23, 0x33000000, v23
	v_min_u32_e32 v29, 32, v30
	s_delay_alu instid0(VALU_DEP_1) | instskip(NEXT) | instid1(VALU_DEP_4)
	v_add_lshl_u32 v27, v29, v27, 23
	v_or_b32_e32 v26, v26, v28
	v_not_b32_e32 v28, v29
	s_delay_alu instid0(VALU_DEP_3) | instskip(NEXT) | instid1(VALU_DEP_2)
	v_sub_nc_u32_e32 v23, v23, v27
	v_alignbit_b32 v9, v24, v9, v28
	s_delay_alu instid0(VALU_DEP_1) | instskip(NEXT) | instid1(VALU_DEP_1)
	v_dual_mul_f32 v30, 0x3fc90fda, v26 :: v_dual_lshrrev_b32 v9, 9, v9
	v_fma_f32 v24, 0x3fc90fda, v26, -v30
	s_delay_alu instid0(VALU_DEP_2) | instskip(NEXT) | instid1(VALU_DEP_2)
	v_or_b32_e32 v9, v23, v9
	v_fmamk_f32 v24, v26, 0x33a22168, v24
	s_delay_alu instid0(VALU_DEP_1) | instskip(NEXT) | instid1(VALU_DEP_1)
	v_dual_fmac_f32 v24, 0x3fc90fda, v9 :: v_dual_lshrrev_b32 v9, 30, v8
	v_dual_add_f32 v8, v30, v24 :: v_dual_add_nc_u32 v25, v25, v9
.LBB20_21:
	s_and_not1_saveexec_b32 s0, s9
; %bb.22:
	v_mul_f32_e64 v8, 0x3f22f983, |v20|
	s_delay_alu instid0(VALU_DEP_1) | instskip(NEXT) | instid1(VALU_DEP_1)
	v_rndne_f32_e32 v9, v8
	v_fma_f32 v8, 0xbfc90fda, v9, |v20|
	v_cvt_i32_f32_e32 v25, v9
	s_delay_alu instid0(VALU_DEP_2) | instskip(NEXT) | instid1(VALU_DEP_1)
	v_fmamk_f32 v8, v9, 0xb3a22168, v8
	v_fmamk_f32 v8, v9, 0xa7c234c4, v8
; %bb.23:
	s_or_b32 exec_lo, exec_lo, s0
	v_lshrrev_b32_e32 v4, 16, v4
                                        ; implicit-def: $vgpr28
	s_mov_b32 s1, exec_lo
	s_delay_alu instid0(VALU_DEP_1) | instskip(NEXT) | instid1(VALU_DEP_1)
	v_cvt_f32_f16_e32 v23, v4
	v_and_b32_e32 v24, 0x7fffffff, v23
	v_cmpx_ngt_f32_e64 0x48000000, |v23|
	s_xor_b32 s9, exec_lo, s1
	s_cbranch_execz .LBB20_25
; %bb.24:
	s_mov_b32 s0, 0x7fffff
	v_mov_b32_e32 v27, 0
	v_and_or_b32 v26, v24, s0, 0x800000
	s_mov_b64 s[0:1], 0xfe5163ab
	v_lshrrev_b32_e32 v4, 23, v24
	s_delay_alu instid0(VALU_DEP_2) | instskip(NEXT) | instid1(VALU_DEP_1)
	v_mul_u64_e32 v[28:29], s[0:1], v[26:27]
	v_dual_mov_b32 v30, v29 :: v_dual_mov_b32 v31, v27
	v_dual_mov_b32 v33, v27 :: v_dual_mov_b32 v35, v27
	s_delay_alu instid0(VALU_DEP_4) | instskip(SKIP_1) | instid1(VALU_DEP_4)
	v_dual_mov_b32 v37, v27 :: v_dual_add_nc_u32 v4, 0xffffff88, v4
	v_mov_b32_e32 v41, v27
	v_mad_nc_u64_u32 v[30:31], 0x3c439041, v26, v[30:31]
	s_delay_alu instid0(VALU_DEP_3) | instskip(SKIP_1) | instid1(VALU_DEP_3)
	v_cmp_lt_u32_e32 vcc_lo, 63, v4
	v_cndmask_b32_e64 v9, 0, 0xffffffc0, vcc_lo
	v_mov_b32_e32 v32, v31
	s_delay_alu instid0(VALU_DEP_1) | instskip(NEXT) | instid1(VALU_DEP_1)
	v_mad_nc_u64_u32 v[32:33], 0xdb629599, v26, v[32:33]
	v_dual_mov_b32 v34, v33 :: v_dual_cndmask_b32 v28, v32, v28, vcc_lo
	s_delay_alu instid0(VALU_DEP_1) | instskip(NEXT) | instid1(VALU_DEP_1)
	v_mad_nc_u64_u32 v[34:35], 0xf534ddc0, v26, v[34:35]
	v_mov_b32_e32 v36, v35
	s_delay_alu instid0(VALU_DEP_1) | instskip(NEXT) | instid1(VALU_DEP_1)
	v_mad_nc_u64_u32 v[36:37], 0xfc2757d1, v26, v[36:37]
	v_dual_mov_b32 v39, v27 :: v_dual_mov_b32 v38, v37
	s_delay_alu instid0(VALU_DEP_2) | instskip(NEXT) | instid1(VALU_DEP_2)
	v_cndmask_b32_e32 v31, v36, v32, vcc_lo
	v_mad_nc_u64_u32 v[38:39], 0x4e441529, v26, v[38:39]
	s_delay_alu instid0(VALU_DEP_1) | instskip(NEXT) | instid1(VALU_DEP_1)
	v_dual_add_nc_u32 v4, v9, v4 :: v_dual_mov_b32 v40, v39
	v_cmp_lt_u32_e64 s0, 31, v4
	s_delay_alu instid0(VALU_DEP_3) | instskip(NEXT) | instid1(VALU_DEP_3)
	v_cndmask_b32_e32 v29, v38, v34, vcc_lo
	v_mad_nc_u64_u32 v[26:27], 0xa2f9836e, v26, v[40:41]
	s_delay_alu instid0(VALU_DEP_3) | instskip(NEXT) | instid1(VALU_DEP_1)
	v_cndmask_b32_e64 v9, 0, 0xffffffe0, s0
	v_add_nc_u32_e32 v4, v9, v4
	s_delay_alu instid0(VALU_DEP_1) | instskip(NEXT) | instid1(VALU_DEP_4)
	v_cmp_lt_u32_e64 s1, 31, v4
	v_dual_cndmask_b32 v26, v26, v36 :: v_dual_cndmask_b32 v27, v27, v38
	s_delay_alu instid0(VALU_DEP_2) | instskip(NEXT) | instid1(VALU_DEP_1)
	v_cndmask_b32_e64 v9, 0, 0xffffffe0, s1
	v_dual_cndmask_b32 v9, v34, v30 :: v_dual_add_nc_u32 v4, v9, v4
	s_delay_alu instid0(VALU_DEP_3) | instskip(NEXT) | instid1(VALU_DEP_2)
	v_dual_cndmask_b32 v30, v26, v29, s0 :: v_dual_cndmask_b32 v26, v27, v26, s0
	v_dual_cndmask_b32 v27, v29, v31, s0 :: v_dual_sub_nc_u32 v29, 32, v4
	s_delay_alu instid0(VALU_DEP_3) | instskip(SKIP_1) | instid1(VALU_DEP_4)
	v_cndmask_b32_e64 v31, v31, v9, s0
	v_cmp_eq_u32_e32 vcc_lo, 0, v4
	v_cndmask_b32_e64 v26, v26, v30, s1
	s_delay_alu instid0(VALU_DEP_4) | instskip(NEXT) | instid1(VALU_DEP_4)
	v_cndmask_b32_e64 v30, v30, v27, s1
	v_cndmask_b32_e64 v27, v27, v31, s1
	s_delay_alu instid0(VALU_DEP_2) | instskip(NEXT) | instid1(VALU_DEP_2)
	v_alignbit_b32 v33, v26, v30, v29
	v_alignbit_b32 v32, v30, v27, v29
	v_cndmask_b32_e64 v9, v9, v28, s0
	s_delay_alu instid0(VALU_DEP_3) | instskip(NEXT) | instid1(VALU_DEP_2)
	v_cndmask_b32_e32 v4, v33, v26, vcc_lo
	v_dual_cndmask_b32 v26, v32, v30, vcc_lo :: v_dual_cndmask_b32 v9, v31, v9, s1
	s_delay_alu instid0(VALU_DEP_2) | instskip(NEXT) | instid1(VALU_DEP_2)
	v_bfe_u32 v28, v4, 29, 1
	v_alignbit_b32 v30, v4, v26, 30
	s_delay_alu instid0(VALU_DEP_3) | instskip(NEXT) | instid1(VALU_DEP_1)
	v_alignbit_b32 v29, v27, v9, v29
	v_dual_sub_nc_u32 v31, 0, v28 :: v_dual_cndmask_b32 v27, v29, v27, vcc_lo
	s_delay_alu instid0(VALU_DEP_1) | instskip(NEXT) | instid1(VALU_DEP_2)
	v_xor_b32_e32 v30, v30, v31
	v_alignbit_b32 v26, v26, v27, 30
	v_alignbit_b32 v9, v27, v9, 30
	s_delay_alu instid0(VALU_DEP_3) | instskip(NEXT) | instid1(VALU_DEP_3)
	v_clz_i32_u32_e32 v29, v30
	v_xor_b32_e32 v26, v26, v31
	s_delay_alu instid0(VALU_DEP_3) | instskip(NEXT) | instid1(VALU_DEP_3)
	v_xor_b32_e32 v9, v9, v31
	v_min_u32_e32 v29, 32, v29
	v_dual_lshrrev_b32 v31, 29, v4 :: v_dual_lshrrev_b32 v4, 30, v4
	s_delay_alu instid0(VALU_DEP_2) | instskip(NEXT) | instid1(VALU_DEP_2)
	v_dual_sub_nc_u32 v27, 31, v29 :: v_dual_lshlrev_b32 v32, 23, v29
	v_add_nc_u32_e32 v28, v28, v4
	s_delay_alu instid0(VALU_DEP_2) | instskip(SKIP_2) | instid1(VALU_DEP_2)
	v_alignbit_b32 v30, v30, v26, v27
	v_alignbit_b32 v9, v26, v9, v27
	v_lshlrev_b32_e32 v26, 31, v31
	v_alignbit_b32 v27, v30, v9, 9
	s_delay_alu instid0(VALU_DEP_2) | instskip(SKIP_2) | instid1(VALU_DEP_4)
	v_or_b32_e32 v31, 0.5, v26
	v_lshrrev_b32_e32 v30, 9, v30
	v_or_b32_e32 v26, 0x33000000, v26
	v_clz_i32_u32_e32 v33, v27
	s_delay_alu instid0(VALU_DEP_4) | instskip(NEXT) | instid1(VALU_DEP_2)
	v_sub_nc_u32_e32 v31, v31, v32
	v_min_u32_e32 v32, 32, v33
	s_delay_alu instid0(VALU_DEP_2) | instskip(NEXT) | instid1(VALU_DEP_2)
	v_or_b32_e32 v30, v30, v31
	v_not_b32_e32 v31, v32
	v_add_lshl_u32 v29, v32, v29, 23
	s_delay_alu instid0(VALU_DEP_2) | instskip(NEXT) | instid1(VALU_DEP_2)
	v_alignbit_b32 v9, v27, v9, v31
	v_sub_nc_u32_e32 v26, v26, v29
	s_delay_alu instid0(VALU_DEP_2) | instskip(SKIP_1) | instid1(VALU_DEP_2)
	v_lshrrev_b32_e32 v9, 9, v9
	v_mul_f32_e32 v33, 0x3fc90fda, v30
	v_or_b32_e32 v9, v26, v9
	s_delay_alu instid0(VALU_DEP_2) | instskip(NEXT) | instid1(VALU_DEP_1)
	v_fma_f32 v27, 0x3fc90fda, v30, -v33
	v_fmamk_f32 v27, v30, 0x33a22168, v27
	s_delay_alu instid0(VALU_DEP_1) | instskip(NEXT) | instid1(VALU_DEP_1)
	v_fmac_f32_e32 v27, 0x3fc90fda, v9
	v_add_f32_e32 v9, v33, v27
.LBB20_25:
	s_and_not1_saveexec_b32 s0, s9
; %bb.26:
	v_mul_f32_e64 v4, 0x3f22f983, |v23|
	s_delay_alu instid0(VALU_DEP_1) | instskip(NEXT) | instid1(VALU_DEP_1)
	v_rndne_f32_e32 v4, v4
	v_fma_f32 v9, 0xbfc90fda, v4, |v23|
	v_cvt_i32_f32_e32 v28, v4
	s_delay_alu instid0(VALU_DEP_2) | instskip(NEXT) | instid1(VALU_DEP_1)
	v_fmamk_f32 v9, v4, 0xb3a22168, v9
	v_fmamk_f32 v9, v4, 0xa7c234c4, v9
; %bb.27:
	s_or_b32 exec_lo, exec_lo, s0
	v_cvt_f32_f16_e32 v26, v5
                                        ; implicit-def: $vgpr31
                                        ; implicit-def: $vgpr4
	s_mov_b32 s1, exec_lo
	s_delay_alu instid0(VALU_DEP_1)
	v_and_b32_e32 v27, 0x7fffffff, v26
	v_cmpx_ngt_f32_e64 0x48000000, |v26|
	s_xor_b32 s9, exec_lo, s1
	s_cbranch_execz .LBB20_29
; %bb.28:
	s_mov_b32 s0, 0x7fffff
	v_mov_b32_e32 v31, 0
	v_and_or_b32 v30, v27, s0, 0x800000
	s_mov_b64 s[0:1], 0xfe5163ab
	v_lshrrev_b32_e32 v4, 23, v27
	s_delay_alu instid0(VALU_DEP_2) | instskip(NEXT) | instid1(VALU_DEP_1)
	v_mul_u64_e32 v[32:33], s[0:1], v[30:31]
	v_dual_mov_b32 v34, v33 :: v_dual_mov_b32 v35, v31
	v_dual_mov_b32 v37, v31 :: v_dual_mov_b32 v39, v31
	s_delay_alu instid0(VALU_DEP_4) | instskip(SKIP_1) | instid1(VALU_DEP_4)
	v_dual_mov_b32 v41, v31 :: v_dual_add_nc_u32 v4, 0xffffff88, v4
	v_mov_b32_e32 v45, v31
	v_mad_nc_u64_u32 v[34:35], 0x3c439041, v30, v[34:35]
	s_delay_alu instid0(VALU_DEP_3) | instskip(SKIP_1) | instid1(VALU_DEP_3)
	v_cmp_lt_u32_e32 vcc_lo, 63, v4
	v_cndmask_b32_e64 v29, 0, 0xffffffc0, vcc_lo
	v_mov_b32_e32 v36, v35
	s_delay_alu instid0(VALU_DEP_1) | instskip(NEXT) | instid1(VALU_DEP_1)
	v_mad_nc_u64_u32 v[36:37], 0xdb629599, v30, v[36:37]
	v_dual_mov_b32 v38, v37 :: v_dual_cndmask_b32 v32, v36, v32, vcc_lo
	s_delay_alu instid0(VALU_DEP_1) | instskip(NEXT) | instid1(VALU_DEP_1)
	v_mad_nc_u64_u32 v[38:39], 0xf534ddc0, v30, v[38:39]
	v_mov_b32_e32 v40, v39
	s_delay_alu instid0(VALU_DEP_1) | instskip(NEXT) | instid1(VALU_DEP_1)
	v_mad_nc_u64_u32 v[40:41], 0xfc2757d1, v30, v[40:41]
	v_dual_mov_b32 v43, v31 :: v_dual_mov_b32 v42, v41
	s_delay_alu instid0(VALU_DEP_2) | instskip(NEXT) | instid1(VALU_DEP_2)
	v_cndmask_b32_e32 v35, v40, v36, vcc_lo
	v_mad_nc_u64_u32 v[42:43], 0x4e441529, v30, v[42:43]
	s_delay_alu instid0(VALU_DEP_1) | instskip(NEXT) | instid1(VALU_DEP_1)
	v_dual_add_nc_u32 v4, v29, v4 :: v_dual_mov_b32 v44, v43
	v_cmp_lt_u32_e64 s0, 31, v4
	s_delay_alu instid0(VALU_DEP_3) | instskip(NEXT) | instid1(VALU_DEP_3)
	v_cndmask_b32_e32 v33, v42, v38, vcc_lo
	v_mad_nc_u64_u32 v[30:31], 0xa2f9836e, v30, v[44:45]
	s_delay_alu instid0(VALU_DEP_3) | instskip(NEXT) | instid1(VALU_DEP_1)
	v_cndmask_b32_e64 v29, 0, 0xffffffe0, s0
	v_add_nc_u32_e32 v4, v29, v4
	s_delay_alu instid0(VALU_DEP_1) | instskip(NEXT) | instid1(VALU_DEP_4)
	v_cmp_lt_u32_e64 s1, 31, v4
	v_dual_cndmask_b32 v30, v30, v40 :: v_dual_cndmask_b32 v31, v31, v42
	s_delay_alu instid0(VALU_DEP_2) | instskip(NEXT) | instid1(VALU_DEP_1)
	v_cndmask_b32_e64 v29, 0, 0xffffffe0, s1
	v_dual_cndmask_b32 v29, v38, v34 :: v_dual_add_nc_u32 v4, v29, v4
	s_delay_alu instid0(VALU_DEP_3) | instskip(NEXT) | instid1(VALU_DEP_2)
	v_dual_cndmask_b32 v34, v30, v33, s0 :: v_dual_cndmask_b32 v30, v31, v30, s0
	v_dual_cndmask_b32 v31, v33, v35, s0 :: v_dual_sub_nc_u32 v33, 32, v4
	s_delay_alu instid0(VALU_DEP_3) | instskip(SKIP_1) | instid1(VALU_DEP_4)
	v_cndmask_b32_e64 v35, v35, v29, s0
	v_cmp_eq_u32_e32 vcc_lo, 0, v4
	v_cndmask_b32_e64 v30, v30, v34, s1
	s_delay_alu instid0(VALU_DEP_4) | instskip(NEXT) | instid1(VALU_DEP_4)
	v_cndmask_b32_e64 v34, v34, v31, s1
	v_cndmask_b32_e64 v31, v31, v35, s1
	s_delay_alu instid0(VALU_DEP_2) | instskip(NEXT) | instid1(VALU_DEP_2)
	v_alignbit_b32 v37, v30, v34, v33
	v_alignbit_b32 v36, v34, v31, v33
	v_cndmask_b32_e64 v29, v29, v32, s0
	s_delay_alu instid0(VALU_DEP_3) | instskip(NEXT) | instid1(VALU_DEP_2)
	v_cndmask_b32_e32 v4, v37, v30, vcc_lo
	v_dual_cndmask_b32 v30, v36, v34, vcc_lo :: v_dual_cndmask_b32 v29, v35, v29, s1
	s_delay_alu instid0(VALU_DEP_2) | instskip(NEXT) | instid1(VALU_DEP_2)
	v_bfe_u32 v32, v4, 29, 1
	v_alignbit_b32 v34, v4, v30, 30
	s_delay_alu instid0(VALU_DEP_3) | instskip(NEXT) | instid1(VALU_DEP_1)
	v_alignbit_b32 v33, v31, v29, v33
	v_dual_sub_nc_u32 v35, 0, v32 :: v_dual_cndmask_b32 v31, v33, v31, vcc_lo
	s_delay_alu instid0(VALU_DEP_1) | instskip(NEXT) | instid1(VALU_DEP_2)
	v_xor_b32_e32 v34, v34, v35
	v_alignbit_b32 v30, v30, v31, 30
	v_alignbit_b32 v29, v31, v29, 30
	s_delay_alu instid0(VALU_DEP_3) | instskip(NEXT) | instid1(VALU_DEP_3)
	v_clz_i32_u32_e32 v33, v34
	v_xor_b32_e32 v30, v30, v35
	s_delay_alu instid0(VALU_DEP_3) | instskip(NEXT) | instid1(VALU_DEP_3)
	v_xor_b32_e32 v29, v29, v35
	v_min_u32_e32 v33, 32, v33
	s_delay_alu instid0(VALU_DEP_1) | instskip(SKIP_1) | instid1(VALU_DEP_2)
	v_dual_lshrrev_b32 v35, 29, v4 :: v_dual_sub_nc_u32 v31, 31, v33
	v_lshlrev_b32_e32 v36, 23, v33
	v_alignbit_b32 v34, v34, v30, v31
	v_alignbit_b32 v29, v30, v29, v31
	s_delay_alu instid0(VALU_DEP_4) | instskip(NEXT) | instid1(VALU_DEP_2)
	v_lshlrev_b32_e32 v30, 31, v35
	v_alignbit_b32 v31, v34, v29, 9
	s_delay_alu instid0(VALU_DEP_2) | instskip(SKIP_2) | instid1(VALU_DEP_4)
	v_or_b32_e32 v35, 0.5, v30
	v_lshrrev_b32_e32 v34, 9, v34
	v_or_b32_e32 v30, 0x33000000, v30
	v_clz_i32_u32_e32 v37, v31
	s_delay_alu instid0(VALU_DEP_4) | instskip(NEXT) | instid1(VALU_DEP_2)
	v_sub_nc_u32_e32 v35, v35, v36
	v_min_u32_e32 v36, 32, v37
	s_delay_alu instid0(VALU_DEP_2) | instskip(NEXT) | instid1(VALU_DEP_2)
	v_or_b32_e32 v34, v34, v35
	v_not_b32_e32 v35, v36
	v_add_lshl_u32 v33, v36, v33, 23
	s_delay_alu instid0(VALU_DEP_2) | instskip(NEXT) | instid1(VALU_DEP_2)
	v_alignbit_b32 v29, v31, v29, v35
	v_sub_nc_u32_e32 v30, v30, v33
	s_delay_alu instid0(VALU_DEP_2) | instskip(SKIP_1) | instid1(VALU_DEP_2)
	v_lshrrev_b32_e32 v29, 9, v29
	v_mul_f32_e32 v37, 0x3fc90fda, v34
	v_or_b32_e32 v29, v30, v29
	s_delay_alu instid0(VALU_DEP_2) | instskip(NEXT) | instid1(VALU_DEP_1)
	v_fma_f32 v31, 0x3fc90fda, v34, -v37
	v_fmamk_f32 v31, v34, 0x33a22168, v31
	s_delay_alu instid0(VALU_DEP_1) | instskip(NEXT) | instid1(VALU_DEP_1)
	v_fmac_f32_e32 v31, 0x3fc90fda, v29
	v_dual_add_f32 v4, v37, v31 :: v_dual_lshrrev_b32 v29, 30, v4
	s_delay_alu instid0(VALU_DEP_1)
	v_add_nc_u32_e32 v31, v32, v29
.LBB20_29:
	s_and_not1_saveexec_b32 s0, s9
; %bb.30:
	v_mul_f32_e64 v4, 0x3f22f983, |v26|
	s_delay_alu instid0(VALU_DEP_1) | instskip(NEXT) | instid1(VALU_DEP_1)
	v_rndne_f32_e32 v29, v4
	v_fma_f32 v4, 0xbfc90fda, v29, |v26|
	v_cvt_i32_f32_e32 v31, v29
	s_delay_alu instid0(VALU_DEP_2) | instskip(NEXT) | instid1(VALU_DEP_1)
	v_fmamk_f32 v4, v29, 0xb3a22168, v4
	v_fmamk_f32 v4, v29, 0xa7c234c4, v4
; %bb.31:
	s_or_b32 exec_lo, exec_lo, s0
	v_lshrrev_b32_e32 v5, 16, v5
                                        ; implicit-def: $vgpr32
	s_mov_b32 s1, exec_lo
	s_delay_alu instid0(VALU_DEP_1) | instskip(NEXT) | instid1(VALU_DEP_1)
	v_cvt_f32_f16_e32 v29, v5
	v_and_b32_e32 v30, 0x7fffffff, v29
	v_cmpx_ngt_f32_e64 0x48000000, |v29|
	s_xor_b32 s9, exec_lo, s1
	s_cbranch_execz .LBB20_33
; %bb.32:
	s_mov_b32 s0, 0x7fffff
	v_mov_b32_e32 v33, 0
	v_and_or_b32 v32, v30, s0, 0x800000
	s_mov_b64 s[0:1], 0xfe5163ab
	v_lshrrev_b32_e32 v5, 23, v30
	s_delay_alu instid0(VALU_DEP_2) | instskip(NEXT) | instid1(VALU_DEP_1)
	v_mul_u64_e32 v[34:35], s[0:1], v[32:33]
	v_dual_mov_b32 v36, v35 :: v_dual_mov_b32 v37, v33
	v_dual_mov_b32 v39, v33 :: v_dual_mov_b32 v41, v33
	v_dual_mov_b32 v43, v33 :: v_dual_mov_b32 v47, v33
	s_delay_alu instid0(VALU_DEP_3) | instskip(NEXT) | instid1(VALU_DEP_1)
	v_mad_nc_u64_u32 v[36:37], 0x3c439041, v32, v[36:37]
	v_mov_b32_e32 v38, v37
	s_delay_alu instid0(VALU_DEP_1) | instskip(NEXT) | instid1(VALU_DEP_1)
	v_mad_nc_u64_u32 v[38:39], 0xdb629599, v32, v[38:39]
	v_mov_b32_e32 v40, v39
	s_delay_alu instid0(VALU_DEP_1) | instskip(NEXT) | instid1(VALU_DEP_1)
	v_mad_nc_u64_u32 v[40:41], 0xf534ddc0, v32, v[40:41]
	v_mov_b32_e32 v42, v41
	s_delay_alu instid0(VALU_DEP_1) | instskip(NEXT) | instid1(VALU_DEP_1)
	v_mad_nc_u64_u32 v[42:43], 0xfc2757d1, v32, v[42:43]
	v_dual_mov_b32 v45, v33 :: v_dual_mov_b32 v44, v43
	s_delay_alu instid0(VALU_DEP_1) | instskip(NEXT) | instid1(VALU_DEP_1)
	v_mad_nc_u64_u32 v[44:45], 0x4e441529, v32, v[44:45]
	v_dual_mov_b32 v46, v45 :: v_dual_add_nc_u32 v5, 0xffffff88, v5
	s_delay_alu instid0(VALU_DEP_1) | instskip(NEXT) | instid1(VALU_DEP_2)
	v_cmp_lt_u32_e32 vcc_lo, 63, v5
	v_mad_nc_u64_u32 v[32:33], 0xa2f9836e, v32, v[46:47]
	v_cndmask_b32_e64 v35, 0, 0xffffffc0, vcc_lo
	v_dual_cndmask_b32 v37, v44, v40 :: v_dual_cndmask_b32 v34, v38, v34
	s_delay_alu instid0(VALU_DEP_2) | instskip(NEXT) | instid1(VALU_DEP_1)
	v_add_nc_u32_e32 v5, v35, v5
	v_cmp_lt_u32_e64 s0, 31, v5
	v_dual_cndmask_b32 v32, v32, v42 :: v_dual_cndmask_b32 v33, v33, v44
	s_delay_alu instid0(VALU_DEP_2) | instskip(NEXT) | instid1(VALU_DEP_1)
	v_cndmask_b32_e64 v35, 0, 0xffffffe0, s0
	v_add_nc_u32_e32 v5, v35, v5
	s_delay_alu instid0(VALU_DEP_1) | instskip(NEXT) | instid1(VALU_DEP_1)
	v_cmp_lt_u32_e64 s1, 31, v5
	v_cndmask_b32_e64 v35, 0, 0xffffffe0, s1
	s_delay_alu instid0(VALU_DEP_1) | instskip(SKIP_2) | instid1(VALU_DEP_3)
	v_dual_cndmask_b32 v39, v42, v38, vcc_lo :: v_dual_add_nc_u32 v5, v35, v5
	v_cndmask_b32_e32 v35, v40, v36, vcc_lo
	v_dual_cndmask_b32 v36, v32, v37, s0 :: v_dual_cndmask_b32 v32, v33, v32, s0
	v_dual_cndmask_b32 v33, v37, v39, s0 :: v_dual_sub_nc_u32 v37, 32, v5
	s_delay_alu instid0(VALU_DEP_3) | instskip(SKIP_1) | instid1(VALU_DEP_4)
	v_cndmask_b32_e64 v39, v39, v35, s0
	v_cmp_eq_u32_e32 vcc_lo, 0, v5
	v_cndmask_b32_e64 v32, v32, v36, s1
	s_delay_alu instid0(VALU_DEP_3) | instskip(NEXT) | instid1(VALU_DEP_1)
	v_dual_cndmask_b32 v36, v36, v33, s1 :: v_dual_cndmask_b32 v33, v33, v39, s1
	v_alignbit_b32 v40, v32, v36, v37
	s_delay_alu instid0(VALU_DEP_2) | instskip(NEXT) | instid1(VALU_DEP_2)
	v_alignbit_b32 v38, v36, v33, v37
	v_dual_cndmask_b32 v5, v40, v32, vcc_lo :: v_dual_cndmask_b32 v32, v35, v34, s0
	s_delay_alu instid0(VALU_DEP_1) | instskip(NEXT) | instid1(VALU_DEP_1)
	v_bfe_u32 v35, v5, 29, 1
	v_dual_cndmask_b32 v34, v38, v36, vcc_lo :: v_dual_sub_nc_u32 v38, 0, v35
	s_delay_alu instid0(VALU_DEP_1) | instskip(NEXT) | instid1(VALU_DEP_1)
	v_alignbit_b32 v36, v5, v34, 30
	v_dual_cndmask_b32 v32, v39, v32, s1 :: v_dual_bitop2_b32 v36, v36, v38 bitop3:0x14
	s_delay_alu instid0(VALU_DEP_1) | instskip(NEXT) | instid1(VALU_DEP_1)
	v_alignbit_b32 v37, v33, v32, v37
	v_cndmask_b32_e32 v33, v37, v33, vcc_lo
	s_delay_alu instid0(VALU_DEP_3) | instskip(NEXT) | instid1(VALU_DEP_2)
	v_clz_i32_u32_e32 v37, v36
	v_alignbit_b32 v32, v33, v32, 30
	s_delay_alu instid0(VALU_DEP_2) | instskip(NEXT) | instid1(VALU_DEP_2)
	v_min_u32_e32 v37, 32, v37
	v_xor_b32_e32 v32, v32, v38
	v_alignbit_b32 v34, v34, v33, 30
	s_delay_alu instid0(VALU_DEP_1) | instskip(SKIP_1) | instid1(VALU_DEP_1)
	v_dual_lshlrev_b32 v39, 23, v37 :: v_dual_bitop2_b32 v33, v34, v38 bitop3:0x14
	v_sub_nc_u32_e32 v34, 31, v37
	v_alignbit_b32 v36, v36, v33, v34
	v_lshrrev_b32_e32 v38, 29, v5
	v_alignbit_b32 v32, v33, v32, v34
	s_delay_alu instid0(VALU_DEP_1) | instskip(NEXT) | instid1(VALU_DEP_3)
	v_alignbit_b32 v34, v36, v32, 9
	v_dual_lshrrev_b32 v36, 9, v36 :: v_dual_lshlrev_b32 v33, 31, v38
	s_delay_alu instid0(VALU_DEP_2) | instskip(NEXT) | instid1(VALU_DEP_2)
	v_clz_i32_u32_e32 v40, v34
	v_or_b32_e32 v38, 0.5, v33
	v_or_b32_e32 v33, 0x33000000, v33
	s_delay_alu instid0(VALU_DEP_2) | instskip(NEXT) | instid1(VALU_DEP_4)
	v_sub_nc_u32_e32 v38, v38, v39
	v_min_u32_e32 v39, 32, v40
	s_delay_alu instid0(VALU_DEP_1) | instskip(NEXT) | instid1(VALU_DEP_1)
	v_add_lshl_u32 v37, v39, v37, 23
	v_dual_sub_nc_u32 v33, v33, v37 :: v_dual_bitop2_b32 v36, v36, v38 bitop3:0x54
	v_not_b32_e32 v38, v39
	s_delay_alu instid0(VALU_DEP_2) | instskip(NEXT) | instid1(VALU_DEP_2)
	v_mul_f32_e32 v40, 0x3fc90fda, v36
	v_alignbit_b32 v32, v34, v32, v38
	s_delay_alu instid0(VALU_DEP_2) | instskip(NEXT) | instid1(VALU_DEP_2)
	v_fma_f32 v34, 0x3fc90fda, v36, -v40
	v_lshrrev_b32_e32 v32, 9, v32
	s_delay_alu instid0(VALU_DEP_2) | instskip(NEXT) | instid1(VALU_DEP_2)
	v_fmamk_f32 v34, v36, 0x33a22168, v34
	v_or_b32_e32 v32, v33, v32
	s_delay_alu instid0(VALU_DEP_1) | instskip(NEXT) | instid1(VALU_DEP_1)
	v_fmac_f32_e32 v34, 0x3fc90fda, v32
	v_dual_add_f32 v5, v40, v34 :: v_dual_lshrrev_b32 v32, 30, v5
	s_delay_alu instid0(VALU_DEP_1)
	v_add_nc_u32_e32 v32, v35, v32
.LBB20_33:
	s_and_not1_saveexec_b32 s0, s9
; %bb.34:
	v_mul_f32_e64 v5, 0x3f22f983, |v29|
	s_delay_alu instid0(VALU_DEP_1) | instskip(NEXT) | instid1(VALU_DEP_1)
	v_rndne_f32_e32 v32, v5
	v_fma_f32 v5, 0xbfc90fda, v32, |v29|
	s_delay_alu instid0(VALU_DEP_1) | instskip(NEXT) | instid1(VALU_DEP_1)
	v_fmamk_f32 v5, v32, 0xb3a22168, v5
	v_fmamk_f32 v5, v32, 0xa7c234c4, v5
	v_cvt_i32_f32_e32 v32, v32
; %bb.35:
	s_or_b32 exec_lo, exec_lo, s0
	s_delay_alu instid0(VALU_DEP_1)
	v_dual_lshlrev_b32 v46, 30, v32 :: v_dual_lshlrev_b32 v47, 30, v31
	v_dual_lshlrev_b32 v48, 30, v28 :: v_dual_lshlrev_b32 v49, 30, v25
	v_dual_lshlrev_b32 v40, 30, v18 :: v_dual_bitop2_b32 v31, 1, v31 bitop3:0x40
	v_dual_lshlrev_b32 v41, 30, v15 :: v_dual_bitop2_b32 v28, 1, v28 bitop3:0x40
	v_lshlrev_b32_e32 v42, 30, v13
	v_pk_mul_f32 v[36:37], v[2:3], v[2:3]
	s_mov_b32 s0, 0x3c0881c4
	s_mov_b32 s10, 0xb94c1982
	;; [unrolled: 1-line block ×4, first 2 shown]
	v_dual_lshlrev_b32 v38, 30, v22 :: v_dual_bitop2_b32 v50, 1, v32 bitop3:0x40
	v_and_b32_e32 v22, 1, v22
	v_and_b32_e32 v51, 1, v18
	;; [unrolled: 1-line block ×5, first 2 shown]
	v_pk_fma_f32 v[40:41], v[36:37], s[10:11], s[0:1] op_sel_hi:[1,0,0]
	v_pk_fma_f32 v[42:43], v[36:37], s[14:15], s[12:13] op_sel_hi:[1,0,0]
	s_mov_b32 s16, 0xbe2aaa9d
	s_mov_b32 s18, 0x3d2aabf7
	;; [unrolled: 1-line block ×3, first 2 shown]
	v_pk_fma_f32 v[40:41], v[36:37], v[40:41], s[16:17] op_sel_hi:[1,1,0]
	v_pk_fma_f32 v[42:43], v[36:37], v[42:43], s[18:19] op_sel_hi:[1,1,0]
	v_and_b32_e32 v52, 1, v13
	v_and_b32_e32 v13, 0x80000000, v38
	v_pk_mul_f32 v[38:39], v[6:7], v[6:7]
	v_pk_mul_f32 v[40:41], v[36:37], v[40:41]
	v_pk_fma_f32 v[42:43], v[36:37], v[42:43], s[20:21] op_sel_hi:[1,1,0]
	v_xor3_b32 v16, v16, v14, v18
	v_xor3_b32 v55, v19, v17, v13
	v_pk_fma_f32 v[18:19], v[38:39], s[10:11], s[0:1] op_sel_hi:[1,0,0]
	v_pk_fma_f32 v[44:45], v[38:39], s[14:15], s[12:13] op_sel_hi:[1,0,0]
	v_pk_fma_f32 v[2:3], v[2:3], v[40:41], v[2:3]
	v_pk_fma_f32 v[36:37], v[36:37], v[42:43], 1.0 op_sel_hi:[1,1,0]
	v_and_b32_e32 v15, 1, v15
	v_pk_fma_f32 v[18:19], v[38:39], v[18:19], s[16:17] op_sel_hi:[1,1,0]
	v_pk_fma_f32 v[44:45], v[38:39], v[44:45], s[18:19] op_sel_hi:[1,1,0]
	v_xor3_b32 v54, v12, v11, v54
	v_pk_mul_f32 v[34:35], v[4:5], v[4:5]
	v_cmp_eq_u32_e32 vcc_lo, 0, v15
	v_and_b32_e32 v25, 1, v25
	v_pk_mul_f32 v[12:13], v[38:39], v[18:19]
	v_pk_fma_f32 v[18:19], v[38:39], v[44:45], s[20:21] op_sel_hi:[1,1,0]
	v_xor3_b32 v10, v10, v1, v53
	v_cndmask_b32_e32 v3, v37, v3, vcc_lo
	v_cmp_eq_u32_e32 vcc_lo, 0, v52
	v_pk_fma_f32 v[6:7], v[6:7], v[12:13], v[6:7]
	v_pk_fma_f32 v[12:13], v[38:39], v[18:19], 1.0 op_sel_hi:[1,1,0]
	v_pk_mul_f32 v[32:33], v[8:9], v[8:9]
	v_dual_cndmask_b32 v2, v36, v2, vcc_lo :: v_dual_bitop2_b32 v3, v54, v3 bitop3:0x14
	v_cmp_eq_u32_e32 vcc_lo, 0, v22
	s_add_nc_u64 s[2:3], s[4:5], s[2:3]
	v_cndmask_b32_e32 v15, v13, v7, vcc_lo
	v_cmp_eq_u32_e32 vcc_lo, 0, v51
	v_cndmask_b32_e32 v18, v12, v6, vcc_lo
	v_pk_fma_f32 v[6:7], v[34:35], s[14:15], s[12:13] op_sel_hi:[1,0,0]
	v_cmp_class_f32_e64 vcc_lo, v11, 0x1f8
	v_pk_fma_f32 v[12:13], v[32:33], s[14:15], s[12:13] op_sel_hi:[1,0,0]
	s_delay_alu instid0(VALU_DEP_4) | instskip(NEXT) | instid1(VALU_DEP_4)
	v_xor_b32_e32 v16, v16, v18
	v_pk_fma_f32 v[6:7], v[34:35], v[6:7], s[18:19] op_sel_hi:[1,1,0]
	v_cndmask_b32_e32 v19, 0x7fc00000, v3, vcc_lo
	v_cmp_class_f32_e64 vcc_lo, v1, 0x1f8
	v_pk_fma_f32 v[12:13], v[32:33], v[12:13], s[18:19] op_sel_hi:[1,1,0]
	s_delay_alu instid0(VALU_DEP_4) | instskip(NEXT) | instid1(VALU_DEP_1)
	v_pk_fma_f32 v[6:7], v[34:35], v[6:7], s[20:21] op_sel_hi:[1,1,0]
	v_pk_fma_f32 v[6:7], v[34:35], v[6:7], 1.0 op_sel_hi:[1,1,0]
	v_xor_b32_e32 v10, v10, v2
	v_pk_fma_f32 v[2:3], v[34:35], s[10:11], s[0:1] op_sel_hi:[1,0,0]
	s_delay_alu instid0(VALU_DEP_2) | instskip(NEXT) | instid1(VALU_DEP_2)
	v_cndmask_b32_e32 v1, 0x7fc00000, v10, vcc_lo
	v_pk_fma_f32 v[2:3], v[34:35], v[2:3], s[16:17] op_sel_hi:[1,1,0]
	v_pk_fma_f32 v[10:11], v[32:33], s[10:11], s[0:1] op_sel_hi:[1,0,0]
	v_cmp_class_f32_e64 vcc_lo, v17, 0x1f8
	s_delay_alu instid0(VALU_DEP_3) | instskip(NEXT) | instid1(VALU_DEP_3)
	v_pk_mul_f32 v[2:3], v[34:35], v[2:3]
	v_pk_fma_f32 v[10:11], v[32:33], v[10:11], s[16:17] op_sel_hi:[1,1,0]
	s_delay_alu instid0(VALU_DEP_2) | instskip(SKIP_2) | instid1(VALU_DEP_4)
	v_pk_fma_f32 v[2:3], v[4:5], v[2:3], v[4:5]
	v_xor_b32_e32 v15, v55, v15
	v_pk_fma_f32 v[4:5], v[32:33], v[12:13], s[20:21] op_sel_hi:[1,1,0]
	v_pk_mul_f32 v[10:11], v[32:33], v[10:11]
	s_delay_alu instid0(VALU_DEP_3) | instskip(SKIP_1) | instid1(VALU_DEP_3)
	v_cndmask_b32_e32 v12, 0x7fc00000, v15, vcc_lo
	v_cmp_eq_u32_e32 vcc_lo, 0, v50
	v_pk_fma_f32 v[8:9], v[8:9], v[10:11], v[8:9]
	v_pk_fma_f32 v[4:5], v[32:33], v[4:5], 1.0 op_sel_hi:[1,1,0]
	v_and_b32_e32 v10, 0x80000000, v47
	v_cndmask_b32_e32 v3, v7, v3, vcc_lo
	v_cmp_eq_u32_e32 vcc_lo, 0, v31
	v_and_b32_e32 v7, 0x80000000, v46
	v_cndmask_b32_e32 v2, v6, v2, vcc_lo
	v_cmp_eq_u32_e32 vcc_lo, 0, v28
	v_and_b32_e32 v6, 0x80000000, v49
	s_delay_alu instid0(VALU_DEP_4)
	v_xor3_b32 v7, v30, v29, v7
	v_cndmask_b32_e32 v5, v5, v9, vcc_lo
	v_and_b32_e32 v9, 0x80000000, v48
	v_cmp_eq_u32_e32 vcc_lo, 0, v25
	v_xor3_b32 v6, v21, v20, v6
	v_dual_cndmask_b32 v4, v4, v8, vcc_lo :: v_dual_bitop2_b32 v3, v7, v3 bitop3:0x14
	s_delay_alu instid0(VALU_DEP_4) | instskip(SKIP_2) | instid1(VALU_DEP_4)
	v_xor3_b32 v8, v24, v23, v9
	v_cmp_class_f32_e64 vcc_lo, v14, 0x1f8
	v_xor3_b32 v9, v27, v26, v10
	v_xor_b32_e32 v4, v6, v4
	s_delay_alu instid0(VALU_DEP_4) | instskip(SKIP_3) | instid1(VALU_DEP_4)
	v_xor_b32_e32 v5, v8, v5
	v_cndmask_b32_e32 v10, 0x7fc00000, v16, vcc_lo
	v_cmp_class_f32_e64 vcc_lo, v23, 0x1f8
	v_xor_b32_e32 v2, v9, v2
	v_cndmask_b32_e32 v6, 0x7fc00000, v5, vcc_lo
	v_cmp_class_f32_e64 vcc_lo, v29, 0x1f8
	v_cndmask_b32_e32 v5, 0x7fc00000, v3, vcc_lo
	v_cmp_class_f32_e64 vcc_lo, v26, 0x1f8
	v_cvt_pk_f16_f32 v3, v10, v12
	v_cndmask_b32_e32 v7, 0x7fc00000, v2, vcc_lo
	v_cmp_class_f32_e64 vcc_lo, v20, 0x1f8
	v_cvt_pk_f16_f32 v2, v1, v19
	s_delay_alu instid0(VALU_DEP_3) | instskip(SKIP_1) | instid1(VALU_DEP_1)
	v_cvt_pk_f16_f32 v5, v7, v5
	v_cndmask_b32_e32 v4, 0x7fc00000, v4, vcc_lo
	v_cvt_pk_f16_f32 v4, v4, v6
	s_clause 0x1
	global_store_b64 v0, v[2:3], s[2:3] scale_offset
	global_store_b64 v0, v[4:5], s[2:3] offset:2048 scale_offset
	s_branch .LBB20_2
.LBB20_36:
	s_wait_xcnt 0x0
	v_dual_mov_b32 v31, v0 :: v_dual_mov_b32 v0, s4
	v_dual_mov_b32 v1, s5 :: v_dual_mov_b32 v2, s6
	;; [unrolled: 1-line block ×3, first 2 shown]
	s_get_pc_i64 s[0:1]
	s_add_nc_u64 s[0:1], s[0:1], _ZN2at6native25elementwise_kernel_helperILb0EZZZNS0_15sin_kernel_cudaERNS_18TensorIteratorBaseEENKUlvE0_clEvENKUlvE1_clEvEUlN3c104HalfEE_NS0_6memory8policies11unroll_baseILi256ESt5arrayIPcLm2EE23TrivialOffsetCalculatorILi1EjESG_NS9_15LoadWithoutCastENS9_16StoreWithoutCastELi8ELi1EEEEEvT0_T1_@rel64+4
	s_delay_alu instid0(SALU_CYCLE_1)
	s_swap_pc_i64 s[30:31], s[0:1]
	s_endpgm
	.section	.rodata,"a",@progbits
	.p2align	6, 0x0
	.amdhsa_kernel _ZN2at6native29vectorized_elementwise_kernelILi4EZZZNS0_15sin_kernel_cudaERNS_18TensorIteratorBaseEENKUlvE0_clEvENKUlvE1_clEvEUlN3c104HalfEE_St5arrayIPcLm2EEEEviT0_T1_
		.amdhsa_group_segment_fixed_size 0
		.amdhsa_private_segment_fixed_size 0
		.amdhsa_kernarg_size 24
		.amdhsa_user_sgpr_count 2
		.amdhsa_user_sgpr_dispatch_ptr 0
		.amdhsa_user_sgpr_queue_ptr 0
		.amdhsa_user_sgpr_kernarg_segment_ptr 1
		.amdhsa_user_sgpr_dispatch_id 0
		.amdhsa_user_sgpr_kernarg_preload_length 0
		.amdhsa_user_sgpr_kernarg_preload_offset 0
		.amdhsa_user_sgpr_private_segment_size 0
		.amdhsa_wavefront_size32 1
		.amdhsa_uses_dynamic_stack 0
		.amdhsa_enable_private_segment 0
		.amdhsa_system_sgpr_workgroup_id_x 1
		.amdhsa_system_sgpr_workgroup_id_y 0
		.amdhsa_system_sgpr_workgroup_id_z 0
		.amdhsa_system_sgpr_workgroup_info 0
		.amdhsa_system_vgpr_workitem_id 0
		.amdhsa_next_free_vgpr 56
		.amdhsa_next_free_sgpr 33
		.amdhsa_named_barrier_count 0
		.amdhsa_reserve_vcc 1
		.amdhsa_float_round_mode_32 0
		.amdhsa_float_round_mode_16_64 0
		.amdhsa_float_denorm_mode_32 3
		.amdhsa_float_denorm_mode_16_64 3
		.amdhsa_fp16_overflow 0
		.amdhsa_memory_ordered 1
		.amdhsa_forward_progress 1
		.amdhsa_inst_pref_size 61
		.amdhsa_round_robin_scheduling 0
		.amdhsa_exception_fp_ieee_invalid_op 0
		.amdhsa_exception_fp_denorm_src 0
		.amdhsa_exception_fp_ieee_div_zero 0
		.amdhsa_exception_fp_ieee_overflow 0
		.amdhsa_exception_fp_ieee_underflow 0
		.amdhsa_exception_fp_ieee_inexact 0
		.amdhsa_exception_int_div_zero 0
	.end_amdhsa_kernel
	.section	.text._ZN2at6native29vectorized_elementwise_kernelILi4EZZZNS0_15sin_kernel_cudaERNS_18TensorIteratorBaseEENKUlvE0_clEvENKUlvE1_clEvEUlN3c104HalfEE_St5arrayIPcLm2EEEEviT0_T1_,"axG",@progbits,_ZN2at6native29vectorized_elementwise_kernelILi4EZZZNS0_15sin_kernel_cudaERNS_18TensorIteratorBaseEENKUlvE0_clEvENKUlvE1_clEvEUlN3c104HalfEE_St5arrayIPcLm2EEEEviT0_T1_,comdat
.Lfunc_end20:
	.size	_ZN2at6native29vectorized_elementwise_kernelILi4EZZZNS0_15sin_kernel_cudaERNS_18TensorIteratorBaseEENKUlvE0_clEvENKUlvE1_clEvEUlN3c104HalfEE_St5arrayIPcLm2EEEEviT0_T1_, .Lfunc_end20-_ZN2at6native29vectorized_elementwise_kernelILi4EZZZNS0_15sin_kernel_cudaERNS_18TensorIteratorBaseEENKUlvE0_clEvENKUlvE1_clEvEUlN3c104HalfEE_St5arrayIPcLm2EEEEviT0_T1_
                                        ; -- End function
	.set _ZN2at6native29vectorized_elementwise_kernelILi4EZZZNS0_15sin_kernel_cudaERNS_18TensorIteratorBaseEENKUlvE0_clEvENKUlvE1_clEvEUlN3c104HalfEE_St5arrayIPcLm2EEEEviT0_T1_.num_vgpr, max(56, .L_ZN2at6native25elementwise_kernel_helperILb0EZZZNS0_15sin_kernel_cudaERNS_18TensorIteratorBaseEENKUlvE0_clEvENKUlvE1_clEvEUlN3c104HalfEE_NS0_6memory8policies11unroll_baseILi256ESt5arrayIPcLm2EE23TrivialOffsetCalculatorILi1EjESG_NS9_15LoadWithoutCastENS9_16StoreWithoutCastELi8ELi1EEEEEvT0_T1_.num_vgpr)
	.set _ZN2at6native29vectorized_elementwise_kernelILi4EZZZNS0_15sin_kernel_cudaERNS_18TensorIteratorBaseEENKUlvE0_clEvENKUlvE1_clEvEUlN3c104HalfEE_St5arrayIPcLm2EEEEviT0_T1_.num_agpr, max(0, .L_ZN2at6native25elementwise_kernel_helperILb0EZZZNS0_15sin_kernel_cudaERNS_18TensorIteratorBaseEENKUlvE0_clEvENKUlvE1_clEvEUlN3c104HalfEE_NS0_6memory8policies11unroll_baseILi256ESt5arrayIPcLm2EE23TrivialOffsetCalculatorILi1EjESG_NS9_15LoadWithoutCastENS9_16StoreWithoutCastELi8ELi1EEEEEvT0_T1_.num_agpr)
	.set _ZN2at6native29vectorized_elementwise_kernelILi4EZZZNS0_15sin_kernel_cudaERNS_18TensorIteratorBaseEENKUlvE0_clEvENKUlvE1_clEvEUlN3c104HalfEE_St5arrayIPcLm2EEEEviT0_T1_.numbered_sgpr, max(33, .L_ZN2at6native25elementwise_kernel_helperILb0EZZZNS0_15sin_kernel_cudaERNS_18TensorIteratorBaseEENKUlvE0_clEvENKUlvE1_clEvEUlN3c104HalfEE_NS0_6memory8policies11unroll_baseILi256ESt5arrayIPcLm2EE23TrivialOffsetCalculatorILi1EjESG_NS9_15LoadWithoutCastENS9_16StoreWithoutCastELi8ELi1EEEEEvT0_T1_.numbered_sgpr)
	.set _ZN2at6native29vectorized_elementwise_kernelILi4EZZZNS0_15sin_kernel_cudaERNS_18TensorIteratorBaseEENKUlvE0_clEvENKUlvE1_clEvEUlN3c104HalfEE_St5arrayIPcLm2EEEEviT0_T1_.num_named_barrier, max(0, .L_ZN2at6native25elementwise_kernel_helperILb0EZZZNS0_15sin_kernel_cudaERNS_18TensorIteratorBaseEENKUlvE0_clEvENKUlvE1_clEvEUlN3c104HalfEE_NS0_6memory8policies11unroll_baseILi256ESt5arrayIPcLm2EE23TrivialOffsetCalculatorILi1EjESG_NS9_15LoadWithoutCastENS9_16StoreWithoutCastELi8ELi1EEEEEvT0_T1_.num_named_barrier)
	.set _ZN2at6native29vectorized_elementwise_kernelILi4EZZZNS0_15sin_kernel_cudaERNS_18TensorIteratorBaseEENKUlvE0_clEvENKUlvE1_clEvEUlN3c104HalfEE_St5arrayIPcLm2EEEEviT0_T1_.private_seg_size, 0+max(.L_ZN2at6native25elementwise_kernel_helperILb0EZZZNS0_15sin_kernel_cudaERNS_18TensorIteratorBaseEENKUlvE0_clEvENKUlvE1_clEvEUlN3c104HalfEE_NS0_6memory8policies11unroll_baseILi256ESt5arrayIPcLm2EE23TrivialOffsetCalculatorILi1EjESG_NS9_15LoadWithoutCastENS9_16StoreWithoutCastELi8ELi1EEEEEvT0_T1_.private_seg_size)
	.set _ZN2at6native29vectorized_elementwise_kernelILi4EZZZNS0_15sin_kernel_cudaERNS_18TensorIteratorBaseEENKUlvE0_clEvENKUlvE1_clEvEUlN3c104HalfEE_St5arrayIPcLm2EEEEviT0_T1_.uses_vcc, or(1, .L_ZN2at6native25elementwise_kernel_helperILb0EZZZNS0_15sin_kernel_cudaERNS_18TensorIteratorBaseEENKUlvE0_clEvENKUlvE1_clEvEUlN3c104HalfEE_NS0_6memory8policies11unroll_baseILi256ESt5arrayIPcLm2EE23TrivialOffsetCalculatorILi1EjESG_NS9_15LoadWithoutCastENS9_16StoreWithoutCastELi8ELi1EEEEEvT0_T1_.uses_vcc)
	.set _ZN2at6native29vectorized_elementwise_kernelILi4EZZZNS0_15sin_kernel_cudaERNS_18TensorIteratorBaseEENKUlvE0_clEvENKUlvE1_clEvEUlN3c104HalfEE_St5arrayIPcLm2EEEEviT0_T1_.uses_flat_scratch, or(0, .L_ZN2at6native25elementwise_kernel_helperILb0EZZZNS0_15sin_kernel_cudaERNS_18TensorIteratorBaseEENKUlvE0_clEvENKUlvE1_clEvEUlN3c104HalfEE_NS0_6memory8policies11unroll_baseILi256ESt5arrayIPcLm2EE23TrivialOffsetCalculatorILi1EjESG_NS9_15LoadWithoutCastENS9_16StoreWithoutCastELi8ELi1EEEEEvT0_T1_.uses_flat_scratch)
	.set _ZN2at6native29vectorized_elementwise_kernelILi4EZZZNS0_15sin_kernel_cudaERNS_18TensorIteratorBaseEENKUlvE0_clEvENKUlvE1_clEvEUlN3c104HalfEE_St5arrayIPcLm2EEEEviT0_T1_.has_dyn_sized_stack, or(0, .L_ZN2at6native25elementwise_kernel_helperILb0EZZZNS0_15sin_kernel_cudaERNS_18TensorIteratorBaseEENKUlvE0_clEvENKUlvE1_clEvEUlN3c104HalfEE_NS0_6memory8policies11unroll_baseILi256ESt5arrayIPcLm2EE23TrivialOffsetCalculatorILi1EjESG_NS9_15LoadWithoutCastENS9_16StoreWithoutCastELi8ELi1EEEEEvT0_T1_.has_dyn_sized_stack)
	.set _ZN2at6native29vectorized_elementwise_kernelILi4EZZZNS0_15sin_kernel_cudaERNS_18TensorIteratorBaseEENKUlvE0_clEvENKUlvE1_clEvEUlN3c104HalfEE_St5arrayIPcLm2EEEEviT0_T1_.has_recursion, or(0, .L_ZN2at6native25elementwise_kernel_helperILb0EZZZNS0_15sin_kernel_cudaERNS_18TensorIteratorBaseEENKUlvE0_clEvENKUlvE1_clEvEUlN3c104HalfEE_NS0_6memory8policies11unroll_baseILi256ESt5arrayIPcLm2EE23TrivialOffsetCalculatorILi1EjESG_NS9_15LoadWithoutCastENS9_16StoreWithoutCastELi8ELi1EEEEEvT0_T1_.has_recursion)
	.set _ZN2at6native29vectorized_elementwise_kernelILi4EZZZNS0_15sin_kernel_cudaERNS_18TensorIteratorBaseEENKUlvE0_clEvENKUlvE1_clEvEUlN3c104HalfEE_St5arrayIPcLm2EEEEviT0_T1_.has_indirect_call, or(0, .L_ZN2at6native25elementwise_kernel_helperILb0EZZZNS0_15sin_kernel_cudaERNS_18TensorIteratorBaseEENKUlvE0_clEvENKUlvE1_clEvEUlN3c104HalfEE_NS0_6memory8policies11unroll_baseILi256ESt5arrayIPcLm2EE23TrivialOffsetCalculatorILi1EjESG_NS9_15LoadWithoutCastENS9_16StoreWithoutCastELi8ELi1EEEEEvT0_T1_.has_indirect_call)
	.section	.AMDGPU.csdata,"",@progbits
; Kernel info:
; codeLenInByte = 7792
; TotalNumSgprs: 35
; NumVgprs: 56
; ScratchSize: 0
; MemoryBound: 0
; FloatMode: 240
; IeeeMode: 1
; LDSByteSize: 0 bytes/workgroup (compile time only)
; SGPRBlocks: 0
; VGPRBlocks: 3
; NumSGPRsForWavesPerEU: 35
; NumVGPRsForWavesPerEU: 56
; NamedBarCnt: 0
; Occupancy: 16
; WaveLimiterHint : 1
; COMPUTE_PGM_RSRC2:SCRATCH_EN: 0
; COMPUTE_PGM_RSRC2:USER_SGPR: 2
; COMPUTE_PGM_RSRC2:TRAP_HANDLER: 0
; COMPUTE_PGM_RSRC2:TGID_X_EN: 1
; COMPUTE_PGM_RSRC2:TGID_Y_EN: 0
; COMPUTE_PGM_RSRC2:TGID_Z_EN: 0
; COMPUTE_PGM_RSRC2:TIDIG_COMP_CNT: 0
	.section	.text._ZN2at6native29vectorized_elementwise_kernelILi2EZZZNS0_15sin_kernel_cudaERNS_18TensorIteratorBaseEENKUlvE0_clEvENKUlvE1_clEvEUlN3c104HalfEE_St5arrayIPcLm2EEEEviT0_T1_,"axG",@progbits,_ZN2at6native29vectorized_elementwise_kernelILi2EZZZNS0_15sin_kernel_cudaERNS_18TensorIteratorBaseEENKUlvE0_clEvENKUlvE1_clEvEUlN3c104HalfEE_St5arrayIPcLm2EEEEviT0_T1_,comdat
	.globl	_ZN2at6native29vectorized_elementwise_kernelILi2EZZZNS0_15sin_kernel_cudaERNS_18TensorIteratorBaseEENKUlvE0_clEvENKUlvE1_clEvEUlN3c104HalfEE_St5arrayIPcLm2EEEEviT0_T1_ ; -- Begin function _ZN2at6native29vectorized_elementwise_kernelILi2EZZZNS0_15sin_kernel_cudaERNS_18TensorIteratorBaseEENKUlvE0_clEvENKUlvE1_clEvEUlN3c104HalfEE_St5arrayIPcLm2EEEEviT0_T1_
	.p2align	8
	.type	_ZN2at6native29vectorized_elementwise_kernelILi2EZZZNS0_15sin_kernel_cudaERNS_18TensorIteratorBaseEENKUlvE0_clEvENKUlvE1_clEvEUlN3c104HalfEE_St5arrayIPcLm2EEEEviT0_T1_,@function
_ZN2at6native29vectorized_elementwise_kernelILi2EZZZNS0_15sin_kernel_cudaERNS_18TensorIteratorBaseEENKUlvE0_clEvENKUlvE1_clEvEUlN3c104HalfEE_St5arrayIPcLm2EEEEviT0_T1_: ; @_ZN2at6native29vectorized_elementwise_kernelILi2EZZZNS0_15sin_kernel_cudaERNS_18TensorIteratorBaseEENKUlvE0_clEvENKUlvE1_clEvEUlN3c104HalfEE_St5arrayIPcLm2EEEEviT0_T1_
; %bb.0:
	s_clause 0x1
	s_load_b32 s2, s[0:1], 0x0
	s_load_b128 s[4:7], s[0:1], 0x8
	s_wait_xcnt 0x0
	s_bfe_u32 s0, ttmp6, 0x4000c
	s_and_b32 s1, ttmp6, 15
	s_add_co_i32 s0, s0, 1
	s_getreg_b32 s3, hwreg(HW_REG_IB_STS2, 6, 4)
	s_mul_i32 s0, ttmp9, s0
	s_mov_b32 s32, 0
	s_add_co_i32 s1, s1, s0
	s_cmp_eq_u32 s3, 0
	s_cselect_b32 s0, ttmp9, s1
	s_mov_b32 s1, -1
	s_lshl_b32 s0, s0, 11
	s_wait_kmcnt 0x0
	s_sub_co_i32 s9, s2, s0
	s_delay_alu instid0(SALU_CYCLE_1)
	s_cmp_gt_i32 s9, 0x7ff
	s_cbranch_scc1 .LBB21_3
; %bb.1:
	s_and_b32 vcc_lo, exec_lo, s1
	s_cbranch_vccnz .LBB21_36
.LBB21_2:
	s_sendmsg sendmsg(MSG_DEALLOC_VGPRS)
	s_endpgm
.LBB21_3:
	s_ashr_i32 s1, s0, 31
	v_mov_b32_e32 v3, 0
	s_lshl_b64 s[2:3], s[0:1], 1
                                        ; implicit-def: $vgpr12
                                        ; implicit-def: $vgpr2
	s_delay_alu instid0(SALU_CYCLE_1)
	s_add_nc_u64 s[0:1], s[6:7], s[2:3]
	s_clause 0x3
	global_load_b32 v4, v0, s[0:1] scale_offset
	global_load_b32 v5, v0, s[0:1] offset:1024 scale_offset
	global_load_b32 v7, v0, s[0:1] offset:2048 scale_offset
	;; [unrolled: 1-line block ×3, first 2 shown]
	s_wait_xcnt 0x0
	s_mov_b32 s1, exec_lo
	s_wait_loadcnt 0x3
	v_cvt_f32_f16_e32 v1, v4
	s_delay_alu instid0(VALU_DEP_1)
	v_and_b32_e32 v10, 0x7fffffff, v1
	v_cmpx_ngt_f32_e64 0x48000000, |v1|
	s_xor_b32 s8, exec_lo, s1
	s_cbranch_execz .LBB21_5
; %bb.4:
	s_mov_b32 s0, 0x7fffff
	v_dual_mov_b32 v23, v3 :: v_dual_lshrrev_b32 v6, 23, v10
	v_and_or_b32 v2, v10, s0, 0x800000
	s_mov_b64 s[0:1], 0xfe5163ab
	s_delay_alu instid0(VALU_DEP_2) | instskip(NEXT) | instid1(VALU_DEP_2)
	v_dual_mov_b32 v25, v3 :: v_dual_add_nc_u32 v6, 0xffffff88, v6
	v_mul_u64_e32 v[12:13], s[0:1], v[2:3]
	v_mov_b32_e32 v15, v3
	s_delay_alu instid0(VALU_DEP_3) | instskip(SKIP_1) | instid1(VALU_DEP_1)
	v_cmp_lt_u32_e32 vcc_lo, 63, v6
	v_cndmask_b32_e64 v8, 0, 0xffffffc0, vcc_lo
	v_add_nc_u32_e32 v6, v8, v6
	s_delay_alu instid0(VALU_DEP_1) | instskip(NEXT) | instid1(VALU_DEP_1)
	v_cmp_lt_u32_e64 s0, 31, v6
	v_cndmask_b32_e64 v8, 0, 0xffffffe0, s0
	s_delay_alu instid0(VALU_DEP_1) | instskip(NEXT) | instid1(VALU_DEP_1)
	v_dual_add_nc_u32 v6, v8, v6 :: v_dual_mov_b32 v14, v13
	v_cmp_lt_u32_e64 s1, 31, v6
	s_delay_alu instid0(VALU_DEP_2) | instskip(SKIP_1) | instid1(VALU_DEP_3)
	v_mad_nc_u64_u32 v[14:15], 0x3c439041, v2, v[14:15]
	v_mov_b32_e32 v17, v3
	v_cndmask_b32_e64 v8, 0, 0xffffffe0, s1
	s_delay_alu instid0(VALU_DEP_3) | instskip(NEXT) | instid1(VALU_DEP_1)
	v_mov_b32_e32 v16, v15
	v_mad_nc_u64_u32 v[16:17], 0xdb629599, v2, v[16:17]
	s_delay_alu instid0(VALU_DEP_1) | instskip(NEXT) | instid1(VALU_DEP_1)
	v_dual_mov_b32 v19, v3 :: v_dual_mov_b32 v18, v17
	v_mad_nc_u64_u32 v[18:19], 0xf534ddc0, v2, v[18:19]
	s_delay_alu instid0(VALU_DEP_1) | instskip(NEXT) | instid1(VALU_DEP_1)
	v_dual_mov_b32 v21, v3 :: v_dual_mov_b32 v20, v19
	v_mad_nc_u64_u32 v[20:21], 0xfc2757d1, v2, v[20:21]
	s_delay_alu instid0(VALU_DEP_1) | instskip(NEXT) | instid1(VALU_DEP_1)
	v_dual_mov_b32 v22, v21 :: v_dual_cndmask_b32 v13, v20, v16
	v_mad_nc_u64_u32 v[22:23], 0x4e441529, v2, v[22:23]
	s_delay_alu instid0(VALU_DEP_1) | instskip(NEXT) | instid1(VALU_DEP_1)
	v_dual_mov_b32 v24, v23 :: v_dual_cndmask_b32 v11, v22, v18
	v_mad_nc_u64_u32 v[2:3], 0xa2f9836e, v2, v[24:25]
	s_delay_alu instid0(VALU_DEP_1) | instskip(SKIP_2) | instid1(VALU_DEP_3)
	v_dual_cndmask_b32 v2, v2, v20 :: v_dual_cndmask_b32 v3, v3, v22
	v_add_nc_u32_e32 v6, v8, v6
	v_cndmask_b32_e32 v8, v18, v14, vcc_lo
	v_dual_cndmask_b32 v14, v2, v11, s0 :: v_dual_cndmask_b32 v2, v3, v2, s0
	s_delay_alu instid0(VALU_DEP_3) | instskip(NEXT) | instid1(VALU_DEP_2)
	v_dual_cndmask_b32 v3, v11, v13, s0 :: v_dual_sub_nc_u32 v11, 32, v6
	v_dual_cndmask_b32 v13, v13, v8, s0 :: v_dual_cndmask_b32 v2, v2, v14, s1
	s_delay_alu instid0(VALU_DEP_1) | instskip(NEXT) | instid1(VALU_DEP_1)
	v_dual_cndmask_b32 v14, v14, v3, s1 :: v_dual_cndmask_b32 v3, v3, v13, s1
	v_alignbit_b32 v15, v2, v14, v11
	v_cndmask_b32_e32 v12, v16, v12, vcc_lo
	v_cmp_eq_u32_e32 vcc_lo, 0, v6
	s_delay_alu instid0(VALU_DEP_4) | instskip(NEXT) | instid1(VALU_DEP_3)
	v_alignbit_b32 v16, v14, v3, v11
	v_dual_cndmask_b32 v2, v15, v2, vcc_lo :: v_dual_cndmask_b32 v6, v8, v12, s0
	s_delay_alu instid0(VALU_DEP_2) | instskip(NEXT) | instid1(VALU_DEP_2)
	v_cndmask_b32_e32 v8, v16, v14, vcc_lo
	v_bfe_u32 v12, v2, 29, 1
	s_delay_alu instid0(VALU_DEP_1) | instskip(NEXT) | instid1(VALU_DEP_3)
	v_dual_sub_nc_u32 v14, 0, v12 :: v_dual_cndmask_b32 v6, v13, v6, s1
	v_alignbit_b32 v13, v2, v8, 30
	s_delay_alu instid0(VALU_DEP_2) | instskip(NEXT) | instid1(VALU_DEP_1)
	v_alignbit_b32 v11, v3, v6, v11
	v_dual_cndmask_b32 v3, v11, v3, vcc_lo :: v_dual_bitop2_b32 v13, v13, v14 bitop3:0x14
	s_delay_alu instid0(VALU_DEP_1) | instskip(NEXT) | instid1(VALU_DEP_2)
	v_clz_i32_u32_e32 v11, v13
	v_alignbit_b32 v8, v8, v3, 30
	s_delay_alu instid0(VALU_DEP_2) | instskip(SKIP_1) | instid1(VALU_DEP_2)
	v_min_u32_e32 v11, 32, v11
	v_alignbit_b32 v3, v3, v6, 30
	v_dual_sub_nc_u32 v8, 31, v11 :: v_dual_bitop2_b32 v6, v8, v14 bitop3:0x14
	s_delay_alu instid0(VALU_DEP_2) | instskip(SKIP_1) | instid1(VALU_DEP_3)
	v_xor_b32_e32 v3, v3, v14
	v_dual_lshrrev_b32 v14, 29, v2 :: v_dual_lshlrev_b32 v15, 23, v11
	v_alignbit_b32 v13, v13, v6, v8
	s_delay_alu instid0(VALU_DEP_3) | instskip(NEXT) | instid1(VALU_DEP_3)
	v_alignbit_b32 v3, v6, v3, v8
	v_lshlrev_b32_e32 v6, 31, v14
	s_delay_alu instid0(VALU_DEP_2) | instskip(NEXT) | instid1(VALU_DEP_2)
	v_alignbit_b32 v8, v13, v3, 9
	v_dual_lshrrev_b32 v13, 9, v13 :: v_dual_bitop2_b32 v14, 0.5, v6 bitop3:0x54
	v_or_b32_e32 v6, 0x33000000, v6
	s_delay_alu instid0(VALU_DEP_3) | instskip(NEXT) | instid1(VALU_DEP_3)
	v_clz_i32_u32_e32 v16, v8
	v_sub_nc_u32_e32 v14, v14, v15
	s_delay_alu instid0(VALU_DEP_2) | instskip(NEXT) | instid1(VALU_DEP_1)
	v_min_u32_e32 v15, 32, v16
	v_add_lshl_u32 v11, v15, v11, 23
	s_delay_alu instid0(VALU_DEP_3) | instskip(SKIP_1) | instid1(VALU_DEP_3)
	v_or_b32_e32 v13, v13, v14
	v_not_b32_e32 v14, v15
	v_sub_nc_u32_e32 v6, v6, v11
	s_delay_alu instid0(VALU_DEP_2) | instskip(NEXT) | instid1(VALU_DEP_1)
	v_alignbit_b32 v3, v8, v3, v14
	v_dual_mul_f32 v16, 0x3fc90fda, v13 :: v_dual_lshrrev_b32 v3, 9, v3
	s_delay_alu instid0(VALU_DEP_1) | instskip(NEXT) | instid1(VALU_DEP_2)
	v_fma_f32 v8, 0x3fc90fda, v13, -v16
	v_or_b32_e32 v3, v6, v3
	s_delay_alu instid0(VALU_DEP_2) | instskip(NEXT) | instid1(VALU_DEP_1)
	v_fmamk_f32 v8, v13, 0x33a22168, v8
	v_dual_fmac_f32 v8, 0x3fc90fda, v3 :: v_dual_lshrrev_b32 v3, 30, v2
	s_delay_alu instid0(VALU_DEP_1) | instskip(NEXT) | instid1(VALU_DEP_2)
	v_add_f32_e32 v2, v16, v8
	v_add_nc_u32_e32 v12, v12, v3
.LBB21_5:
	s_and_not1_saveexec_b32 s0, s8
; %bb.6:
	v_mul_f32_e64 v2, 0x3f22f983, |v1|
	s_delay_alu instid0(VALU_DEP_1) | instskip(NEXT) | instid1(VALU_DEP_1)
	v_rndne_f32_e32 v3, v2
	v_fma_f32 v2, 0xbfc90fda, v3, |v1|
	v_cvt_i32_f32_e32 v12, v3
	s_delay_alu instid0(VALU_DEP_2) | instskip(NEXT) | instid1(VALU_DEP_1)
	v_fmamk_f32 v2, v3, 0xb3a22168, v2
	v_fmamk_f32 v2, v3, 0xa7c234c4, v2
; %bb.7:
	s_or_b32 exec_lo, exec_lo, s0
	v_lshrrev_b32_e32 v3, 16, v4
                                        ; implicit-def: $vgpr16
	s_mov_b32 s1, exec_lo
	s_delay_alu instid0(VALU_DEP_1) | instskip(NEXT) | instid1(VALU_DEP_1)
	v_cvt_f32_f16_e32 v11, v3
	v_and_b32_e32 v13, 0x7fffffff, v11
	v_cmpx_ngt_f32_e64 0x48000000, |v11|
	s_xor_b32 s8, exec_lo, s1
	s_cbranch_execz .LBB21_9
; %bb.8:
	s_mov_b32 s0, 0x7fffff
	v_mov_b32_e32 v15, 0
	v_and_or_b32 v14, v13, s0, 0x800000
	s_mov_b64 s[0:1], 0xfe5163ab
	v_lshrrev_b32_e32 v3, 23, v13
	s_delay_alu instid0(VALU_DEP_2) | instskip(NEXT) | instid1(VALU_DEP_1)
	v_mul_u64_e32 v[16:17], s[0:1], v[14:15]
	v_dual_mov_b32 v18, v17 :: v_dual_mov_b32 v19, v15
	v_dual_mov_b32 v21, v15 :: v_dual_mov_b32 v23, v15
	v_dual_mov_b32 v25, v15 :: v_dual_mov_b32 v29, v15
	s_delay_alu instid0(VALU_DEP_3) | instskip(NEXT) | instid1(VALU_DEP_1)
	v_mad_nc_u64_u32 v[18:19], 0x3c439041, v14, v[18:19]
	v_mov_b32_e32 v20, v19
	s_delay_alu instid0(VALU_DEP_1) | instskip(NEXT) | instid1(VALU_DEP_1)
	v_mad_nc_u64_u32 v[20:21], 0xdb629599, v14, v[20:21]
	v_mov_b32_e32 v22, v21
	s_delay_alu instid0(VALU_DEP_1) | instskip(NEXT) | instid1(VALU_DEP_1)
	;; [unrolled: 3-line block ×3, first 2 shown]
	v_mad_nc_u64_u32 v[24:25], 0xfc2757d1, v14, v[24:25]
	v_dual_mov_b32 v27, v15 :: v_dual_mov_b32 v26, v25
	s_delay_alu instid0(VALU_DEP_1) | instskip(NEXT) | instid1(VALU_DEP_1)
	v_mad_nc_u64_u32 v[26:27], 0x4e441529, v14, v[26:27]
	v_dual_mov_b32 v28, v27 :: v_dual_add_nc_u32 v3, 0xffffff88, v3
	s_delay_alu instid0(VALU_DEP_1) | instskip(NEXT) | instid1(VALU_DEP_2)
	v_cmp_lt_u32_e32 vcc_lo, 63, v3
	v_mad_nc_u64_u32 v[14:15], 0xa2f9836e, v14, v[28:29]
	v_cndmask_b32_e64 v4, 0, 0xffffffc0, vcc_lo
	v_dual_cndmask_b32 v6, v26, v22, vcc_lo :: v_dual_cndmask_b32 v16, v20, v16, vcc_lo
	s_delay_alu instid0(VALU_DEP_2) | instskip(NEXT) | instid1(VALU_DEP_1)
	v_add_nc_u32_e32 v3, v4, v3
	v_cmp_lt_u32_e64 s0, 31, v3
	v_dual_cndmask_b32 v8, v14, v24, vcc_lo :: v_dual_cndmask_b32 v14, v15, v26, vcc_lo
	v_cndmask_b32_e32 v15, v24, v20, vcc_lo
	s_delay_alu instid0(VALU_DEP_3) | instskip(NEXT) | instid1(VALU_DEP_1)
	v_cndmask_b32_e64 v4, 0, 0xffffffe0, s0
	v_add_nc_u32_e32 v3, v4, v3
	s_delay_alu instid0(VALU_DEP_1) | instskip(NEXT) | instid1(VALU_DEP_1)
	v_cmp_lt_u32_e64 s1, 31, v3
	v_cndmask_b32_e64 v4, 0, 0xffffffe0, s1
	s_delay_alu instid0(VALU_DEP_1) | instskip(SKIP_1) | instid1(VALU_DEP_2)
	v_dual_cndmask_b32 v4, v22, v18 :: v_dual_add_nc_u32 v3, v4, v3
	v_dual_cndmask_b32 v17, v8, v6, s0 :: v_dual_cndmask_b32 v6, v6, v15, s0
	v_dual_cndmask_b32 v8, v14, v8, s0 :: v_dual_sub_nc_u32 v14, 32, v3
	s_delay_alu instid0(VALU_DEP_3) | instskip(SKIP_2) | instid1(VALU_DEP_4)
	v_cndmask_b32_e64 v15, v15, v4, s0
	v_cmp_eq_u32_e32 vcc_lo, 0, v3
	v_cndmask_b32_e64 v4, v4, v16, s0
	v_dual_cndmask_b32 v8, v8, v17, s1 :: v_dual_cndmask_b32 v17, v17, v6, s1
	s_delay_alu instid0(VALU_DEP_4) | instskip(NEXT) | instid1(VALU_DEP_2)
	v_cndmask_b32_e64 v6, v6, v15, s1
	v_alignbit_b32 v18, v8, v17, v14
	s_delay_alu instid0(VALU_DEP_2) | instskip(NEXT) | instid1(VALU_DEP_1)
	v_alignbit_b32 v19, v17, v6, v14
	v_dual_cndmask_b32 v3, v18, v8 :: v_dual_cndmask_b32 v8, v19, v17
	s_delay_alu instid0(VALU_DEP_1) | instskip(NEXT) | instid1(VALU_DEP_1)
	v_bfe_u32 v16, v3, 29, 1
	v_sub_nc_u32_e32 v17, 0, v16
	v_cndmask_b32_e64 v4, v15, v4, s1
	s_delay_alu instid0(VALU_DEP_4) | instskip(NEXT) | instid1(VALU_DEP_1)
	v_alignbit_b32 v15, v3, v8, 30
	v_xor_b32_e32 v15, v15, v17
	s_delay_alu instid0(VALU_DEP_3) | instskip(NEXT) | instid1(VALU_DEP_1)
	v_alignbit_b32 v14, v6, v4, v14
	v_cndmask_b32_e32 v6, v14, v6, vcc_lo
	s_delay_alu instid0(VALU_DEP_3) | instskip(NEXT) | instid1(VALU_DEP_2)
	v_clz_i32_u32_e32 v14, v15
	v_alignbit_b32 v4, v6, v4, 30
	s_delay_alu instid0(VALU_DEP_2) | instskip(NEXT) | instid1(VALU_DEP_2)
	v_min_u32_e32 v14, 32, v14
	v_xor_b32_e32 v4, v4, v17
	v_alignbit_b32 v8, v8, v6, 30
	s_delay_alu instid0(VALU_DEP_1) | instskip(SKIP_1) | instid1(VALU_DEP_1)
	v_dual_lshlrev_b32 v18, 23, v14 :: v_dual_bitop2_b32 v6, v8, v17 bitop3:0x14
	v_dual_sub_nc_u32 v8, 31, v14 :: v_dual_lshrrev_b32 v17, 29, v3
	v_alignbit_b32 v15, v15, v6, v8
	v_alignbit_b32 v4, v6, v4, v8
	s_delay_alu instid0(VALU_DEP_3) | instskip(NEXT) | instid1(VALU_DEP_2)
	v_lshlrev_b32_e32 v6, 31, v17
	v_alignbit_b32 v8, v15, v4, 9
	s_delay_alu instid0(VALU_DEP_2) | instskip(NEXT) | instid1(VALU_DEP_2)
	v_dual_lshrrev_b32 v15, 9, v15 :: v_dual_bitop2_b32 v17, 0.5, v6 bitop3:0x54
	v_clz_i32_u32_e32 v19, v8
	s_delay_alu instid0(VALU_DEP_2) | instskip(SKIP_1) | instid1(VALU_DEP_3)
	v_sub_nc_u32_e32 v17, v17, v18
	v_or_b32_e32 v6, 0x33000000, v6
	v_min_u32_e32 v18, 32, v19
	s_delay_alu instid0(VALU_DEP_1) | instskip(NEXT) | instid1(VALU_DEP_4)
	v_add_lshl_u32 v14, v18, v14, 23
	v_or_b32_e32 v15, v15, v17
	v_not_b32_e32 v17, v18
	s_delay_alu instid0(VALU_DEP_3) | instskip(NEXT) | instid1(VALU_DEP_2)
	v_sub_nc_u32_e32 v6, v6, v14
	v_alignbit_b32 v4, v8, v4, v17
	s_delay_alu instid0(VALU_DEP_1) | instskip(NEXT) | instid1(VALU_DEP_1)
	v_dual_mul_f32 v19, 0x3fc90fda, v15 :: v_dual_lshrrev_b32 v4, 9, v4
	v_fma_f32 v8, 0x3fc90fda, v15, -v19
	s_delay_alu instid0(VALU_DEP_2) | instskip(NEXT) | instid1(VALU_DEP_2)
	v_or_b32_e32 v4, v6, v4
	v_fmamk_f32 v8, v15, 0x33a22168, v8
	s_delay_alu instid0(VALU_DEP_1) | instskip(NEXT) | instid1(VALU_DEP_1)
	v_fmac_f32_e32 v8, 0x3fc90fda, v4
	v_dual_add_f32 v3, v19, v8 :: v_dual_lshrrev_b32 v4, 30, v3
	s_delay_alu instid0(VALU_DEP_1)
	v_add_nc_u32_e32 v16, v16, v4
.LBB21_9:
	s_and_not1_saveexec_b32 s0, s8
; %bb.10:
	v_mul_f32_e64 v3, 0x3f22f983, |v11|
	s_delay_alu instid0(VALU_DEP_1) | instskip(NEXT) | instid1(VALU_DEP_1)
	v_rndne_f32_e32 v4, v3
	v_fma_f32 v3, 0xbfc90fda, v4, |v11|
	v_cvt_i32_f32_e32 v16, v4
	s_delay_alu instid0(VALU_DEP_2) | instskip(NEXT) | instid1(VALU_DEP_1)
	v_fmamk_f32 v3, v4, 0xb3a22168, v3
	v_fmamk_f32 v3, v4, 0xa7c234c4, v3
; %bb.11:
	s_or_b32 exec_lo, exec_lo, s0
	s_wait_loadcnt 0x2
	v_cvt_f32_f16_e32 v14, v5
                                        ; implicit-def: $vgpr19
                                        ; implicit-def: $vgpr4
	s_mov_b32 s1, exec_lo
	s_delay_alu instid0(VALU_DEP_1)
	v_and_b32_e32 v15, 0x7fffffff, v14
	v_cmpx_ngt_f32_e64 0x48000000, |v14|
	s_xor_b32 s8, exec_lo, s1
	s_cbranch_execz .LBB21_13
; %bb.12:
	s_mov_b32 s0, 0x7fffff
	v_mov_b32_e32 v19, 0
	v_and_or_b32 v18, v15, s0, 0x800000
	s_mov_b64 s[0:1], 0xfe5163ab
	v_lshrrev_b32_e32 v4, 23, v15
	s_delay_alu instid0(VALU_DEP_2) | instskip(NEXT) | instid1(VALU_DEP_1)
	v_mul_u64_e32 v[20:21], s[0:1], v[18:19]
	v_dual_mov_b32 v22, v21 :: v_dual_mov_b32 v23, v19
	v_dual_mov_b32 v25, v19 :: v_dual_mov_b32 v27, v19
	s_delay_alu instid0(VALU_DEP_4) | instskip(SKIP_1) | instid1(VALU_DEP_4)
	v_dual_mov_b32 v29, v19 :: v_dual_add_nc_u32 v4, 0xffffff88, v4
	v_mov_b32_e32 v33, v19
	v_mad_nc_u64_u32 v[22:23], 0x3c439041, v18, v[22:23]
	s_delay_alu instid0(VALU_DEP_3) | instskip(SKIP_1) | instid1(VALU_DEP_3)
	v_cmp_lt_u32_e32 vcc_lo, 63, v4
	v_cndmask_b32_e64 v6, 0, 0xffffffc0, vcc_lo
	v_mov_b32_e32 v24, v23
	s_delay_alu instid0(VALU_DEP_1) | instskip(NEXT) | instid1(VALU_DEP_1)
	v_mad_nc_u64_u32 v[24:25], 0xdb629599, v18, v[24:25]
	v_dual_mov_b32 v26, v25 :: v_dual_cndmask_b32 v20, v24, v20, vcc_lo
	s_delay_alu instid0(VALU_DEP_1) | instskip(NEXT) | instid1(VALU_DEP_1)
	v_mad_nc_u64_u32 v[26:27], 0xf534ddc0, v18, v[26:27]
	v_mov_b32_e32 v28, v27
	s_delay_alu instid0(VALU_DEP_1) | instskip(NEXT) | instid1(VALU_DEP_1)
	v_mad_nc_u64_u32 v[28:29], 0xfc2757d1, v18, v[28:29]
	v_dual_mov_b32 v31, v19 :: v_dual_mov_b32 v30, v29
	s_delay_alu instid0(VALU_DEP_1) | instskip(NEXT) | instid1(VALU_DEP_1)
	v_mad_nc_u64_u32 v[30:31], 0x4e441529, v18, v[30:31]
	v_dual_add_nc_u32 v4, v6, v4 :: v_dual_mov_b32 v32, v31
	s_delay_alu instid0(VALU_DEP_1) | instskip(NEXT) | instid1(VALU_DEP_3)
	v_cmp_lt_u32_e64 s0, 31, v4
	v_cndmask_b32_e32 v8, v30, v26, vcc_lo
	s_delay_alu instid0(VALU_DEP_3) | instskip(NEXT) | instid1(VALU_DEP_3)
	v_mad_nc_u64_u32 v[18:19], 0xa2f9836e, v18, v[32:33]
	v_cndmask_b32_e64 v6, 0, 0xffffffe0, s0
	s_delay_alu instid0(VALU_DEP_1) | instskip(NEXT) | instid1(VALU_DEP_3)
	v_add_nc_u32_e32 v4, v6, v4
	v_dual_cndmask_b32 v17, v18, v28 :: v_dual_cndmask_b32 v18, v19, v30
	s_delay_alu instid0(VALU_DEP_2) | instskip(SKIP_1) | instid1(VALU_DEP_3)
	v_cmp_lt_u32_e64 s1, 31, v4
	v_cndmask_b32_e32 v19, v28, v24, vcc_lo
	v_cndmask_b32_e64 v21, v17, v8, s0
	s_delay_alu instid0(VALU_DEP_3) | instskip(NEXT) | instid1(VALU_DEP_1)
	v_cndmask_b32_e64 v6, 0, 0xffffffe0, s1
	v_dual_cndmask_b32 v8, v8, v19, s0 :: v_dual_add_nc_u32 v4, v6, v4
	v_cndmask_b32_e32 v6, v26, v22, vcc_lo
	s_delay_alu instid0(VALU_DEP_1) | instskip(NEXT) | instid1(VALU_DEP_3)
	v_dual_cndmask_b32 v19, v19, v6, s0 :: v_dual_cndmask_b32 v17, v18, v17, s0
	v_sub_nc_u32_e32 v18, 32, v4
	v_cmp_eq_u32_e32 vcc_lo, 0, v4
	s_delay_alu instid0(VALU_DEP_3) | instskip(NEXT) | instid1(VALU_DEP_4)
	v_cndmask_b32_e64 v17, v17, v21, s1
	v_dual_cndmask_b32 v21, v21, v8, s1 :: v_dual_cndmask_b32 v8, v8, v19, s1
	s_delay_alu instid0(VALU_DEP_1) | instskip(NEXT) | instid1(VALU_DEP_1)
	v_alignbit_b32 v22, v17, v21, v18
	v_cndmask_b32_e32 v4, v22, v17, vcc_lo
	s_delay_alu instid0(VALU_DEP_3) | instskip(NEXT) | instid1(VALU_DEP_1)
	v_alignbit_b32 v23, v21, v8, v18
	v_dual_cndmask_b32 v17, v23, v21, vcc_lo :: v_dual_cndmask_b32 v6, v6, v20, s0
	s_delay_alu instid0(VALU_DEP_3) | instskip(NEXT) | instid1(VALU_DEP_1)
	v_bfe_u32 v20, v4, 29, 1
	v_dual_sub_nc_u32 v21, 0, v20 :: v_dual_cndmask_b32 v6, v19, v6, s1
	s_delay_alu instid0(VALU_DEP_3) | instskip(NEXT) | instid1(VALU_DEP_1)
	v_alignbit_b32 v19, v4, v17, 30
	v_xor_b32_e32 v19, v19, v21
	s_delay_alu instid0(VALU_DEP_3) | instskip(NEXT) | instid1(VALU_DEP_1)
	v_alignbit_b32 v18, v8, v6, v18
	v_cndmask_b32_e32 v8, v18, v8, vcc_lo
	s_delay_alu instid0(VALU_DEP_3) | instskip(NEXT) | instid1(VALU_DEP_2)
	v_clz_i32_u32_e32 v18, v19
	v_alignbit_b32 v17, v17, v8, 30
	s_delay_alu instid0(VALU_DEP_2) | instskip(SKIP_1) | instid1(VALU_DEP_2)
	v_min_u32_e32 v18, 32, v18
	v_alignbit_b32 v6, v8, v6, 30
	v_dual_sub_nc_u32 v17, 31, v18 :: v_dual_bitop2_b32 v8, v17, v21 bitop3:0x14
	s_delay_alu instid0(VALU_DEP_2) | instskip(SKIP_1) | instid1(VALU_DEP_3)
	v_dual_lshrrev_b32 v21, 29, v4 :: v_dual_bitop2_b32 v6, v6, v21 bitop3:0x14
	v_lshlrev_b32_e32 v22, 23, v18
	v_alignbit_b32 v19, v19, v8, v17
	s_delay_alu instid0(VALU_DEP_3) | instskip(NEXT) | instid1(VALU_DEP_4)
	v_alignbit_b32 v6, v8, v6, v17
	v_lshlrev_b32_e32 v8, 31, v21
	s_delay_alu instid0(VALU_DEP_2) | instskip(NEXT) | instid1(VALU_DEP_2)
	v_alignbit_b32 v17, v19, v6, 9
	v_dual_lshrrev_b32 v19, 9, v19 :: v_dual_bitop2_b32 v21, 0.5, v8 bitop3:0x54
	v_or_b32_e32 v8, 0x33000000, v8
	s_delay_alu instid0(VALU_DEP_3) | instskip(NEXT) | instid1(VALU_DEP_3)
	v_clz_i32_u32_e32 v23, v17
	v_sub_nc_u32_e32 v21, v21, v22
	s_delay_alu instid0(VALU_DEP_2) | instskip(NEXT) | instid1(VALU_DEP_1)
	v_min_u32_e32 v22, 32, v23
	v_add_lshl_u32 v18, v22, v18, 23
	s_delay_alu instid0(VALU_DEP_3) | instskip(SKIP_1) | instid1(VALU_DEP_3)
	v_or_b32_e32 v19, v19, v21
	v_not_b32_e32 v21, v22
	v_sub_nc_u32_e32 v8, v8, v18
	s_delay_alu instid0(VALU_DEP_2) | instskip(NEXT) | instid1(VALU_DEP_1)
	v_alignbit_b32 v6, v17, v6, v21
	v_dual_mul_f32 v23, 0x3fc90fda, v19 :: v_dual_lshrrev_b32 v6, 9, v6
	s_delay_alu instid0(VALU_DEP_1) | instskip(NEXT) | instid1(VALU_DEP_2)
	v_fma_f32 v17, 0x3fc90fda, v19, -v23
	v_or_b32_e32 v6, v8, v6
	s_delay_alu instid0(VALU_DEP_2) | instskip(NEXT) | instid1(VALU_DEP_1)
	v_fmamk_f32 v17, v19, 0x33a22168, v17
	v_dual_fmac_f32 v17, 0x3fc90fda, v6 :: v_dual_lshrrev_b32 v6, 30, v4
	s_delay_alu instid0(VALU_DEP_1)
	v_dual_add_f32 v4, v23, v17 :: v_dual_add_nc_u32 v19, v20, v6
.LBB21_13:
	s_and_not1_saveexec_b32 s0, s8
; %bb.14:
	v_mul_f32_e64 v4, 0x3f22f983, |v14|
	s_delay_alu instid0(VALU_DEP_1) | instskip(NEXT) | instid1(VALU_DEP_1)
	v_rndne_f32_e32 v6, v4
	v_fma_f32 v4, 0xbfc90fda, v6, |v14|
	v_cvt_i32_f32_e32 v19, v6
	s_delay_alu instid0(VALU_DEP_2) | instskip(NEXT) | instid1(VALU_DEP_1)
	v_fmamk_f32 v4, v6, 0xb3a22168, v4
	v_fmamk_f32 v4, v6, 0xa7c234c4, v4
; %bb.15:
	s_or_b32 exec_lo, exec_lo, s0
	v_lshrrev_b32_e32 v5, 16, v5
                                        ; implicit-def: $vgpr22
	s_mov_b32 s1, exec_lo
	s_delay_alu instid0(VALU_DEP_1) | instskip(NEXT) | instid1(VALU_DEP_1)
	v_cvt_f32_f16_e32 v17, v5
	v_and_b32_e32 v18, 0x7fffffff, v17
	v_cmpx_ngt_f32_e64 0x48000000, |v17|
	s_xor_b32 s8, exec_lo, s1
	s_cbranch_execz .LBB21_17
; %bb.16:
	s_mov_b32 s0, 0x7fffff
	v_mov_b32_e32 v21, 0
	v_and_or_b32 v20, v18, s0, 0x800000
	s_mov_b64 s[0:1], 0xfe5163ab
	v_lshrrev_b32_e32 v5, 23, v18
	s_delay_alu instid0(VALU_DEP_2) | instskip(NEXT) | instid1(VALU_DEP_1)
	v_mul_u64_e32 v[22:23], s[0:1], v[20:21]
	v_dual_mov_b32 v24, v23 :: v_dual_mov_b32 v25, v21
	v_dual_mov_b32 v27, v21 :: v_dual_mov_b32 v29, v21
	;; [unrolled: 1-line block ×3, first 2 shown]
	s_delay_alu instid0(VALU_DEP_3) | instskip(NEXT) | instid1(VALU_DEP_1)
	v_mad_nc_u64_u32 v[24:25], 0x3c439041, v20, v[24:25]
	v_mov_b32_e32 v26, v25
	s_delay_alu instid0(VALU_DEP_1) | instskip(NEXT) | instid1(VALU_DEP_1)
	v_mad_nc_u64_u32 v[26:27], 0xdb629599, v20, v[26:27]
	v_mov_b32_e32 v28, v27
	s_delay_alu instid0(VALU_DEP_1) | instskip(NEXT) | instid1(VALU_DEP_1)
	;; [unrolled: 3-line block ×3, first 2 shown]
	v_mad_nc_u64_u32 v[30:31], 0xfc2757d1, v20, v[30:31]
	v_dual_mov_b32 v33, v21 :: v_dual_mov_b32 v32, v31
	s_delay_alu instid0(VALU_DEP_1) | instskip(NEXT) | instid1(VALU_DEP_1)
	v_mad_nc_u64_u32 v[32:33], 0x4e441529, v20, v[32:33]
	v_dual_mov_b32 v34, v33 :: v_dual_add_nc_u32 v5, 0xffffff88, v5
	s_delay_alu instid0(VALU_DEP_1) | instskip(NEXT) | instid1(VALU_DEP_2)
	v_cmp_lt_u32_e32 vcc_lo, 63, v5
	v_mad_nc_u64_u32 v[20:21], 0xa2f9836e, v20, v[34:35]
	v_cndmask_b32_e64 v6, 0, 0xffffffc0, vcc_lo
	v_dual_cndmask_b32 v23, v30, v26 :: v_dual_cndmask_b32 v8, v32, v28
	v_cndmask_b32_e32 v22, v26, v22, vcc_lo
	s_delay_alu instid0(VALU_DEP_3) | instskip(NEXT) | instid1(VALU_DEP_1)
	v_add_nc_u32_e32 v5, v6, v5
	v_cmp_lt_u32_e64 s0, 31, v5
	v_dual_cndmask_b32 v20, v20, v30 :: v_dual_cndmask_b32 v21, v21, v32
	s_delay_alu instid0(VALU_DEP_2) | instskip(NEXT) | instid1(VALU_DEP_1)
	v_cndmask_b32_e64 v6, 0, 0xffffffe0, s0
	v_add_nc_u32_e32 v5, v6, v5
	s_delay_alu instid0(VALU_DEP_1) | instskip(NEXT) | instid1(VALU_DEP_1)
	v_cmp_lt_u32_e64 s1, 31, v5
	v_cndmask_b32_e64 v6, 0, 0xffffffe0, s1
	s_delay_alu instid0(VALU_DEP_1) | instskip(SKIP_2) | instid1(VALU_DEP_3)
	v_dual_cndmask_b32 v6, v28, v24 :: v_dual_add_nc_u32 v5, v6, v5
	v_cndmask_b32_e64 v24, v20, v8, s0
	v_dual_cndmask_b32 v20, v21, v20, s0 :: v_dual_cndmask_b32 v8, v8, v23, s0
	v_dual_sub_nc_u32 v21, 32, v5 :: v_dual_cndmask_b32 v23, v23, v6, s0
	v_cmp_eq_u32_e32 vcc_lo, 0, v5
	s_delay_alu instid0(VALU_DEP_3) | instskip(NEXT) | instid1(VALU_DEP_4)
	v_cndmask_b32_e64 v20, v20, v24, s1
	v_dual_cndmask_b32 v24, v24, v8, s1 :: v_dual_cndmask_b32 v6, v6, v22, s0
	s_delay_alu instid0(VALU_DEP_1) | instskip(NEXT) | instid1(VALU_DEP_2)
	v_alignbit_b32 v25, v20, v24, v21
	v_dual_cndmask_b32 v8, v8, v23, s1 :: v_dual_cndmask_b32 v6, v23, v6, s1
	s_delay_alu instid0(VALU_DEP_2) | instskip(NEXT) | instid1(VALU_DEP_2)
	v_cndmask_b32_e32 v5, v25, v20, vcc_lo
	v_alignbit_b32 v26, v24, v8, v21
	s_delay_alu instid0(VALU_DEP_3) | instskip(NEXT) | instid1(VALU_DEP_3)
	v_alignbit_b32 v21, v8, v6, v21
	v_bfe_u32 v22, v5, 29, 1
	s_delay_alu instid0(VALU_DEP_3) | instskip(NEXT) | instid1(VALU_DEP_2)
	v_cndmask_b32_e32 v20, v26, v24, vcc_lo
	v_dual_cndmask_b32 v8, v21, v8, vcc_lo :: v_dual_sub_nc_u32 v24, 0, v22
	s_delay_alu instid0(VALU_DEP_2) | instskip(NEXT) | instid1(VALU_DEP_2)
	v_alignbit_b32 v23, v5, v20, 30
	v_alignbit_b32 v20, v20, v8, 30
	v_alignbit_b32 v6, v8, v6, 30
	s_delay_alu instid0(VALU_DEP_3) | instskip(NEXT) | instid1(VALU_DEP_3)
	v_xor_b32_e32 v23, v23, v24
	v_xor_b32_e32 v8, v20, v24
	s_delay_alu instid0(VALU_DEP_3) | instskip(NEXT) | instid1(VALU_DEP_3)
	v_dual_lshrrev_b32 v24, 29, v5 :: v_dual_bitop2_b32 v6, v6, v24 bitop3:0x14
	v_clz_i32_u32_e32 v21, v23
	s_delay_alu instid0(VALU_DEP_1) | instskip(NEXT) | instid1(VALU_DEP_1)
	v_min_u32_e32 v21, 32, v21
	v_dual_sub_nc_u32 v20, 31, v21 :: v_dual_lshlrev_b32 v25, 23, v21
	s_delay_alu instid0(VALU_DEP_1) | instskip(SKIP_2) | instid1(VALU_DEP_2)
	v_alignbit_b32 v23, v23, v8, v20
	v_alignbit_b32 v6, v8, v6, v20
	v_lshlrev_b32_e32 v8, 31, v24
	v_alignbit_b32 v20, v23, v6, 9
	s_delay_alu instid0(VALU_DEP_2) | instskip(SKIP_1) | instid1(VALU_DEP_3)
	v_dual_lshrrev_b32 v23, 9, v23 :: v_dual_bitop2_b32 v24, 0.5, v8 bitop3:0x54
	v_or_b32_e32 v8, 0x33000000, v8
	v_clz_i32_u32_e32 v26, v20
	s_delay_alu instid0(VALU_DEP_3) | instskip(NEXT) | instid1(VALU_DEP_2)
	v_sub_nc_u32_e32 v24, v24, v25
	v_min_u32_e32 v25, 32, v26
	s_delay_alu instid0(VALU_DEP_1) | instskip(NEXT) | instid1(VALU_DEP_3)
	v_add_lshl_u32 v21, v25, v21, 23
	v_or_b32_e32 v23, v23, v24
	v_not_b32_e32 v24, v25
	s_delay_alu instid0(VALU_DEP_3) | instskip(NEXT) | instid1(VALU_DEP_3)
	v_sub_nc_u32_e32 v8, v8, v21
	v_mul_f32_e32 v26, 0x3fc90fda, v23
	s_delay_alu instid0(VALU_DEP_3) | instskip(NEXT) | instid1(VALU_DEP_2)
	v_alignbit_b32 v6, v20, v6, v24
	v_fma_f32 v20, 0x3fc90fda, v23, -v26
	s_delay_alu instid0(VALU_DEP_2) | instskip(NEXT) | instid1(VALU_DEP_2)
	v_lshrrev_b32_e32 v6, 9, v6
	v_fmamk_f32 v20, v23, 0x33a22168, v20
	s_delay_alu instid0(VALU_DEP_2) | instskip(NEXT) | instid1(VALU_DEP_1)
	v_or_b32_e32 v6, v8, v6
	v_fmac_f32_e32 v20, 0x3fc90fda, v6
	s_delay_alu instid0(VALU_DEP_1) | instskip(NEXT) | instid1(VALU_DEP_1)
	v_dual_add_f32 v5, v26, v20 :: v_dual_lshrrev_b32 v6, 30, v5
	v_add_nc_u32_e32 v22, v22, v6
.LBB21_17:
	s_and_not1_saveexec_b32 s0, s8
; %bb.18:
	v_mul_f32_e64 v5, 0x3f22f983, |v17|
	s_delay_alu instid0(VALU_DEP_1) | instskip(NEXT) | instid1(VALU_DEP_1)
	v_rndne_f32_e32 v6, v5
	v_fma_f32 v5, 0xbfc90fda, v6, |v17|
	v_cvt_i32_f32_e32 v22, v6
	s_delay_alu instid0(VALU_DEP_2) | instskip(NEXT) | instid1(VALU_DEP_1)
	v_fmamk_f32 v5, v6, 0xb3a22168, v5
	v_fmamk_f32 v5, v6, 0xa7c234c4, v5
; %bb.19:
	s_or_b32 exec_lo, exec_lo, s0
	s_wait_loadcnt 0x1
	v_cvt_f32_f16_e32 v20, v7
                                        ; implicit-def: $vgpr25
                                        ; implicit-def: $vgpr6
	s_mov_b32 s1, exec_lo
	s_delay_alu instid0(VALU_DEP_1)
	v_and_b32_e32 v21, 0x7fffffff, v20
	v_cmpx_ngt_f32_e64 0x48000000, |v20|
	s_xor_b32 s8, exec_lo, s1
	s_cbranch_execz .LBB21_21
; %bb.20:
	s_mov_b32 s0, 0x7fffff
	v_mov_b32_e32 v25, 0
	v_and_or_b32 v24, v21, s0, 0x800000
	s_mov_b64 s[0:1], 0xfe5163ab
	v_lshrrev_b32_e32 v6, 23, v21
	s_delay_alu instid0(VALU_DEP_2) | instskip(NEXT) | instid1(VALU_DEP_1)
	v_mul_u64_e32 v[26:27], s[0:1], v[24:25]
	v_dual_mov_b32 v28, v27 :: v_dual_mov_b32 v29, v25
	v_dual_mov_b32 v31, v25 :: v_dual_mov_b32 v33, v25
	s_delay_alu instid0(VALU_DEP_4) | instskip(SKIP_1) | instid1(VALU_DEP_4)
	v_dual_mov_b32 v35, v25 :: v_dual_add_nc_u32 v6, 0xffffff88, v6
	v_mov_b32_e32 v39, v25
	v_mad_nc_u64_u32 v[28:29], 0x3c439041, v24, v[28:29]
	s_delay_alu instid0(VALU_DEP_3) | instskip(SKIP_1) | instid1(VALU_DEP_3)
	v_cmp_lt_u32_e32 vcc_lo, 63, v6
	v_cndmask_b32_e64 v8, 0, 0xffffffc0, vcc_lo
	v_mov_b32_e32 v30, v29
	s_delay_alu instid0(VALU_DEP_1) | instskip(NEXT) | instid1(VALU_DEP_1)
	v_mad_nc_u64_u32 v[30:31], 0xdb629599, v24, v[30:31]
	v_dual_mov_b32 v32, v31 :: v_dual_cndmask_b32 v26, v30, v26, vcc_lo
	s_delay_alu instid0(VALU_DEP_1) | instskip(NEXT) | instid1(VALU_DEP_1)
	v_mad_nc_u64_u32 v[32:33], 0xf534ddc0, v24, v[32:33]
	v_mov_b32_e32 v34, v33
	s_delay_alu instid0(VALU_DEP_1) | instskip(NEXT) | instid1(VALU_DEP_1)
	v_mad_nc_u64_u32 v[34:35], 0xfc2757d1, v24, v[34:35]
	v_dual_mov_b32 v37, v25 :: v_dual_mov_b32 v36, v35
	s_delay_alu instid0(VALU_DEP_2) | instskip(NEXT) | instid1(VALU_DEP_2)
	v_cndmask_b32_e32 v27, v34, v30, vcc_lo
	v_mad_nc_u64_u32 v[36:37], 0x4e441529, v24, v[36:37]
	s_delay_alu instid0(VALU_DEP_1) | instskip(NEXT) | instid1(VALU_DEP_1)
	v_dual_add_nc_u32 v6, v8, v6 :: v_dual_mov_b32 v38, v37
	v_cmp_lt_u32_e64 s0, 31, v6
	s_delay_alu instid0(VALU_DEP_3) | instskip(NEXT) | instid1(VALU_DEP_3)
	v_cndmask_b32_e32 v23, v36, v32, vcc_lo
	v_mad_nc_u64_u32 v[24:25], 0xa2f9836e, v24, v[38:39]
	s_delay_alu instid0(VALU_DEP_3) | instskip(NEXT) | instid1(VALU_DEP_1)
	v_cndmask_b32_e64 v8, 0, 0xffffffe0, s0
	v_dual_cndmask_b32 v25, v25, v36 :: v_dual_add_nc_u32 v6, v8, v6
	s_delay_alu instid0(VALU_DEP_1) | instskip(NEXT) | instid1(VALU_DEP_4)
	v_cmp_lt_u32_e64 s1, 31, v6
	v_cndmask_b32_e32 v24, v24, v34, vcc_lo
	s_delay_alu instid0(VALU_DEP_2) | instskip(NEXT) | instid1(VALU_DEP_1)
	v_cndmask_b32_e64 v8, 0, 0xffffffe0, s1
	v_add_nc_u32_e32 v6, v8, v6
	v_cndmask_b32_e32 v8, v32, v28, vcc_lo
	s_delay_alu instid0(VALU_DEP_4) | instskip(SKIP_1) | instid1(VALU_DEP_3)
	v_cndmask_b32_e64 v28, v24, v23, s0
	v_dual_cndmask_b32 v23, v23, v27, s0 :: v_dual_cndmask_b32 v24, v25, v24, s0
	v_dual_sub_nc_u32 v25, 32, v6 :: v_dual_cndmask_b32 v27, v27, v8, s0
	v_cmp_eq_u32_e32 vcc_lo, 0, v6
	v_cndmask_b32_e64 v8, v8, v26, s0
	s_delay_alu instid0(VALU_DEP_4) | instskip(SKIP_2) | instid1(VALU_DEP_4)
	v_cndmask_b32_e64 v24, v24, v28, s1
	v_cndmask_b32_e64 v28, v28, v23, s1
	;; [unrolled: 1-line block ×4, first 2 shown]
	s_delay_alu instid0(VALU_DEP_3) | instskip(NEXT) | instid1(VALU_DEP_3)
	v_alignbit_b32 v29, v24, v28, v25
	v_alignbit_b32 v30, v28, v23, v25
	s_delay_alu instid0(VALU_DEP_3) | instskip(NEXT) | instid1(VALU_DEP_3)
	v_alignbit_b32 v25, v23, v8, v25
	v_cndmask_b32_e32 v6, v29, v24, vcc_lo
	s_delay_alu instid0(VALU_DEP_2) | instskip(NEXT) | instid1(VALU_DEP_2)
	v_cndmask_b32_e32 v23, v25, v23, vcc_lo
	v_bfe_u32 v26, v6, 29, 1
	v_cndmask_b32_e32 v24, v30, v28, vcc_lo
	s_delay_alu instid0(VALU_DEP_3) | instskip(NEXT) | instid1(VALU_DEP_3)
	v_alignbit_b32 v8, v23, v8, 30
	v_sub_nc_u32_e32 v28, 0, v26
	s_delay_alu instid0(VALU_DEP_3) | instskip(SKIP_1) | instid1(VALU_DEP_3)
	v_alignbit_b32 v27, v6, v24, 30
	v_alignbit_b32 v24, v24, v23, 30
	v_xor_b32_e32 v8, v8, v28
	s_delay_alu instid0(VALU_DEP_3) | instskip(NEXT) | instid1(VALU_DEP_3)
	v_xor_b32_e32 v27, v27, v28
	v_dual_lshrrev_b32 v28, 29, v6 :: v_dual_bitop2_b32 v23, v24, v28 bitop3:0x14
	s_delay_alu instid0(VALU_DEP_2) | instskip(NEXT) | instid1(VALU_DEP_1)
	v_clz_i32_u32_e32 v25, v27
	v_min_u32_e32 v25, 32, v25
	s_delay_alu instid0(VALU_DEP_1) | instskip(NEXT) | instid1(VALU_DEP_1)
	v_dual_sub_nc_u32 v24, 31, v25 :: v_dual_lshlrev_b32 v29, 23, v25
	v_alignbit_b32 v27, v27, v23, v24
	v_alignbit_b32 v8, v23, v8, v24
	v_lshlrev_b32_e32 v23, 31, v28
	s_delay_alu instid0(VALU_DEP_2) | instskip(NEXT) | instid1(VALU_DEP_2)
	v_alignbit_b32 v24, v27, v8, 9
	v_or_b32_e32 v28, 0.5, v23
	v_lshrrev_b32_e32 v27, 9, v27
	v_or_b32_e32 v23, 0x33000000, v23
	s_delay_alu instid0(VALU_DEP_4) | instskip(NEXT) | instid1(VALU_DEP_4)
	v_clz_i32_u32_e32 v30, v24
	v_sub_nc_u32_e32 v28, v28, v29
	s_delay_alu instid0(VALU_DEP_2) | instskip(NEXT) | instid1(VALU_DEP_2)
	v_min_u32_e32 v29, 32, v30
	v_or_b32_e32 v27, v27, v28
	s_delay_alu instid0(VALU_DEP_2) | instskip(SKIP_1) | instid1(VALU_DEP_3)
	v_not_b32_e32 v28, v29
	v_add_lshl_u32 v25, v29, v25, 23
	v_mul_f32_e32 v30, 0x3fc90fda, v27
	s_delay_alu instid0(VALU_DEP_3) | instskip(NEXT) | instid1(VALU_DEP_3)
	v_alignbit_b32 v8, v24, v8, v28
	v_sub_nc_u32_e32 v23, v23, v25
	s_delay_alu instid0(VALU_DEP_3) | instskip(NEXT) | instid1(VALU_DEP_3)
	v_fma_f32 v24, 0x3fc90fda, v27, -v30
	v_lshrrev_b32_e32 v8, 9, v8
	s_delay_alu instid0(VALU_DEP_2) | instskip(NEXT) | instid1(VALU_DEP_2)
	v_fmamk_f32 v24, v27, 0x33a22168, v24
	v_or_b32_e32 v8, v23, v8
	s_delay_alu instid0(VALU_DEP_1) | instskip(NEXT) | instid1(VALU_DEP_1)
	v_fmac_f32_e32 v24, 0x3fc90fda, v8
	v_dual_lshrrev_b32 v8, 30, v6 :: v_dual_add_f32 v6, v30, v24
	s_delay_alu instid0(VALU_DEP_1)
	v_add_nc_u32_e32 v25, v26, v8
.LBB21_21:
	s_and_not1_saveexec_b32 s0, s8
; %bb.22:
	v_mul_f32_e64 v6, 0x3f22f983, |v20|
	s_delay_alu instid0(VALU_DEP_1) | instskip(NEXT) | instid1(VALU_DEP_1)
	v_rndne_f32_e32 v8, v6
	v_fma_f32 v6, 0xbfc90fda, v8, |v20|
	v_cvt_i32_f32_e32 v25, v8
	s_delay_alu instid0(VALU_DEP_2) | instskip(NEXT) | instid1(VALU_DEP_1)
	v_fmamk_f32 v6, v8, 0xb3a22168, v6
	v_fmamk_f32 v6, v8, 0xa7c234c4, v6
; %bb.23:
	s_or_b32 exec_lo, exec_lo, s0
	v_lshrrev_b32_e32 v7, 16, v7
                                        ; implicit-def: $vgpr28
	s_mov_b32 s1, exec_lo
	s_delay_alu instid0(VALU_DEP_1) | instskip(NEXT) | instid1(VALU_DEP_1)
	v_cvt_f32_f16_e32 v23, v7
	v_and_b32_e32 v24, 0x7fffffff, v23
	v_cmpx_ngt_f32_e64 0x48000000, |v23|
	s_xor_b32 s8, exec_lo, s1
	s_cbranch_execz .LBB21_25
; %bb.24:
	s_mov_b32 s0, 0x7fffff
	v_mov_b32_e32 v27, 0
	v_and_or_b32 v26, v24, s0, 0x800000
	s_mov_b64 s[0:1], 0xfe5163ab
	v_lshrrev_b32_e32 v7, 23, v24
	s_delay_alu instid0(VALU_DEP_2) | instskip(NEXT) | instid1(VALU_DEP_1)
	v_mul_u64_e32 v[28:29], s[0:1], v[26:27]
	v_dual_mov_b32 v30, v29 :: v_dual_mov_b32 v31, v27
	v_dual_mov_b32 v33, v27 :: v_dual_mov_b32 v35, v27
	;; [unrolled: 1-line block ×3, first 2 shown]
	s_delay_alu instid0(VALU_DEP_3) | instskip(NEXT) | instid1(VALU_DEP_1)
	v_mad_nc_u64_u32 v[30:31], 0x3c439041, v26, v[30:31]
	v_mov_b32_e32 v32, v31
	s_delay_alu instid0(VALU_DEP_1) | instskip(NEXT) | instid1(VALU_DEP_1)
	v_mad_nc_u64_u32 v[32:33], 0xdb629599, v26, v[32:33]
	v_mov_b32_e32 v34, v33
	s_delay_alu instid0(VALU_DEP_1) | instskip(NEXT) | instid1(VALU_DEP_1)
	;; [unrolled: 3-line block ×3, first 2 shown]
	v_mad_nc_u64_u32 v[36:37], 0xfc2757d1, v26, v[36:37]
	v_dual_mov_b32 v39, v27 :: v_dual_mov_b32 v38, v37
	s_delay_alu instid0(VALU_DEP_1) | instskip(NEXT) | instid1(VALU_DEP_1)
	v_mad_nc_u64_u32 v[38:39], 0x4e441529, v26, v[38:39]
	v_dual_mov_b32 v40, v39 :: v_dual_add_nc_u32 v7, 0xffffff88, v7
	s_delay_alu instid0(VALU_DEP_1) | instskip(NEXT) | instid1(VALU_DEP_2)
	v_cmp_lt_u32_e32 vcc_lo, 63, v7
	v_mad_nc_u64_u32 v[26:27], 0xa2f9836e, v26, v[40:41]
	v_cndmask_b32_e64 v8, 0, 0xffffffc0, vcc_lo
	v_dual_cndmask_b32 v31, v36, v32, vcc_lo :: v_dual_cndmask_b32 v29, v38, v34, vcc_lo
	v_cndmask_b32_e32 v28, v32, v28, vcc_lo
	s_delay_alu instid0(VALU_DEP_3) | instskip(NEXT) | instid1(VALU_DEP_1)
	v_add_nc_u32_e32 v7, v8, v7
	v_cmp_lt_u32_e64 s0, 31, v7
	v_dual_cndmask_b32 v26, v26, v36 :: v_dual_cndmask_b32 v27, v27, v38
	s_delay_alu instid0(VALU_DEP_2) | instskip(NEXT) | instid1(VALU_DEP_1)
	v_cndmask_b32_e64 v8, 0, 0xffffffe0, s0
	v_add_nc_u32_e32 v7, v8, v7
	s_delay_alu instid0(VALU_DEP_1) | instskip(NEXT) | instid1(VALU_DEP_1)
	v_cmp_lt_u32_e64 s1, 31, v7
	v_cndmask_b32_e64 v8, 0, 0xffffffe0, s1
	s_delay_alu instid0(VALU_DEP_1) | instskip(SKIP_2) | instid1(VALU_DEP_3)
	v_dual_cndmask_b32 v8, v34, v30 :: v_dual_add_nc_u32 v7, v8, v7
	v_dual_cndmask_b32 v30, v26, v29, s0 :: v_dual_cndmask_b32 v26, v27, v26, s0
	v_cndmask_b32_e64 v27, v29, v31, s0
	v_dual_sub_nc_u32 v29, 32, v7 :: v_dual_cndmask_b32 v31, v31, v8, s0
	v_cmp_eq_u32_e32 vcc_lo, 0, v7
	s_delay_alu instid0(VALU_DEP_4) | instskip(NEXT) | instid1(VALU_DEP_4)
	v_cndmask_b32_e64 v26, v26, v30, s1
	v_dual_cndmask_b32 v30, v30, v27, s1 :: v_dual_cndmask_b32 v8, v8, v28, s0
	s_delay_alu instid0(VALU_DEP_4) | instskip(NEXT) | instid1(VALU_DEP_2)
	v_cndmask_b32_e64 v27, v27, v31, s1
	v_alignbit_b32 v33, v26, v30, v29
	s_delay_alu instid0(VALU_DEP_3) | instskip(NEXT) | instid1(VALU_DEP_3)
	v_cndmask_b32_e64 v8, v31, v8, s1
	v_alignbit_b32 v32, v30, v27, v29
	s_delay_alu instid0(VALU_DEP_3) | instskip(NEXT) | instid1(VALU_DEP_3)
	v_cndmask_b32_e32 v7, v33, v26, vcc_lo
	v_alignbit_b32 v29, v27, v8, v29
	s_delay_alu instid0(VALU_DEP_3) | instskip(NEXT) | instid1(VALU_DEP_3)
	v_cndmask_b32_e32 v26, v32, v30, vcc_lo
	v_bfe_u32 v28, v7, 29, 1
	s_delay_alu instid0(VALU_DEP_3) | instskip(NEXT) | instid1(VALU_DEP_3)
	v_cndmask_b32_e32 v27, v29, v27, vcc_lo
	v_alignbit_b32 v30, v7, v26, 30
	s_delay_alu instid0(VALU_DEP_3) | instskip(NEXT) | instid1(VALU_DEP_3)
	v_sub_nc_u32_e32 v31, 0, v28
	v_alignbit_b32 v26, v26, v27, 30
	v_alignbit_b32 v8, v27, v8, 30
	s_delay_alu instid0(VALU_DEP_3) | instskip(NEXT) | instid1(VALU_DEP_2)
	v_xor_b32_e32 v30, v30, v31
	v_xor_b32_e32 v8, v8, v31
	s_delay_alu instid0(VALU_DEP_2) | instskip(NEXT) | instid1(VALU_DEP_1)
	v_clz_i32_u32_e32 v29, v30
	v_min_u32_e32 v29, 32, v29
	s_delay_alu instid0(VALU_DEP_1) | instskip(SKIP_1) | instid1(VALU_DEP_1)
	v_dual_lshlrev_b32 v32, 23, v29 :: v_dual_bitop2_b32 v26, v26, v31 bitop3:0x14
	v_sub_nc_u32_e32 v27, 31, v29
	v_alignbit_b32 v30, v30, v26, v27
	v_lshrrev_b32_e32 v31, 29, v7
	v_alignbit_b32 v8, v26, v8, v27
	s_delay_alu instid0(VALU_DEP_1) | instskip(NEXT) | instid1(VALU_DEP_3)
	v_alignbit_b32 v27, v30, v8, 9
	v_dual_lshrrev_b32 v30, 9, v30 :: v_dual_lshlrev_b32 v26, 31, v31
	s_delay_alu instid0(VALU_DEP_2) | instskip(NEXT) | instid1(VALU_DEP_2)
	v_clz_i32_u32_e32 v33, v27
	v_or_b32_e32 v31, 0.5, v26
	v_or_b32_e32 v26, 0x33000000, v26
	s_delay_alu instid0(VALU_DEP_2) | instskip(NEXT) | instid1(VALU_DEP_4)
	v_sub_nc_u32_e32 v31, v31, v32
	v_min_u32_e32 v32, 32, v33
	s_delay_alu instid0(VALU_DEP_2) | instskip(NEXT) | instid1(VALU_DEP_2)
	v_or_b32_e32 v30, v30, v31
	v_not_b32_e32 v31, v32
	v_add_lshl_u32 v29, v32, v29, 23
	s_delay_alu instid0(VALU_DEP_2) | instskip(NEXT) | instid1(VALU_DEP_1)
	v_alignbit_b32 v8, v27, v8, v31
	v_dual_sub_nc_u32 v26, v26, v29 :: v_dual_lshrrev_b32 v8, 9, v8
	v_mul_f32_e32 v33, 0x3fc90fda, v30
	s_delay_alu instid0(VALU_DEP_2) | instskip(NEXT) | instid1(VALU_DEP_2)
	v_or_b32_e32 v8, v26, v8
	v_fma_f32 v27, 0x3fc90fda, v30, -v33
	s_delay_alu instid0(VALU_DEP_1) | instskip(NEXT) | instid1(VALU_DEP_1)
	v_fmamk_f32 v27, v30, 0x33a22168, v27
	v_dual_fmac_f32 v27, 0x3fc90fda, v8 :: v_dual_lshrrev_b32 v8, 30, v7
	s_delay_alu instid0(VALU_DEP_1)
	v_dual_add_f32 v7, v33, v27 :: v_dual_add_nc_u32 v28, v28, v8
.LBB21_25:
	s_and_not1_saveexec_b32 s0, s8
; %bb.26:
	v_mul_f32_e64 v7, 0x3f22f983, |v23|
	s_delay_alu instid0(VALU_DEP_1) | instskip(NEXT) | instid1(VALU_DEP_1)
	v_rndne_f32_e32 v8, v7
	v_fma_f32 v7, 0xbfc90fda, v8, |v23|
	v_cvt_i32_f32_e32 v28, v8
	s_delay_alu instid0(VALU_DEP_2) | instskip(NEXT) | instid1(VALU_DEP_1)
	v_fmamk_f32 v7, v8, 0xb3a22168, v7
	v_fmamk_f32 v7, v8, 0xa7c234c4, v7
; %bb.27:
	s_or_b32 exec_lo, exec_lo, s0
	s_wait_loadcnt 0x0
	v_cvt_f32_f16_e32 v26, v9
                                        ; implicit-def: $vgpr31
                                        ; implicit-def: $vgpr8
	s_mov_b32 s1, exec_lo
	s_delay_alu instid0(VALU_DEP_1)
	v_and_b32_e32 v27, 0x7fffffff, v26
	v_cmpx_ngt_f32_e64 0x48000000, |v26|
	s_xor_b32 s8, exec_lo, s1
	s_cbranch_execz .LBB21_29
; %bb.28:
	s_mov_b32 s0, 0x7fffff
	v_mov_b32_e32 v31, 0
	v_and_or_b32 v30, v27, s0, 0x800000
	s_mov_b64 s[0:1], 0xfe5163ab
	v_lshrrev_b32_e32 v8, 23, v27
	s_delay_alu instid0(VALU_DEP_2) | instskip(NEXT) | instid1(VALU_DEP_1)
	v_mul_u64_e32 v[32:33], s[0:1], v[30:31]
	v_dual_mov_b32 v34, v33 :: v_dual_mov_b32 v35, v31
	v_dual_mov_b32 v37, v31 :: v_dual_mov_b32 v39, v31
	s_delay_alu instid0(VALU_DEP_4) | instskip(SKIP_1) | instid1(VALU_DEP_4)
	v_dual_mov_b32 v41, v31 :: v_dual_add_nc_u32 v8, 0xffffff88, v8
	v_mov_b32_e32 v45, v31
	v_mad_nc_u64_u32 v[34:35], 0x3c439041, v30, v[34:35]
	s_delay_alu instid0(VALU_DEP_3) | instskip(SKIP_1) | instid1(VALU_DEP_3)
	v_cmp_lt_u32_e32 vcc_lo, 63, v8
	v_cndmask_b32_e64 v29, 0, 0xffffffc0, vcc_lo
	v_mov_b32_e32 v36, v35
	s_delay_alu instid0(VALU_DEP_1) | instskip(NEXT) | instid1(VALU_DEP_1)
	v_mad_nc_u64_u32 v[36:37], 0xdb629599, v30, v[36:37]
	v_dual_mov_b32 v38, v37 :: v_dual_cndmask_b32 v32, v36, v32, vcc_lo
	s_delay_alu instid0(VALU_DEP_1) | instskip(NEXT) | instid1(VALU_DEP_1)
	v_mad_nc_u64_u32 v[38:39], 0xf534ddc0, v30, v[38:39]
	v_mov_b32_e32 v40, v39
	s_delay_alu instid0(VALU_DEP_1) | instskip(NEXT) | instid1(VALU_DEP_1)
	v_mad_nc_u64_u32 v[40:41], 0xfc2757d1, v30, v[40:41]
	v_dual_mov_b32 v43, v31 :: v_dual_mov_b32 v42, v41
	s_delay_alu instid0(VALU_DEP_2) | instskip(NEXT) | instid1(VALU_DEP_2)
	v_cndmask_b32_e32 v35, v40, v36, vcc_lo
	v_mad_nc_u64_u32 v[42:43], 0x4e441529, v30, v[42:43]
	s_delay_alu instid0(VALU_DEP_1) | instskip(NEXT) | instid1(VALU_DEP_1)
	v_dual_add_nc_u32 v8, v29, v8 :: v_dual_mov_b32 v44, v43
	v_cmp_lt_u32_e64 s0, 31, v8
	s_delay_alu instid0(VALU_DEP_3) | instskip(NEXT) | instid1(VALU_DEP_3)
	v_cndmask_b32_e32 v33, v42, v38, vcc_lo
	v_mad_nc_u64_u32 v[30:31], 0xa2f9836e, v30, v[44:45]
	s_delay_alu instid0(VALU_DEP_3) | instskip(NEXT) | instid1(VALU_DEP_1)
	v_cndmask_b32_e64 v29, 0, 0xffffffe0, s0
	v_add_nc_u32_e32 v8, v29, v8
	s_delay_alu instid0(VALU_DEP_1) | instskip(NEXT) | instid1(VALU_DEP_4)
	v_cmp_lt_u32_e64 s1, 31, v8
	v_dual_cndmask_b32 v30, v30, v40 :: v_dual_cndmask_b32 v31, v31, v42
	s_delay_alu instid0(VALU_DEP_2) | instskip(NEXT) | instid1(VALU_DEP_1)
	v_cndmask_b32_e64 v29, 0, 0xffffffe0, s1
	v_dual_cndmask_b32 v29, v38, v34 :: v_dual_add_nc_u32 v8, v29, v8
	s_delay_alu instid0(VALU_DEP_3) | instskip(NEXT) | instid1(VALU_DEP_2)
	v_dual_cndmask_b32 v34, v30, v33, s0 :: v_dual_cndmask_b32 v30, v31, v30, s0
	v_dual_cndmask_b32 v31, v33, v35, s0 :: v_dual_sub_nc_u32 v33, 32, v8
	s_delay_alu instid0(VALU_DEP_3) | instskip(SKIP_1) | instid1(VALU_DEP_4)
	v_cndmask_b32_e64 v35, v35, v29, s0
	v_cmp_eq_u32_e32 vcc_lo, 0, v8
	v_cndmask_b32_e64 v30, v30, v34, s1
	s_delay_alu instid0(VALU_DEP_4) | instskip(NEXT) | instid1(VALU_DEP_4)
	v_cndmask_b32_e64 v34, v34, v31, s1
	v_cndmask_b32_e64 v31, v31, v35, s1
	s_delay_alu instid0(VALU_DEP_2) | instskip(NEXT) | instid1(VALU_DEP_2)
	v_alignbit_b32 v37, v30, v34, v33
	v_alignbit_b32 v36, v34, v31, v33
	v_cndmask_b32_e64 v29, v29, v32, s0
	s_delay_alu instid0(VALU_DEP_3) | instskip(NEXT) | instid1(VALU_DEP_2)
	v_cndmask_b32_e32 v8, v37, v30, vcc_lo
	v_dual_cndmask_b32 v30, v36, v34, vcc_lo :: v_dual_cndmask_b32 v29, v35, v29, s1
	s_delay_alu instid0(VALU_DEP_2) | instskip(NEXT) | instid1(VALU_DEP_2)
	v_bfe_u32 v32, v8, 29, 1
	v_alignbit_b32 v34, v8, v30, 30
	s_delay_alu instid0(VALU_DEP_3) | instskip(NEXT) | instid1(VALU_DEP_1)
	v_alignbit_b32 v33, v31, v29, v33
	v_dual_sub_nc_u32 v35, 0, v32 :: v_dual_cndmask_b32 v31, v33, v31, vcc_lo
	s_delay_alu instid0(VALU_DEP_1) | instskip(NEXT) | instid1(VALU_DEP_2)
	v_xor_b32_e32 v34, v34, v35
	v_alignbit_b32 v30, v30, v31, 30
	v_alignbit_b32 v29, v31, v29, 30
	s_delay_alu instid0(VALU_DEP_3) | instskip(NEXT) | instid1(VALU_DEP_3)
	v_clz_i32_u32_e32 v33, v34
	v_xor_b32_e32 v30, v30, v35
	s_delay_alu instid0(VALU_DEP_3) | instskip(NEXT) | instid1(VALU_DEP_3)
	v_xor_b32_e32 v29, v29, v35
	v_min_u32_e32 v33, 32, v33
	s_delay_alu instid0(VALU_DEP_1) | instskip(SKIP_1) | instid1(VALU_DEP_2)
	v_dual_lshrrev_b32 v35, 29, v8 :: v_dual_sub_nc_u32 v31, 31, v33
	v_lshlrev_b32_e32 v36, 23, v33
	v_alignbit_b32 v34, v34, v30, v31
	v_alignbit_b32 v29, v30, v29, v31
	s_delay_alu instid0(VALU_DEP_4) | instskip(NEXT) | instid1(VALU_DEP_2)
	v_lshlrev_b32_e32 v30, 31, v35
	v_alignbit_b32 v31, v34, v29, 9
	s_delay_alu instid0(VALU_DEP_2) | instskip(SKIP_2) | instid1(VALU_DEP_4)
	v_or_b32_e32 v35, 0.5, v30
	v_lshrrev_b32_e32 v34, 9, v34
	v_or_b32_e32 v30, 0x33000000, v30
	v_clz_i32_u32_e32 v37, v31
	s_delay_alu instid0(VALU_DEP_4) | instskip(NEXT) | instid1(VALU_DEP_2)
	v_sub_nc_u32_e32 v35, v35, v36
	v_min_u32_e32 v36, 32, v37
	s_delay_alu instid0(VALU_DEP_2) | instskip(NEXT) | instid1(VALU_DEP_2)
	v_or_b32_e32 v34, v34, v35
	v_not_b32_e32 v35, v36
	v_add_lshl_u32 v33, v36, v33, 23
	s_delay_alu instid0(VALU_DEP_2) | instskip(NEXT) | instid1(VALU_DEP_2)
	v_alignbit_b32 v29, v31, v29, v35
	v_sub_nc_u32_e32 v30, v30, v33
	s_delay_alu instid0(VALU_DEP_2) | instskip(SKIP_1) | instid1(VALU_DEP_2)
	v_lshrrev_b32_e32 v29, 9, v29
	v_mul_f32_e32 v37, 0x3fc90fda, v34
	v_or_b32_e32 v29, v30, v29
	s_delay_alu instid0(VALU_DEP_2) | instskip(NEXT) | instid1(VALU_DEP_1)
	v_fma_f32 v31, 0x3fc90fda, v34, -v37
	v_fmamk_f32 v31, v34, 0x33a22168, v31
	s_delay_alu instid0(VALU_DEP_1) | instskip(NEXT) | instid1(VALU_DEP_1)
	v_fmac_f32_e32 v31, 0x3fc90fda, v29
	v_dual_add_f32 v8, v37, v31 :: v_dual_lshrrev_b32 v29, 30, v8
	s_delay_alu instid0(VALU_DEP_1)
	v_add_nc_u32_e32 v31, v32, v29
.LBB21_29:
	s_and_not1_saveexec_b32 s0, s8
; %bb.30:
	v_mul_f32_e64 v8, 0x3f22f983, |v26|
	s_delay_alu instid0(VALU_DEP_1) | instskip(NEXT) | instid1(VALU_DEP_1)
	v_rndne_f32_e32 v29, v8
	v_fma_f32 v8, 0xbfc90fda, v29, |v26|
	v_cvt_i32_f32_e32 v31, v29
	s_delay_alu instid0(VALU_DEP_2) | instskip(NEXT) | instid1(VALU_DEP_1)
	v_fmamk_f32 v8, v29, 0xb3a22168, v8
	v_fmamk_f32 v8, v29, 0xa7c234c4, v8
; %bb.31:
	s_or_b32 exec_lo, exec_lo, s0
	v_lshrrev_b32_e32 v9, 16, v9
                                        ; implicit-def: $vgpr32
	s_mov_b32 s1, exec_lo
	s_delay_alu instid0(VALU_DEP_1) | instskip(NEXT) | instid1(VALU_DEP_1)
	v_cvt_f32_f16_e32 v29, v9
	v_and_b32_e32 v30, 0x7fffffff, v29
	v_cmpx_ngt_f32_e64 0x48000000, |v29|
	s_xor_b32 s8, exec_lo, s1
	s_cbranch_execz .LBB21_33
; %bb.32:
	s_mov_b32 s0, 0x7fffff
	v_mov_b32_e32 v33, 0
	v_and_or_b32 v32, v30, s0, 0x800000
	s_mov_b64 s[0:1], 0xfe5163ab
	v_lshrrev_b32_e32 v9, 23, v30
	s_delay_alu instid0(VALU_DEP_2) | instskip(NEXT) | instid1(VALU_DEP_1)
	v_mul_u64_e32 v[34:35], s[0:1], v[32:33]
	v_dual_mov_b32 v36, v35 :: v_dual_mov_b32 v37, v33
	v_dual_mov_b32 v39, v33 :: v_dual_mov_b32 v41, v33
	v_dual_mov_b32 v43, v33 :: v_dual_mov_b32 v47, v33
	s_delay_alu instid0(VALU_DEP_3) | instskip(NEXT) | instid1(VALU_DEP_1)
	v_mad_nc_u64_u32 v[36:37], 0x3c439041, v32, v[36:37]
	v_mov_b32_e32 v38, v37
	s_delay_alu instid0(VALU_DEP_1) | instskip(NEXT) | instid1(VALU_DEP_1)
	v_mad_nc_u64_u32 v[38:39], 0xdb629599, v32, v[38:39]
	v_mov_b32_e32 v40, v39
	s_delay_alu instid0(VALU_DEP_1) | instskip(NEXT) | instid1(VALU_DEP_1)
	;; [unrolled: 3-line block ×3, first 2 shown]
	v_mad_nc_u64_u32 v[42:43], 0xfc2757d1, v32, v[42:43]
	v_dual_mov_b32 v45, v33 :: v_dual_mov_b32 v44, v43
	s_delay_alu instid0(VALU_DEP_1) | instskip(NEXT) | instid1(VALU_DEP_1)
	v_mad_nc_u64_u32 v[44:45], 0x4e441529, v32, v[44:45]
	v_dual_mov_b32 v46, v45 :: v_dual_add_nc_u32 v9, 0xffffff88, v9
	s_delay_alu instid0(VALU_DEP_1) | instskip(NEXT) | instid1(VALU_DEP_2)
	v_cmp_lt_u32_e32 vcc_lo, 63, v9
	v_mad_nc_u64_u32 v[32:33], 0xa2f9836e, v32, v[46:47]
	v_cndmask_b32_e64 v35, 0, 0xffffffc0, vcc_lo
	v_dual_cndmask_b32 v37, v44, v40 :: v_dual_cndmask_b32 v34, v38, v34
	s_delay_alu instid0(VALU_DEP_2) | instskip(NEXT) | instid1(VALU_DEP_1)
	v_add_nc_u32_e32 v9, v35, v9
	v_cmp_lt_u32_e64 s0, 31, v9
	v_dual_cndmask_b32 v32, v32, v42 :: v_dual_cndmask_b32 v33, v33, v44
	s_delay_alu instid0(VALU_DEP_2) | instskip(NEXT) | instid1(VALU_DEP_1)
	v_cndmask_b32_e64 v35, 0, 0xffffffe0, s0
	v_add_nc_u32_e32 v9, v35, v9
	s_delay_alu instid0(VALU_DEP_1) | instskip(NEXT) | instid1(VALU_DEP_1)
	v_cmp_lt_u32_e64 s1, 31, v9
	v_cndmask_b32_e64 v35, 0, 0xffffffe0, s1
	s_delay_alu instid0(VALU_DEP_1) | instskip(SKIP_2) | instid1(VALU_DEP_3)
	v_dual_cndmask_b32 v39, v42, v38, vcc_lo :: v_dual_add_nc_u32 v9, v35, v9
	v_cndmask_b32_e32 v35, v40, v36, vcc_lo
	v_dual_cndmask_b32 v36, v32, v37, s0 :: v_dual_cndmask_b32 v32, v33, v32, s0
	v_dual_cndmask_b32 v33, v37, v39, s0 :: v_dual_sub_nc_u32 v37, 32, v9
	s_delay_alu instid0(VALU_DEP_3) | instskip(SKIP_1) | instid1(VALU_DEP_4)
	v_cndmask_b32_e64 v39, v39, v35, s0
	v_cmp_eq_u32_e32 vcc_lo, 0, v9
	v_cndmask_b32_e64 v32, v32, v36, s1
	s_delay_alu instid0(VALU_DEP_3) | instskip(NEXT) | instid1(VALU_DEP_1)
	v_dual_cndmask_b32 v36, v36, v33, s1 :: v_dual_cndmask_b32 v33, v33, v39, s1
	v_alignbit_b32 v40, v32, v36, v37
	s_delay_alu instid0(VALU_DEP_2) | instskip(NEXT) | instid1(VALU_DEP_2)
	v_alignbit_b32 v38, v36, v33, v37
	v_dual_cndmask_b32 v9, v40, v32, vcc_lo :: v_dual_cndmask_b32 v32, v35, v34, s0
	s_delay_alu instid0(VALU_DEP_1) | instskip(NEXT) | instid1(VALU_DEP_1)
	v_bfe_u32 v35, v9, 29, 1
	v_dual_cndmask_b32 v34, v38, v36, vcc_lo :: v_dual_sub_nc_u32 v38, 0, v35
	s_delay_alu instid0(VALU_DEP_1) | instskip(NEXT) | instid1(VALU_DEP_1)
	v_alignbit_b32 v36, v9, v34, 30
	v_dual_cndmask_b32 v32, v39, v32, s1 :: v_dual_bitop2_b32 v36, v36, v38 bitop3:0x14
	s_delay_alu instid0(VALU_DEP_1) | instskip(NEXT) | instid1(VALU_DEP_1)
	v_alignbit_b32 v37, v33, v32, v37
	v_cndmask_b32_e32 v33, v37, v33, vcc_lo
	s_delay_alu instid0(VALU_DEP_3) | instskip(NEXT) | instid1(VALU_DEP_2)
	v_clz_i32_u32_e32 v37, v36
	v_alignbit_b32 v32, v33, v32, 30
	s_delay_alu instid0(VALU_DEP_2) | instskip(NEXT) | instid1(VALU_DEP_2)
	v_min_u32_e32 v37, 32, v37
	v_xor_b32_e32 v32, v32, v38
	v_alignbit_b32 v34, v34, v33, 30
	s_delay_alu instid0(VALU_DEP_1) | instskip(SKIP_1) | instid1(VALU_DEP_1)
	v_dual_lshlrev_b32 v39, 23, v37 :: v_dual_bitop2_b32 v33, v34, v38 bitop3:0x14
	v_sub_nc_u32_e32 v34, 31, v37
	v_alignbit_b32 v36, v36, v33, v34
	v_lshrrev_b32_e32 v38, 29, v9
	v_alignbit_b32 v32, v33, v32, v34
	s_delay_alu instid0(VALU_DEP_1) | instskip(NEXT) | instid1(VALU_DEP_3)
	v_alignbit_b32 v34, v36, v32, 9
	v_dual_lshrrev_b32 v36, 9, v36 :: v_dual_lshlrev_b32 v33, 31, v38
	s_delay_alu instid0(VALU_DEP_2) | instskip(NEXT) | instid1(VALU_DEP_2)
	v_clz_i32_u32_e32 v40, v34
	v_or_b32_e32 v38, 0.5, v33
	v_or_b32_e32 v33, 0x33000000, v33
	s_delay_alu instid0(VALU_DEP_2) | instskip(NEXT) | instid1(VALU_DEP_4)
	v_sub_nc_u32_e32 v38, v38, v39
	v_min_u32_e32 v39, 32, v40
	s_delay_alu instid0(VALU_DEP_1) | instskip(NEXT) | instid1(VALU_DEP_1)
	v_add_lshl_u32 v37, v39, v37, 23
	v_dual_sub_nc_u32 v33, v33, v37 :: v_dual_bitop2_b32 v36, v36, v38 bitop3:0x54
	v_not_b32_e32 v38, v39
	s_delay_alu instid0(VALU_DEP_2) | instskip(NEXT) | instid1(VALU_DEP_2)
	v_mul_f32_e32 v40, 0x3fc90fda, v36
	v_alignbit_b32 v32, v34, v32, v38
	s_delay_alu instid0(VALU_DEP_2) | instskip(NEXT) | instid1(VALU_DEP_2)
	v_fma_f32 v34, 0x3fc90fda, v36, -v40
	v_lshrrev_b32_e32 v32, 9, v32
	s_delay_alu instid0(VALU_DEP_2) | instskip(NEXT) | instid1(VALU_DEP_2)
	v_fmamk_f32 v34, v36, 0x33a22168, v34
	v_or_b32_e32 v32, v33, v32
	s_delay_alu instid0(VALU_DEP_1) | instskip(NEXT) | instid1(VALU_DEP_1)
	v_fmac_f32_e32 v34, 0x3fc90fda, v32
	v_dual_add_f32 v9, v40, v34 :: v_dual_lshrrev_b32 v32, 30, v9
	s_delay_alu instid0(VALU_DEP_1)
	v_add_nc_u32_e32 v32, v35, v32
.LBB21_33:
	s_and_not1_saveexec_b32 s0, s8
; %bb.34:
	v_mul_f32_e64 v9, 0x3f22f983, |v29|
	s_delay_alu instid0(VALU_DEP_1) | instskip(NEXT) | instid1(VALU_DEP_1)
	v_rndne_f32_e32 v32, v9
	v_fma_f32 v9, 0xbfc90fda, v32, |v29|
	s_delay_alu instid0(VALU_DEP_1) | instskip(NEXT) | instid1(VALU_DEP_1)
	v_fmamk_f32 v9, v32, 0xb3a22168, v9
	v_fmamk_f32 v9, v32, 0xa7c234c4, v9
	v_cvt_i32_f32_e32 v32, v32
; %bb.35:
	s_or_b32 exec_lo, exec_lo, s0
	v_pk_mul_f32 v[38:39], v[2:3], v[2:3]
	s_mov_b32 s0, 0x3c0881c4
	s_mov_b32 s8, 0xb94c1982
	;; [unrolled: 1-line block ×4, first 2 shown]
	v_pk_fma_f32 v[40:41], v[38:39], s[8:9], s[0:1] op_sel_hi:[1,0,0]
	v_pk_fma_f32 v[42:43], v[38:39], s[12:13], s[10:11] op_sel_hi:[1,0,0]
	s_mov_b32 s14, 0xbe2aaa9d
	s_mov_b32 s16, 0x3d2aabf7
	;; [unrolled: 1-line block ×3, first 2 shown]
	v_pk_fma_f32 v[40:41], v[38:39], v[40:41], s[14:15] op_sel_hi:[1,1,0]
	v_pk_fma_f32 v[42:43], v[38:39], v[42:43], s[16:17] op_sel_hi:[1,1,0]
	v_dual_lshlrev_b32 v48, 30, v25 :: v_dual_bitop2_b32 v46, 1, v32 bitop3:0x40
	v_dual_lshlrev_b32 v50, 30, v19 :: v_dual_bitop2_b32 v25, 1, v25 bitop3:0x40
	;; [unrolled: 1-line block ×3, first 2 shown]
	v_and_b32_e32 v53, 1, v12
	v_xor_b32_e32 v54, v13, v11
	v_pk_mul_f32 v[12:13], v[38:39], v[40:41]
	v_pk_fma_f32 v[40:41], v[38:39], v[42:43], s[18:19] op_sel_hi:[1,1,0]
	v_dual_lshlrev_b32 v44, 30, v32 :: v_dual_lshlrev_b32 v45, 30, v31
	v_dual_lshlrev_b32 v47, 30, v28 :: v_dual_bitop2_b32 v31, 1, v31 bitop3:0x40
	v_dual_lshlrev_b32 v49, 30, v22 :: v_dual_bitop2_b32 v28, 1, v28 bitop3:0x40
	;; [unrolled: 1-line block ×3, first 2 shown]
	v_pk_fma_f32 v[2:3], v[2:3], v[12:13], v[2:3]
	v_pk_fma_f32 v[12:13], v[38:39], v[40:41], 1.0 op_sel_hi:[1,1,0]
	v_and_b32_e32 v16, 1, v16
	v_pk_mul_f32 v[36:37], v[4:5], v[4:5]
	v_and_b32_e32 v51, 0x80000000, v51
	v_and_b32_e32 v42, 0x80000000, v52
	v_xor_b32_e32 v18, v18, v17
	v_cmp_eq_u32_e32 vcc_lo, 0, v16
	v_pk_fma_f32 v[38:39], v[36:37], s[8:9], s[0:1] op_sel_hi:[1,0,0]
	v_pk_fma_f32 v[40:41], v[36:37], s[12:13], s[10:11] op_sel_hi:[1,0,0]
	v_xor_b32_e32 v43, v54, v51
	v_dual_cndmask_b32 v3, v13, v3, vcc_lo :: v_dual_bitop2_b32 v15, v15, v14 bitop3:0x14
	v_cmp_eq_u32_e32 vcc_lo, 0, v53
	v_pk_fma_f32 v[38:39], v[36:37], v[38:39], s[14:15] op_sel_hi:[1,1,0]
	v_pk_fma_f32 v[40:41], v[36:37], v[40:41], s[16:17] op_sel_hi:[1,1,0]
	v_pk_mul_f32 v[34:35], v[6:7], v[6:7]
	v_pk_mul_f32 v[32:33], v[8:9], v[8:9]
	v_cndmask_b32_e32 v16, v12, v2, vcc_lo
	v_cmp_eq_u32_e32 vcc_lo, 0, v22
	v_xor_b32_e32 v10, v10, v1
	v_pk_fma_f32 v[12:13], v[36:37], v[40:41], s[18:19] op_sel_hi:[1,1,0]
	s_add_nc_u64 s[2:3], s[4:5], s[2:3]
	s_delay_alu instid0(VALU_DEP_2)
	v_xor_b32_e32 v10, v10, v42
	v_xor_b32_e32 v42, v43, v3
	v_pk_mul_f32 v[2:3], v[36:37], v[38:39]
	v_and_b32_e32 v38, 0x80000000, v49
	v_and_b32_e32 v39, 0x80000000, v50
	v_xor_b32_e32 v10, v10, v16
	s_delay_alu instid0(VALU_DEP_4)
	v_pk_fma_f32 v[2:3], v[4:5], v[2:3], v[4:5]
	v_pk_fma_f32 v[4:5], v[36:37], v[12:13], 1.0 op_sel_hi:[1,1,0]
	v_xor_b32_e32 v12, v18, v38
	v_xor_b32_e32 v13, v15, v39
	;; [unrolled: 1-line block ×3, first 2 shown]
	v_and_b32_e32 v21, 0x80000000, v48
	v_cndmask_b32_e32 v3, v5, v3, vcc_lo
	v_cmp_eq_u32_e32 vcc_lo, 0, v19
	v_and_b32_e32 v19, 0x80000000, v47
	s_delay_alu instid0(VALU_DEP_3)
	v_xor_b32_e32 v3, v12, v3
	v_cndmask_b32_e32 v2, v4, v2, vcc_lo
	v_cmp_class_f32_e64 vcc_lo, v11, 0x1f8
	v_pk_fma_f32 v[4:5], v[34:35], s[12:13], s[10:11] op_sel_hi:[1,0,0]
	v_cndmask_b32_e32 v15, 0x7fc00000, v42, vcc_lo
	v_cmp_class_f32_e64 vcc_lo, v1, 0x1f8
	s_delay_alu instid0(VALU_DEP_3) | instskip(SKIP_3) | instid1(VALU_DEP_4)
	v_pk_fma_f32 v[4:5], v[34:35], v[4:5], s[16:17] op_sel_hi:[1,1,0]
	v_cndmask_b32_e32 v1, 0x7fc00000, v10, vcc_lo
	v_cmp_class_f32_e64 vcc_lo, v17, 0x1f8
	v_xor_b32_e32 v10, v13, v2
	v_pk_fma_f32 v[4:5], v[34:35], v[4:5], s[18:19] op_sel_hi:[1,1,0]
	v_pk_fma_f32 v[12:13], v[32:33], s[12:13], s[10:11] op_sel_hi:[1,0,0]
	v_xor_b32_e32 v17, v24, v23
	v_cndmask_b32_e32 v16, 0x7fc00000, v3, vcc_lo
	v_pk_fma_f32 v[2:3], v[34:35], s[8:9], s[0:1] op_sel_hi:[1,0,0]
	v_cmp_class_f32_e64 vcc_lo, v14, 0x1f8
	v_pk_fma_f32 v[4:5], v[34:35], v[4:5], 1.0 op_sel_hi:[1,1,0]
	v_xor_b32_e32 v17, v17, v19
	v_cvt_pk_f16_f32 v1, v1, v15
	v_pk_fma_f32 v[2:3], v[34:35], v[2:3], s[14:15] op_sel_hi:[1,1,0]
	v_cndmask_b32_e32 v14, 0x7fc00000, v10, vcc_lo
	v_pk_fma_f32 v[10:11], v[32:33], s[8:9], s[0:1] op_sel_hi:[1,0,0]
	v_cmp_eq_u32_e32 vcc_lo, 0, v28
	s_delay_alu instid0(VALU_DEP_4) | instskip(NEXT) | instid1(VALU_DEP_1)
	v_pk_mul_f32 v[2:3], v[34:35], v[2:3]
	v_pk_fma_f32 v[2:3], v[6:7], v[2:3], v[6:7]
	s_delay_alu instid0(VALU_DEP_4) | instskip(SKIP_1) | instid1(VALU_DEP_3)
	v_pk_fma_f32 v[6:7], v[32:33], v[10:11], s[14:15] op_sel_hi:[1,1,0]
	v_pk_fma_f32 v[10:11], v[32:33], v[12:13], s[16:17] op_sel_hi:[1,1,0]
	v_dual_cndmask_b32 v3, v5, v3, vcc_lo :: v_dual_bitop2_b32 v12, v18, v21 bitop3:0x14
	s_delay_alu instid0(VALU_DEP_3) | instskip(NEXT) | instid1(VALU_DEP_3)
	v_pk_mul_f32 v[6:7], v[32:33], v[6:7]
	v_pk_fma_f32 v[10:11], v[32:33], v[10:11], s[18:19] op_sel_hi:[1,1,0]
	v_cmp_eq_u32_e32 vcc_lo, 0, v25
	s_delay_alu instid0(VALU_DEP_4) | instskip(NEXT) | instid1(VALU_DEP_4)
	v_dual_cndmask_b32 v13, v4, v2, vcc_lo :: v_dual_bitop2_b32 v17, v17, v3 bitop3:0x14
	v_pk_fma_f32 v[2:3], v[8:9], v[6:7], v[8:9]
	s_delay_alu instid0(VALU_DEP_4)
	v_pk_fma_f32 v[4:5], v[32:33], v[10:11], 1.0 op_sel_hi:[1,1,0]
	v_cmp_eq_u32_e32 vcc_lo, 0, v46
	v_and_b32_e32 v6, 0x80000000, v44
	v_and_b32_e32 v7, 0x80000000, v45
	v_xor_b32_e32 v8, v30, v29
	v_dual_cndmask_b32 v3, v5, v3, vcc_lo :: v_dual_bitop2_b32 v9, v27, v26 bitop3:0x14
	v_cmp_eq_u32_e32 vcc_lo, 0, v31
	s_delay_alu instid0(VALU_DEP_2) | instskip(SKIP_3) | instid1(VALU_DEP_4)
	v_dual_cndmask_b32 v2, v4, v2, vcc_lo :: v_dual_bitop2_b32 v5, v9, v7 bitop3:0x14
	v_cmp_class_f32_e64 vcc_lo, v23, 0x1f8
	v_xor_b32_e32 v4, v8, v6
	v_xor_b32_e32 v6, v12, v13
	;; [unrolled: 1-line block ×3, first 2 shown]
	v_cndmask_b32_e32 v7, 0x7fc00000, v17, vcc_lo
	v_cmp_class_f32_e64 vcc_lo, v20, 0x1f8
	v_xor_b32_e32 v3, v4, v3
	v_cvt_pk_f16_f32 v5, v14, v16
	v_cndmask_b32_e32 v4, 0x7fc00000, v6, vcc_lo
	v_cmp_class_f32_e64 vcc_lo, v29, 0x1f8
	s_delay_alu instid0(VALU_DEP_2) | instskip(SKIP_3) | instid1(VALU_DEP_1)
	v_cvt_pk_f16_f32 v4, v4, v7
	v_cndmask_b32_e32 v3, 0x7fc00000, v3, vcc_lo
	v_cmp_class_f32_e64 vcc_lo, v26, 0x1f8
	v_cndmask_b32_e32 v2, 0x7fc00000, v2, vcc_lo
	v_cvt_pk_f16_f32 v2, v2, v3
	s_clause 0x3
	global_store_b32 v0, v1, s[2:3] scale_offset
	global_store_b32 v0, v5, s[2:3] offset:1024 scale_offset
	global_store_b32 v0, v4, s[2:3] offset:2048 scale_offset
	global_store_b32 v0, v2, s[2:3] offset:3072 scale_offset
	s_branch .LBB21_2
.LBB21_36:
	s_wait_xcnt 0x0
	v_dual_mov_b32 v31, v0 :: v_dual_mov_b32 v0, s4
	v_dual_mov_b32 v1, s5 :: v_dual_mov_b32 v2, s6
	;; [unrolled: 1-line block ×3, first 2 shown]
	s_get_pc_i64 s[0:1]
	s_add_nc_u64 s[0:1], s[0:1], _ZN2at6native25elementwise_kernel_helperILb0EZZZNS0_15sin_kernel_cudaERNS_18TensorIteratorBaseEENKUlvE0_clEvENKUlvE1_clEvEUlN3c104HalfEE_NS0_6memory8policies11unroll_baseILi256ESt5arrayIPcLm2EE23TrivialOffsetCalculatorILi1EjESG_NS9_15LoadWithoutCastENS9_16StoreWithoutCastELi8ELi1EEEEEvT0_T1_@rel64+4
	s_delay_alu instid0(SALU_CYCLE_1)
	s_swap_pc_i64 s[30:31], s[0:1]
	s_endpgm
	.section	.rodata,"a",@progbits
	.p2align	6, 0x0
	.amdhsa_kernel _ZN2at6native29vectorized_elementwise_kernelILi2EZZZNS0_15sin_kernel_cudaERNS_18TensorIteratorBaseEENKUlvE0_clEvENKUlvE1_clEvEUlN3c104HalfEE_St5arrayIPcLm2EEEEviT0_T1_
		.amdhsa_group_segment_fixed_size 0
		.amdhsa_private_segment_fixed_size 0
		.amdhsa_kernarg_size 24
		.amdhsa_user_sgpr_count 2
		.amdhsa_user_sgpr_dispatch_ptr 0
		.amdhsa_user_sgpr_queue_ptr 0
		.amdhsa_user_sgpr_kernarg_segment_ptr 1
		.amdhsa_user_sgpr_dispatch_id 0
		.amdhsa_user_sgpr_kernarg_preload_length 0
		.amdhsa_user_sgpr_kernarg_preload_offset 0
		.amdhsa_user_sgpr_private_segment_size 0
		.amdhsa_wavefront_size32 1
		.amdhsa_uses_dynamic_stack 0
		.amdhsa_enable_private_segment 0
		.amdhsa_system_sgpr_workgroup_id_x 1
		.amdhsa_system_sgpr_workgroup_id_y 0
		.amdhsa_system_sgpr_workgroup_id_z 0
		.amdhsa_system_sgpr_workgroup_info 0
		.amdhsa_system_vgpr_workitem_id 0
		.amdhsa_next_free_vgpr 55
		.amdhsa_next_free_sgpr 33
		.amdhsa_named_barrier_count 0
		.amdhsa_reserve_vcc 1
		.amdhsa_float_round_mode_32 0
		.amdhsa_float_round_mode_16_64 0
		.amdhsa_float_denorm_mode_32 3
		.amdhsa_float_denorm_mode_16_64 3
		.amdhsa_fp16_overflow 0
		.amdhsa_memory_ordered 1
		.amdhsa_forward_progress 1
		.amdhsa_inst_pref_size 62
		.amdhsa_round_robin_scheduling 0
		.amdhsa_exception_fp_ieee_invalid_op 0
		.amdhsa_exception_fp_denorm_src 0
		.amdhsa_exception_fp_ieee_div_zero 0
		.amdhsa_exception_fp_ieee_overflow 0
		.amdhsa_exception_fp_ieee_underflow 0
		.amdhsa_exception_fp_ieee_inexact 0
		.amdhsa_exception_int_div_zero 0
	.end_amdhsa_kernel
	.section	.text._ZN2at6native29vectorized_elementwise_kernelILi2EZZZNS0_15sin_kernel_cudaERNS_18TensorIteratorBaseEENKUlvE0_clEvENKUlvE1_clEvEUlN3c104HalfEE_St5arrayIPcLm2EEEEviT0_T1_,"axG",@progbits,_ZN2at6native29vectorized_elementwise_kernelILi2EZZZNS0_15sin_kernel_cudaERNS_18TensorIteratorBaseEENKUlvE0_clEvENKUlvE1_clEvEUlN3c104HalfEE_St5arrayIPcLm2EEEEviT0_T1_,comdat
.Lfunc_end21:
	.size	_ZN2at6native29vectorized_elementwise_kernelILi2EZZZNS0_15sin_kernel_cudaERNS_18TensorIteratorBaseEENKUlvE0_clEvENKUlvE1_clEvEUlN3c104HalfEE_St5arrayIPcLm2EEEEviT0_T1_, .Lfunc_end21-_ZN2at6native29vectorized_elementwise_kernelILi2EZZZNS0_15sin_kernel_cudaERNS_18TensorIteratorBaseEENKUlvE0_clEvENKUlvE1_clEvEUlN3c104HalfEE_St5arrayIPcLm2EEEEviT0_T1_
                                        ; -- End function
	.set _ZN2at6native29vectorized_elementwise_kernelILi2EZZZNS0_15sin_kernel_cudaERNS_18TensorIteratorBaseEENKUlvE0_clEvENKUlvE1_clEvEUlN3c104HalfEE_St5arrayIPcLm2EEEEviT0_T1_.num_vgpr, max(55, .L_ZN2at6native25elementwise_kernel_helperILb0EZZZNS0_15sin_kernel_cudaERNS_18TensorIteratorBaseEENKUlvE0_clEvENKUlvE1_clEvEUlN3c104HalfEE_NS0_6memory8policies11unroll_baseILi256ESt5arrayIPcLm2EE23TrivialOffsetCalculatorILi1EjESG_NS9_15LoadWithoutCastENS9_16StoreWithoutCastELi8ELi1EEEEEvT0_T1_.num_vgpr)
	.set _ZN2at6native29vectorized_elementwise_kernelILi2EZZZNS0_15sin_kernel_cudaERNS_18TensorIteratorBaseEENKUlvE0_clEvENKUlvE1_clEvEUlN3c104HalfEE_St5arrayIPcLm2EEEEviT0_T1_.num_agpr, max(0, .L_ZN2at6native25elementwise_kernel_helperILb0EZZZNS0_15sin_kernel_cudaERNS_18TensorIteratorBaseEENKUlvE0_clEvENKUlvE1_clEvEUlN3c104HalfEE_NS0_6memory8policies11unroll_baseILi256ESt5arrayIPcLm2EE23TrivialOffsetCalculatorILi1EjESG_NS9_15LoadWithoutCastENS9_16StoreWithoutCastELi8ELi1EEEEEvT0_T1_.num_agpr)
	.set _ZN2at6native29vectorized_elementwise_kernelILi2EZZZNS0_15sin_kernel_cudaERNS_18TensorIteratorBaseEENKUlvE0_clEvENKUlvE1_clEvEUlN3c104HalfEE_St5arrayIPcLm2EEEEviT0_T1_.numbered_sgpr, max(33, .L_ZN2at6native25elementwise_kernel_helperILb0EZZZNS0_15sin_kernel_cudaERNS_18TensorIteratorBaseEENKUlvE0_clEvENKUlvE1_clEvEUlN3c104HalfEE_NS0_6memory8policies11unroll_baseILi256ESt5arrayIPcLm2EE23TrivialOffsetCalculatorILi1EjESG_NS9_15LoadWithoutCastENS9_16StoreWithoutCastELi8ELi1EEEEEvT0_T1_.numbered_sgpr)
	.set _ZN2at6native29vectorized_elementwise_kernelILi2EZZZNS0_15sin_kernel_cudaERNS_18TensorIteratorBaseEENKUlvE0_clEvENKUlvE1_clEvEUlN3c104HalfEE_St5arrayIPcLm2EEEEviT0_T1_.num_named_barrier, max(0, .L_ZN2at6native25elementwise_kernel_helperILb0EZZZNS0_15sin_kernel_cudaERNS_18TensorIteratorBaseEENKUlvE0_clEvENKUlvE1_clEvEUlN3c104HalfEE_NS0_6memory8policies11unroll_baseILi256ESt5arrayIPcLm2EE23TrivialOffsetCalculatorILi1EjESG_NS9_15LoadWithoutCastENS9_16StoreWithoutCastELi8ELi1EEEEEvT0_T1_.num_named_barrier)
	.set _ZN2at6native29vectorized_elementwise_kernelILi2EZZZNS0_15sin_kernel_cudaERNS_18TensorIteratorBaseEENKUlvE0_clEvENKUlvE1_clEvEUlN3c104HalfEE_St5arrayIPcLm2EEEEviT0_T1_.private_seg_size, 0+max(.L_ZN2at6native25elementwise_kernel_helperILb0EZZZNS0_15sin_kernel_cudaERNS_18TensorIteratorBaseEENKUlvE0_clEvENKUlvE1_clEvEUlN3c104HalfEE_NS0_6memory8policies11unroll_baseILi256ESt5arrayIPcLm2EE23TrivialOffsetCalculatorILi1EjESG_NS9_15LoadWithoutCastENS9_16StoreWithoutCastELi8ELi1EEEEEvT0_T1_.private_seg_size)
	.set _ZN2at6native29vectorized_elementwise_kernelILi2EZZZNS0_15sin_kernel_cudaERNS_18TensorIteratorBaseEENKUlvE0_clEvENKUlvE1_clEvEUlN3c104HalfEE_St5arrayIPcLm2EEEEviT0_T1_.uses_vcc, or(1, .L_ZN2at6native25elementwise_kernel_helperILb0EZZZNS0_15sin_kernel_cudaERNS_18TensorIteratorBaseEENKUlvE0_clEvENKUlvE1_clEvEUlN3c104HalfEE_NS0_6memory8policies11unroll_baseILi256ESt5arrayIPcLm2EE23TrivialOffsetCalculatorILi1EjESG_NS9_15LoadWithoutCastENS9_16StoreWithoutCastELi8ELi1EEEEEvT0_T1_.uses_vcc)
	.set _ZN2at6native29vectorized_elementwise_kernelILi2EZZZNS0_15sin_kernel_cudaERNS_18TensorIteratorBaseEENKUlvE0_clEvENKUlvE1_clEvEUlN3c104HalfEE_St5arrayIPcLm2EEEEviT0_T1_.uses_flat_scratch, or(0, .L_ZN2at6native25elementwise_kernel_helperILb0EZZZNS0_15sin_kernel_cudaERNS_18TensorIteratorBaseEENKUlvE0_clEvENKUlvE1_clEvEUlN3c104HalfEE_NS0_6memory8policies11unroll_baseILi256ESt5arrayIPcLm2EE23TrivialOffsetCalculatorILi1EjESG_NS9_15LoadWithoutCastENS9_16StoreWithoutCastELi8ELi1EEEEEvT0_T1_.uses_flat_scratch)
	.set _ZN2at6native29vectorized_elementwise_kernelILi2EZZZNS0_15sin_kernel_cudaERNS_18TensorIteratorBaseEENKUlvE0_clEvENKUlvE1_clEvEUlN3c104HalfEE_St5arrayIPcLm2EEEEviT0_T1_.has_dyn_sized_stack, or(0, .L_ZN2at6native25elementwise_kernel_helperILb0EZZZNS0_15sin_kernel_cudaERNS_18TensorIteratorBaseEENKUlvE0_clEvENKUlvE1_clEvEUlN3c104HalfEE_NS0_6memory8policies11unroll_baseILi256ESt5arrayIPcLm2EE23TrivialOffsetCalculatorILi1EjESG_NS9_15LoadWithoutCastENS9_16StoreWithoutCastELi8ELi1EEEEEvT0_T1_.has_dyn_sized_stack)
	.set _ZN2at6native29vectorized_elementwise_kernelILi2EZZZNS0_15sin_kernel_cudaERNS_18TensorIteratorBaseEENKUlvE0_clEvENKUlvE1_clEvEUlN3c104HalfEE_St5arrayIPcLm2EEEEviT0_T1_.has_recursion, or(0, .L_ZN2at6native25elementwise_kernel_helperILb0EZZZNS0_15sin_kernel_cudaERNS_18TensorIteratorBaseEENKUlvE0_clEvENKUlvE1_clEvEUlN3c104HalfEE_NS0_6memory8policies11unroll_baseILi256ESt5arrayIPcLm2EE23TrivialOffsetCalculatorILi1EjESG_NS9_15LoadWithoutCastENS9_16StoreWithoutCastELi8ELi1EEEEEvT0_T1_.has_recursion)
	.set _ZN2at6native29vectorized_elementwise_kernelILi2EZZZNS0_15sin_kernel_cudaERNS_18TensorIteratorBaseEENKUlvE0_clEvENKUlvE1_clEvEUlN3c104HalfEE_St5arrayIPcLm2EEEEviT0_T1_.has_indirect_call, or(0, .L_ZN2at6native25elementwise_kernel_helperILb0EZZZNS0_15sin_kernel_cudaERNS_18TensorIteratorBaseEENKUlvE0_clEvENKUlvE1_clEvEUlN3c104HalfEE_NS0_6memory8policies11unroll_baseILi256ESt5arrayIPcLm2EE23TrivialOffsetCalculatorILi1EjESG_NS9_15LoadWithoutCastENS9_16StoreWithoutCastELi8ELi1EEEEEvT0_T1_.has_indirect_call)
	.section	.AMDGPU.csdata,"",@progbits
; Kernel info:
; codeLenInByte = 7836
; TotalNumSgprs: 35
; NumVgprs: 55
; ScratchSize: 0
; MemoryBound: 0
; FloatMode: 240
; IeeeMode: 1
; LDSByteSize: 0 bytes/workgroup (compile time only)
; SGPRBlocks: 0
; VGPRBlocks: 3
; NumSGPRsForWavesPerEU: 35
; NumVGPRsForWavesPerEU: 55
; NamedBarCnt: 0
; Occupancy: 16
; WaveLimiterHint : 1
; COMPUTE_PGM_RSRC2:SCRATCH_EN: 0
; COMPUTE_PGM_RSRC2:USER_SGPR: 2
; COMPUTE_PGM_RSRC2:TRAP_HANDLER: 0
; COMPUTE_PGM_RSRC2:TGID_X_EN: 1
; COMPUTE_PGM_RSRC2:TGID_Y_EN: 0
; COMPUTE_PGM_RSRC2:TGID_Z_EN: 0
; COMPUTE_PGM_RSRC2:TIDIG_COMP_CNT: 0
	.section	.text._ZN2at6native27unrolled_elementwise_kernelIZZZNS0_15sin_kernel_cudaERNS_18TensorIteratorBaseEENKUlvE0_clEvENKUlvE1_clEvEUlN3c104HalfEE_St5arrayIPcLm2EELi4E23TrivialOffsetCalculatorILi1EjESD_NS0_6memory15LoadWithoutCastENSE_16StoreWithoutCastEEEviT_T0_T2_T3_T4_T5_,"axG",@progbits,_ZN2at6native27unrolled_elementwise_kernelIZZZNS0_15sin_kernel_cudaERNS_18TensorIteratorBaseEENKUlvE0_clEvENKUlvE1_clEvEUlN3c104HalfEE_St5arrayIPcLm2EELi4E23TrivialOffsetCalculatorILi1EjESD_NS0_6memory15LoadWithoutCastENSE_16StoreWithoutCastEEEviT_T0_T2_T3_T4_T5_,comdat
	.globl	_ZN2at6native27unrolled_elementwise_kernelIZZZNS0_15sin_kernel_cudaERNS_18TensorIteratorBaseEENKUlvE0_clEvENKUlvE1_clEvEUlN3c104HalfEE_St5arrayIPcLm2EELi4E23TrivialOffsetCalculatorILi1EjESD_NS0_6memory15LoadWithoutCastENSE_16StoreWithoutCastEEEviT_T0_T2_T3_T4_T5_ ; -- Begin function _ZN2at6native27unrolled_elementwise_kernelIZZZNS0_15sin_kernel_cudaERNS_18TensorIteratorBaseEENKUlvE0_clEvENKUlvE1_clEvEUlN3c104HalfEE_St5arrayIPcLm2EELi4E23TrivialOffsetCalculatorILi1EjESD_NS0_6memory15LoadWithoutCastENSE_16StoreWithoutCastEEEviT_T0_T2_T3_T4_T5_
	.p2align	8
	.type	_ZN2at6native27unrolled_elementwise_kernelIZZZNS0_15sin_kernel_cudaERNS_18TensorIteratorBaseEENKUlvE0_clEvENKUlvE1_clEvEUlN3c104HalfEE_St5arrayIPcLm2EELi4E23TrivialOffsetCalculatorILi1EjESD_NS0_6memory15LoadWithoutCastENSE_16StoreWithoutCastEEEviT_T0_T2_T3_T4_T5_,@function
_ZN2at6native27unrolled_elementwise_kernelIZZZNS0_15sin_kernel_cudaERNS_18TensorIteratorBaseEENKUlvE0_clEvENKUlvE1_clEvEUlN3c104HalfEE_St5arrayIPcLm2EELi4E23TrivialOffsetCalculatorILi1EjESD_NS0_6memory15LoadWithoutCastENSE_16StoreWithoutCastEEEviT_T0_T2_T3_T4_T5_: ; @_ZN2at6native27unrolled_elementwise_kernelIZZZNS0_15sin_kernel_cudaERNS_18TensorIteratorBaseEENKUlvE0_clEvENKUlvE1_clEvEUlN3c104HalfEE_St5arrayIPcLm2EELi4E23TrivialOffsetCalculatorILi1EjESD_NS0_6memory15LoadWithoutCastENSE_16StoreWithoutCastEEEviT_T0_T2_T3_T4_T5_
; %bb.0:
	s_clause 0x1
	s_load_b32 s2, s[0:1], 0x0
	s_load_b128 s[4:7], s[0:1], 0x8
	s_bfe_u32 s3, ttmp6, 0x4000c
	s_wait_xcnt 0x0
	s_and_b32 s0, ttmp6, 15
	s_add_co_i32 s3, s3, 1
	v_dual_mov_b32 v6, 0 :: v_dual_mov_b32 v7, 0
	s_mul_i32 s1, ttmp9, s3
	s_getreg_b32 s3, hwreg(HW_REG_IB_STS2, 6, 4)
	s_add_co_i32 s0, s0, s1
	s_cmp_eq_u32 s3, 0
	v_or_b32_e32 v1, 0x100, v0
	s_cselect_b32 s0, ttmp9, s0
	v_mov_b32_e32 v4, v0
	s_lshl_b32 s3, s0, 10
	s_delay_alu instid0(SALU_CYCLE_1) | instskip(SKIP_2) | instid1(SALU_CYCLE_1)
	v_or_b32_e32 v2, s3, v0
	s_wait_kmcnt 0x0
	s_sub_co_i32 s8, s2, s3
	v_cmp_gt_i32_e32 vcc_lo, s8, v0
	s_and_saveexec_b32 s0, vcc_lo
	s_cbranch_execz .LBB22_2
; %bb.1:
	global_load_u16 v3, v2, s[6:7] scale_offset
	v_or_b32_e32 v4, 0x100, v0
	s_wait_loadcnt 0x0
	v_cvt_f32_f16_e32 v7, v3
.LBB22_2:
	s_or_b32 exec_lo, exec_lo, s0
	s_delay_alu instid0(SALU_CYCLE_1)
	s_mov_b32 s1, exec_lo
	v_cmpx_gt_i32_e64 s8, v4
	s_cbranch_execz .LBB22_4
; %bb.3:
	v_add_nc_u32_e32 v3, s3, v4
	v_add_nc_u32_e32 v4, 0x100, v4
	global_load_u16 v3, v3, s[6:7] scale_offset
	s_wait_loadcnt 0x0
	v_cvt_f32_f16_e32 v6, v3
.LBB22_4:
	s_or_b32 exec_lo, exec_lo, s1
	v_dual_mov_b32 v3, 0 :: v_dual_mov_b32 v5, 0
	s_mov_b32 s1, exec_lo
	v_cmpx_gt_i32_e64 s8, v4
	s_cbranch_execz .LBB22_8
; %bb.5:
	v_add_nc_u32_e32 v5, s3, v4
	v_add_nc_u32_e32 v4, 0x100, v4
	global_load_u16 v5, v5, s[6:7] scale_offset
	s_wait_loadcnt 0x0
	v_cvt_f32_f16_e32 v5, v5
	s_or_b32 exec_lo, exec_lo, s1
	s_delay_alu instid0(SALU_CYCLE_1)
	s_mov_b32 s1, exec_lo
	v_cmpx_gt_i32_e64 s8, v4
	s_cbranch_execnz .LBB22_9
.LBB22_6:
	s_or_b32 exec_lo, exec_lo, s1
                                        ; implicit-def: $vgpr4
	s_and_saveexec_b32 s6, vcc_lo
	s_cbranch_execnz .LBB22_10
.LBB22_7:
	s_or_b32 exec_lo, exec_lo, s6
	s_delay_alu instid0(SALU_CYCLE_1)
	s_mov_b32 s6, exec_lo
                                        ; implicit-def: $vgpr7
	v_cmpx_gt_i32_e64 s8, v1
	s_cbranch_execz .LBB22_20
	s_branch .LBB22_15
.LBB22_8:
	s_or_b32 exec_lo, exec_lo, s1
	s_delay_alu instid0(SALU_CYCLE_1)
	s_mov_b32 s1, exec_lo
	v_cmpx_gt_i32_e64 s8, v4
	s_cbranch_execz .LBB22_6
.LBB22_9:
	v_add_nc_u32_e32 v3, s3, v4
	global_load_u16 v3, v3, s[6:7] scale_offset
	s_wait_loadcnt 0x0
	v_cvt_f32_f16_e32 v3, v3
	s_or_b32 exec_lo, exec_lo, s1
                                        ; implicit-def: $vgpr4
	s_and_saveexec_b32 s6, vcc_lo
	s_cbranch_execz .LBB22_7
.LBB22_10:
	v_and_b32_e32 v4, 0x7fffffff, v7
                                        ; implicit-def: $vgpr9
                                        ; implicit-def: $vgpr8
	s_mov_b32 s1, exec_lo
	v_cmpx_ngt_f32_e64 0x48000000, |v7|
	s_xor_b32 s7, exec_lo, s1
	s_cbranch_execz .LBB22_12
; %bb.11:
	s_mov_b32 s0, 0x7fffff
	v_mov_b32_e32 v9, 0
	v_and_or_b32 v8, v4, s0, 0x800000
	s_mov_b64 s[0:1], 0xfe5163ab
	s_delay_alu instid0(VALU_DEP_1) | instid1(SALU_CYCLE_1)
	v_mul_u64_e32 v[10:11], s[0:1], v[8:9]
	s_delay_alu instid0(VALU_DEP_1) | instskip(SKIP_2) | instid1(VALU_DEP_3)
	v_dual_mov_b32 v12, v11 :: v_dual_mov_b32 v13, v9
	v_dual_mov_b32 v15, v9 :: v_dual_mov_b32 v17, v9
	v_dual_mov_b32 v19, v9 :: v_dual_lshrrev_b32 v11, 23, v4
	v_mad_nc_u64_u32 v[12:13], 0x3c439041, v8, v[12:13]
	s_delay_alu instid0(VALU_DEP_1) | instskip(NEXT) | instid1(VALU_DEP_1)
	v_mov_b32_e32 v14, v13
	v_mad_nc_u64_u32 v[14:15], 0xdb629599, v8, v[14:15]
	s_delay_alu instid0(VALU_DEP_1) | instskip(NEXT) | instid1(VALU_DEP_1)
	v_mov_b32_e32 v16, v15
	;; [unrolled: 3-line block ×3, first 2 shown]
	v_mad_nc_u64_u32 v[18:19], 0xfc2757d1, v8, v[18:19]
	s_delay_alu instid0(VALU_DEP_1) | instskip(NEXT) | instid1(VALU_DEP_1)
	v_dual_mov_b32 v21, v9 :: v_dual_mov_b32 v20, v19
	v_mad_nc_u64_u32 v[20:21], 0x4e441529, v8, v[20:21]
	s_delay_alu instid0(VALU_DEP_1) | instskip(NEXT) | instid1(VALU_DEP_1)
	v_dual_mov_b32 v22, v21 :: v_dual_add_nc_u32 v11, 0xffffff88, v11
	v_cmp_lt_u32_e64 s0, 63, v11
	v_mov_b32_e32 v23, v9
	s_delay_alu instid0(VALU_DEP_2) | instskip(NEXT) | instid1(VALU_DEP_2)
	v_cndmask_b32_e64 v13, 0, 0xffffffc0, s0
	v_mad_nc_u64_u32 v[8:9], 0xa2f9836e, v8, v[22:23]
	v_dual_cndmask_b32 v15, v20, v16, s0 :: v_dual_cndmask_b32 v17, v18, v14, s0
	s_delay_alu instid0(VALU_DEP_3) | instskip(SKIP_1) | instid1(VALU_DEP_2)
	v_dual_cndmask_b32 v12, v16, v12, s0 :: v_dual_add_nc_u32 v11, v13, v11
	v_cndmask_b32_e64 v10, v14, v10, s0
	v_cmp_lt_u32_e64 s1, 31, v11
	v_dual_cndmask_b32 v8, v8, v18, s0 :: v_dual_cndmask_b32 v9, v9, v20, s0
	s_delay_alu instid0(VALU_DEP_2) | instskip(NEXT) | instid1(VALU_DEP_4)
	v_cndmask_b32_e64 v13, 0, 0xffffffe0, s1
	v_dual_cndmask_b32 v16, v17, v12, s1 :: v_dual_cndmask_b32 v10, v12, v10, s1
	s_delay_alu instid0(VALU_DEP_2) | instskip(NEXT) | instid1(VALU_DEP_1)
	v_add_nc_u32_e32 v11, v13, v11
	v_cmp_lt_u32_e64 s2, 31, v11
	s_delay_alu instid0(VALU_DEP_1) | instskip(NEXT) | instid1(VALU_DEP_1)
	v_cndmask_b32_e64 v13, 0, 0xffffffe0, s2
	v_dual_cndmask_b32 v10, v16, v10, s2 :: v_dual_add_nc_u32 v11, v13, v11
	v_dual_cndmask_b32 v13, v8, v15, s1 :: v_dual_cndmask_b32 v8, v9, v8, s1
	s_delay_alu instid0(VALU_DEP_2) | instskip(SKIP_1) | instid1(VALU_DEP_3)
	v_dual_cndmask_b32 v9, v15, v17, s1 :: v_dual_sub_nc_u32 v15, 32, v11
	v_cmp_eq_u32_e64 s0, 0, v11
	v_cndmask_b32_e64 v8, v8, v13, s2
	s_delay_alu instid0(VALU_DEP_3) | instskip(SKIP_1) | instid1(VALU_DEP_2)
	v_cndmask_b32_e64 v13, v13, v9, s2
	v_cndmask_b32_e64 v9, v9, v16, s2
	v_alignbit_b32 v17, v8, v13, v15
	s_delay_alu instid0(VALU_DEP_2) | instskip(SKIP_1) | instid1(VALU_DEP_2)
	v_alignbit_b32 v14, v13, v9, v15
	v_alignbit_b32 v15, v9, v10, v15
	v_dual_cndmask_b32 v8, v17, v8, s0 :: v_dual_cndmask_b32 v11, v14, v13, s0
	s_delay_alu instid0(VALU_DEP_2) | instskip(NEXT) | instid1(VALU_DEP_2)
	v_cndmask_b32_e64 v9, v15, v9, s0
	v_bfe_u32 v12, v8, 29, 1
	s_delay_alu instid0(VALU_DEP_3) | instskip(NEXT) | instid1(VALU_DEP_3)
	v_alignbit_b32 v13, v8, v11, 30
	v_alignbit_b32 v11, v11, v9, 30
	;; [unrolled: 1-line block ×3, first 2 shown]
	s_delay_alu instid0(VALU_DEP_4) | instskip(NEXT) | instid1(VALU_DEP_1)
	v_sub_nc_u32_e32 v14, 0, v12
	v_xor_b32_e32 v13, v13, v14
	s_delay_alu instid0(VALU_DEP_4) | instskip(NEXT) | instid1(VALU_DEP_4)
	v_xor_b32_e32 v10, v11, v14
	v_dual_lshrrev_b32 v14, 29, v8 :: v_dual_bitop2_b32 v9, v9, v14 bitop3:0x14
	s_delay_alu instid0(VALU_DEP_3) | instskip(NEXT) | instid1(VALU_DEP_1)
	v_clz_i32_u32_e32 v15, v13
	v_min_u32_e32 v15, 32, v15
	s_delay_alu instid0(VALU_DEP_1) | instskip(NEXT) | instid1(VALU_DEP_1)
	v_dual_sub_nc_u32 v11, 31, v15 :: v_dual_lshlrev_b32 v16, 23, v15
	v_alignbit_b32 v13, v13, v10, v11
	v_alignbit_b32 v9, v10, v9, v11
	v_lshlrev_b32_e32 v10, 31, v14
	s_delay_alu instid0(VALU_DEP_2) | instskip(NEXT) | instid1(VALU_DEP_2)
	v_alignbit_b32 v11, v13, v9, 9
	v_dual_lshrrev_b32 v13, 9, v13 :: v_dual_bitop2_b32 v14, 0.5, v10 bitop3:0x54
	v_or_b32_e32 v10, 0x33000000, v10
	s_delay_alu instid0(VALU_DEP_3) | instskip(NEXT) | instid1(VALU_DEP_3)
	v_clz_i32_u32_e32 v17, v11
	v_sub_nc_u32_e32 v14, v14, v16
	s_delay_alu instid0(VALU_DEP_2) | instskip(NEXT) | instid1(VALU_DEP_1)
	v_min_u32_e32 v16, 32, v17
	v_add_lshl_u32 v15, v16, v15, 23
	s_delay_alu instid0(VALU_DEP_3) | instskip(SKIP_1) | instid1(VALU_DEP_2)
	v_or_b32_e32 v13, v13, v14
	v_not_b32_e32 v14, v16
	v_dual_mul_f32 v17, 0x3fc90fda, v13 :: v_dual_sub_nc_u32 v10, v10, v15
	s_delay_alu instid0(VALU_DEP_2) | instskip(NEXT) | instid1(VALU_DEP_2)
	v_alignbit_b32 v9, v11, v9, v14
	v_fma_f32 v11, 0x3fc90fda, v13, -v17
	s_delay_alu instid0(VALU_DEP_2) | instskip(NEXT) | instid1(VALU_DEP_2)
	v_lshrrev_b32_e32 v9, 9, v9
	v_fmamk_f32 v11, v13, 0x33a22168, v11
	s_delay_alu instid0(VALU_DEP_2) | instskip(NEXT) | instid1(VALU_DEP_1)
	v_or_b32_e32 v9, v10, v9
	v_fmac_f32_e32 v11, 0x3fc90fda, v9
	s_delay_alu instid0(VALU_DEP_1) | instskip(NEXT) | instid1(VALU_DEP_1)
	v_dual_add_f32 v8, v17, v11 :: v_dual_lshrrev_b32 v9, 30, v8
	v_add_nc_u32_e32 v9, v12, v9
.LBB22_12:
	s_and_not1_saveexec_b32 s0, s7
; %bb.13:
	v_mul_f32_e64 v8, 0x3f22f983, |v7|
	s_delay_alu instid0(VALU_DEP_1) | instskip(NEXT) | instid1(VALU_DEP_1)
	v_rndne_f32_e32 v9, v8
	v_fma_f32 v8, 0xbfc90fda, v9, |v7|
	s_delay_alu instid0(VALU_DEP_1) | instskip(NEXT) | instid1(VALU_DEP_1)
	v_fmamk_f32 v8, v9, 0xb3a22168, v8
	v_fmamk_f32 v8, v9, 0xa7c234c4, v8
	v_cvt_i32_f32_e32 v9, v9
; %bb.14:
	s_or_b32 exec_lo, exec_lo, s0
	s_delay_alu instid0(VALU_DEP_1) | instskip(SKIP_3) | instid1(VALU_DEP_2)
	v_dual_mul_f32 v10, v8, v8 :: v_dual_bitop2_b32 v13, 1, v9 bitop3:0x40
	s_mov_b32 s0, 0xb94c1982
	s_mov_b32 s1, 0x37d75334
	v_lshlrev_b32_e32 v9, 30, v9
	v_fmaak_f32 v11, s0, v10, 0x3c0881c4
	v_cmp_eq_u32_e64 s0, 0, v13
	v_xor_b32_e32 v4, v4, v7
	s_delay_alu instid0(VALU_DEP_4) | instskip(NEXT) | instid1(VALU_DEP_4)
	v_and_b32_e32 v9, 0x80000000, v9
	v_fmaak_f32 v11, v10, v11, 0xbe2aaa9d
	s_delay_alu instid0(VALU_DEP_1) | instskip(NEXT) | instid1(VALU_DEP_1)
	v_dual_fmaak_f32 v12, s1, v10, 0xbab64f3b :: v_dual_mul_f32 v11, v10, v11
	v_fmaak_f32 v12, v10, v12, 0x3d2aabf7
	s_delay_alu instid0(VALU_DEP_2) | instskip(NEXT) | instid1(VALU_DEP_2)
	v_fmac_f32_e32 v8, v8, v11
	v_fmaak_f32 v12, v10, v12, 0xbf000004
	s_delay_alu instid0(VALU_DEP_1) | instskip(NEXT) | instid1(VALU_DEP_1)
	v_fma_f32 v10, v10, v12, 1.0
	v_cndmask_b32_e64 v8, v10, v8, s0
	v_cmp_class_f32_e64 s0, v7, 0x1f8
	s_delay_alu instid0(VALU_DEP_2) | instskip(NEXT) | instid1(VALU_DEP_1)
	v_xor3_b32 v4, v4, v9, v8
	v_cndmask_b32_e64 v4, 0x7fc00000, v4, s0
	s_delay_alu instid0(VALU_DEP_1) | instskip(SKIP_1) | instid1(SALU_CYCLE_1)
	v_cvt_f16_f32_e32 v4, v4
	s_or_b32 exec_lo, exec_lo, s6
	s_mov_b32 s6, exec_lo
                                        ; implicit-def: $vgpr7
	v_cmpx_gt_i32_e64 s8, v1
	s_cbranch_execz .LBB22_20
.LBB22_15:
	v_and_b32_e32 v7, 0x7fffffff, v6
                                        ; implicit-def: $vgpr9
                                        ; implicit-def: $vgpr8
	s_mov_b32 s1, exec_lo
	v_cmpx_ngt_f32_e64 0x48000000, |v6|
	s_xor_b32 s7, exec_lo, s1
	s_cbranch_execz .LBB22_17
; %bb.16:
	s_mov_b32 s0, 0x7fffff
	v_mov_b32_e32 v9, 0
	v_and_or_b32 v8, v7, s0, 0x800000
	s_mov_b64 s[0:1], 0xfe5163ab
	s_delay_alu instid0(VALU_DEP_1) | instid1(SALU_CYCLE_1)
	v_mul_u64_e32 v[10:11], s[0:1], v[8:9]
	s_delay_alu instid0(VALU_DEP_1) | instskip(SKIP_2) | instid1(VALU_DEP_3)
	v_dual_mov_b32 v12, v11 :: v_dual_mov_b32 v13, v9
	v_dual_mov_b32 v15, v9 :: v_dual_mov_b32 v17, v9
	v_dual_mov_b32 v19, v9 :: v_dual_lshrrev_b32 v11, 23, v7
	v_mad_nc_u64_u32 v[12:13], 0x3c439041, v8, v[12:13]
	s_delay_alu instid0(VALU_DEP_1) | instskip(NEXT) | instid1(VALU_DEP_1)
	v_mov_b32_e32 v14, v13
	v_mad_nc_u64_u32 v[14:15], 0xdb629599, v8, v[14:15]
	s_delay_alu instid0(VALU_DEP_1) | instskip(NEXT) | instid1(VALU_DEP_1)
	v_mov_b32_e32 v16, v15
	;; [unrolled: 3-line block ×3, first 2 shown]
	v_mad_nc_u64_u32 v[18:19], 0xfc2757d1, v8, v[18:19]
	s_delay_alu instid0(VALU_DEP_1) | instskip(NEXT) | instid1(VALU_DEP_1)
	v_dual_mov_b32 v21, v9 :: v_dual_mov_b32 v20, v19
	v_mad_nc_u64_u32 v[20:21], 0x4e441529, v8, v[20:21]
	s_delay_alu instid0(VALU_DEP_1) | instskip(NEXT) | instid1(VALU_DEP_1)
	v_dual_mov_b32 v22, v21 :: v_dual_add_nc_u32 v11, 0xffffff88, v11
	v_cmp_lt_u32_e64 s0, 63, v11
	v_mov_b32_e32 v23, v9
	s_delay_alu instid0(VALU_DEP_2) | instskip(NEXT) | instid1(VALU_DEP_2)
	v_cndmask_b32_e64 v13, 0, 0xffffffc0, s0
	v_mad_nc_u64_u32 v[8:9], 0xa2f9836e, v8, v[22:23]
	v_dual_cndmask_b32 v15, v20, v16, s0 :: v_dual_cndmask_b32 v17, v18, v14, s0
	s_delay_alu instid0(VALU_DEP_3) | instskip(SKIP_1) | instid1(VALU_DEP_2)
	v_dual_cndmask_b32 v12, v16, v12, s0 :: v_dual_add_nc_u32 v11, v13, v11
	v_cndmask_b32_e64 v10, v14, v10, s0
	v_cmp_lt_u32_e64 s1, 31, v11
	v_dual_cndmask_b32 v8, v8, v18, s0 :: v_dual_cndmask_b32 v9, v9, v20, s0
	s_delay_alu instid0(VALU_DEP_2) | instskip(NEXT) | instid1(VALU_DEP_4)
	v_cndmask_b32_e64 v13, 0, 0xffffffe0, s1
	v_dual_cndmask_b32 v16, v17, v12, s1 :: v_dual_cndmask_b32 v10, v12, v10, s1
	s_delay_alu instid0(VALU_DEP_2) | instskip(NEXT) | instid1(VALU_DEP_1)
	v_add_nc_u32_e32 v11, v13, v11
	v_cmp_lt_u32_e64 s2, 31, v11
	s_delay_alu instid0(VALU_DEP_1) | instskip(NEXT) | instid1(VALU_DEP_1)
	v_cndmask_b32_e64 v13, 0, 0xffffffe0, s2
	v_dual_cndmask_b32 v10, v16, v10, s2 :: v_dual_add_nc_u32 v11, v13, v11
	v_dual_cndmask_b32 v13, v8, v15, s1 :: v_dual_cndmask_b32 v8, v9, v8, s1
	s_delay_alu instid0(VALU_DEP_2) | instskip(SKIP_1) | instid1(VALU_DEP_3)
	v_dual_cndmask_b32 v9, v15, v17, s1 :: v_dual_sub_nc_u32 v15, 32, v11
	v_cmp_eq_u32_e64 s0, 0, v11
	v_cndmask_b32_e64 v8, v8, v13, s2
	s_delay_alu instid0(VALU_DEP_3) | instskip(SKIP_1) | instid1(VALU_DEP_2)
	v_cndmask_b32_e64 v13, v13, v9, s2
	v_cndmask_b32_e64 v9, v9, v16, s2
	v_alignbit_b32 v17, v8, v13, v15
	s_delay_alu instid0(VALU_DEP_2) | instskip(SKIP_1) | instid1(VALU_DEP_2)
	v_alignbit_b32 v14, v13, v9, v15
	v_alignbit_b32 v15, v9, v10, v15
	v_dual_cndmask_b32 v8, v17, v8, s0 :: v_dual_cndmask_b32 v11, v14, v13, s0
	s_delay_alu instid0(VALU_DEP_2) | instskip(NEXT) | instid1(VALU_DEP_2)
	v_cndmask_b32_e64 v9, v15, v9, s0
	v_bfe_u32 v12, v8, 29, 1
	s_delay_alu instid0(VALU_DEP_3) | instskip(NEXT) | instid1(VALU_DEP_3)
	v_alignbit_b32 v13, v8, v11, 30
	v_alignbit_b32 v11, v11, v9, 30
	;; [unrolled: 1-line block ×3, first 2 shown]
	s_delay_alu instid0(VALU_DEP_4) | instskip(NEXT) | instid1(VALU_DEP_1)
	v_sub_nc_u32_e32 v14, 0, v12
	v_xor_b32_e32 v13, v13, v14
	s_delay_alu instid0(VALU_DEP_4) | instskip(NEXT) | instid1(VALU_DEP_4)
	v_xor_b32_e32 v10, v11, v14
	v_dual_lshrrev_b32 v14, 29, v8 :: v_dual_bitop2_b32 v9, v9, v14 bitop3:0x14
	s_delay_alu instid0(VALU_DEP_3) | instskip(NEXT) | instid1(VALU_DEP_1)
	v_clz_i32_u32_e32 v15, v13
	v_min_u32_e32 v15, 32, v15
	s_delay_alu instid0(VALU_DEP_1) | instskip(NEXT) | instid1(VALU_DEP_1)
	v_dual_sub_nc_u32 v11, 31, v15 :: v_dual_lshlrev_b32 v16, 23, v15
	v_alignbit_b32 v13, v13, v10, v11
	v_alignbit_b32 v9, v10, v9, v11
	v_lshlrev_b32_e32 v10, 31, v14
	s_delay_alu instid0(VALU_DEP_2) | instskip(NEXT) | instid1(VALU_DEP_2)
	v_alignbit_b32 v11, v13, v9, 9
	v_dual_lshrrev_b32 v13, 9, v13 :: v_dual_bitop2_b32 v14, 0.5, v10 bitop3:0x54
	v_or_b32_e32 v10, 0x33000000, v10
	s_delay_alu instid0(VALU_DEP_3) | instskip(NEXT) | instid1(VALU_DEP_3)
	v_clz_i32_u32_e32 v17, v11
	v_sub_nc_u32_e32 v14, v14, v16
	s_delay_alu instid0(VALU_DEP_2) | instskip(NEXT) | instid1(VALU_DEP_1)
	v_min_u32_e32 v16, 32, v17
	v_add_lshl_u32 v15, v16, v15, 23
	s_delay_alu instid0(VALU_DEP_3) | instskip(SKIP_1) | instid1(VALU_DEP_2)
	v_or_b32_e32 v13, v13, v14
	v_not_b32_e32 v14, v16
	v_dual_mul_f32 v17, 0x3fc90fda, v13 :: v_dual_sub_nc_u32 v10, v10, v15
	s_delay_alu instid0(VALU_DEP_2) | instskip(NEXT) | instid1(VALU_DEP_2)
	v_alignbit_b32 v9, v11, v9, v14
	v_fma_f32 v11, 0x3fc90fda, v13, -v17
	s_delay_alu instid0(VALU_DEP_2) | instskip(NEXT) | instid1(VALU_DEP_2)
	v_lshrrev_b32_e32 v9, 9, v9
	v_fmamk_f32 v11, v13, 0x33a22168, v11
	s_delay_alu instid0(VALU_DEP_2) | instskip(NEXT) | instid1(VALU_DEP_1)
	v_or_b32_e32 v9, v10, v9
	v_fmac_f32_e32 v11, 0x3fc90fda, v9
	s_delay_alu instid0(VALU_DEP_1) | instskip(NEXT) | instid1(VALU_DEP_1)
	v_dual_add_f32 v8, v17, v11 :: v_dual_lshrrev_b32 v9, 30, v8
	v_add_nc_u32_e32 v9, v12, v9
.LBB22_17:
	s_and_not1_saveexec_b32 s0, s7
; %bb.18:
	v_mul_f32_e64 v8, 0x3f22f983, |v6|
	s_delay_alu instid0(VALU_DEP_1) | instskip(NEXT) | instid1(VALU_DEP_1)
	v_rndne_f32_e32 v9, v8
	v_fma_f32 v8, 0xbfc90fda, v9, |v6|
	s_delay_alu instid0(VALU_DEP_1) | instskip(NEXT) | instid1(VALU_DEP_1)
	v_fmamk_f32 v8, v9, 0xb3a22168, v8
	v_fmamk_f32 v8, v9, 0xa7c234c4, v8
	v_cvt_i32_f32_e32 v9, v9
; %bb.19:
	s_or_b32 exec_lo, exec_lo, s0
	s_delay_alu instid0(VALU_DEP_1) | instskip(SKIP_3) | instid1(VALU_DEP_2)
	v_dual_mul_f32 v10, v8, v8 :: v_dual_bitop2_b32 v13, 1, v9 bitop3:0x40
	s_mov_b32 s0, 0xb94c1982
	s_mov_b32 s1, 0x37d75334
	v_lshlrev_b32_e32 v9, 30, v9
	v_fmaak_f32 v11, s0, v10, 0x3c0881c4
	v_cmp_eq_u32_e64 s0, 0, v13
	v_xor_b32_e32 v7, v7, v6
	s_delay_alu instid0(VALU_DEP_4) | instskip(NEXT) | instid1(VALU_DEP_4)
	v_and_b32_e32 v9, 0x80000000, v9
	v_fmaak_f32 v11, v10, v11, 0xbe2aaa9d
	s_delay_alu instid0(VALU_DEP_1) | instskip(NEXT) | instid1(VALU_DEP_1)
	v_dual_fmaak_f32 v12, s1, v10, 0xbab64f3b :: v_dual_mul_f32 v11, v10, v11
	v_fmaak_f32 v12, v10, v12, 0x3d2aabf7
	s_delay_alu instid0(VALU_DEP_2) | instskip(NEXT) | instid1(VALU_DEP_2)
	v_fmac_f32_e32 v8, v8, v11
	v_fmaak_f32 v12, v10, v12, 0xbf000004
	s_delay_alu instid0(VALU_DEP_1) | instskip(NEXT) | instid1(VALU_DEP_1)
	v_fma_f32 v10, v10, v12, 1.0
	v_cndmask_b32_e64 v8, v10, v8, s0
	v_cmp_class_f32_e64 s0, v6, 0x1f8
	s_delay_alu instid0(VALU_DEP_2) | instskip(NEXT) | instid1(VALU_DEP_1)
	v_xor3_b32 v7, v7, v9, v8
	v_cndmask_b32_e64 v6, 0x7fc00000, v7, s0
	s_delay_alu instid0(VALU_DEP_1)
	v_cvt_f16_f32_e32 v7, v6
.LBB22_20:
	s_or_b32 exec_lo, exec_lo, s6
	v_or_b32_e32 v6, 0x200, v0
	s_delay_alu instid0(VALU_DEP_1)
	v_cmp_gt_i32_e64 s0, s8, v6
                                        ; implicit-def: $vgpr6
	s_and_saveexec_b32 s6, s0
	s_cbranch_execz .LBB22_26
; %bb.21:
	v_and_b32_e32 v6, 0x7fffffff, v5
                                        ; implicit-def: $vgpr9
                                        ; implicit-def: $vgpr8
	s_mov_b32 s1, exec_lo
	v_cmpx_ngt_f32_e64 0x48000000, |v5|
	s_xor_b32 s7, exec_lo, s1
	s_cbranch_execz .LBB22_23
; %bb.22:
	s_mov_b32 s0, 0x7fffff
	v_mov_b32_e32 v9, 0
	v_and_or_b32 v8, v6, s0, 0x800000
	s_mov_b64 s[0:1], 0xfe5163ab
	s_delay_alu instid0(VALU_DEP_1) | instid1(SALU_CYCLE_1)
	v_mul_u64_e32 v[10:11], s[0:1], v[8:9]
	s_delay_alu instid0(VALU_DEP_1) | instskip(SKIP_2) | instid1(VALU_DEP_3)
	v_dual_mov_b32 v12, v11 :: v_dual_mov_b32 v13, v9
	v_dual_mov_b32 v15, v9 :: v_dual_mov_b32 v17, v9
	v_dual_mov_b32 v19, v9 :: v_dual_lshrrev_b32 v11, 23, v6
	v_mad_nc_u64_u32 v[12:13], 0x3c439041, v8, v[12:13]
	s_delay_alu instid0(VALU_DEP_1) | instskip(NEXT) | instid1(VALU_DEP_1)
	v_mov_b32_e32 v14, v13
	v_mad_nc_u64_u32 v[14:15], 0xdb629599, v8, v[14:15]
	s_delay_alu instid0(VALU_DEP_1) | instskip(NEXT) | instid1(VALU_DEP_1)
	v_mov_b32_e32 v16, v15
	;; [unrolled: 3-line block ×3, first 2 shown]
	v_mad_nc_u64_u32 v[18:19], 0xfc2757d1, v8, v[18:19]
	s_delay_alu instid0(VALU_DEP_1) | instskip(NEXT) | instid1(VALU_DEP_1)
	v_dual_mov_b32 v21, v9 :: v_dual_mov_b32 v20, v19
	v_mad_nc_u64_u32 v[20:21], 0x4e441529, v8, v[20:21]
	s_delay_alu instid0(VALU_DEP_1) | instskip(NEXT) | instid1(VALU_DEP_1)
	v_dual_mov_b32 v22, v21 :: v_dual_add_nc_u32 v11, 0xffffff88, v11
	v_cmp_lt_u32_e64 s0, 63, v11
	v_mov_b32_e32 v23, v9
	s_delay_alu instid0(VALU_DEP_2) | instskip(NEXT) | instid1(VALU_DEP_2)
	v_cndmask_b32_e64 v13, 0, 0xffffffc0, s0
	v_mad_nc_u64_u32 v[8:9], 0xa2f9836e, v8, v[22:23]
	v_dual_cndmask_b32 v15, v20, v16, s0 :: v_dual_cndmask_b32 v17, v18, v14, s0
	s_delay_alu instid0(VALU_DEP_3) | instskip(SKIP_1) | instid1(VALU_DEP_2)
	v_dual_cndmask_b32 v12, v16, v12, s0 :: v_dual_add_nc_u32 v11, v13, v11
	v_cndmask_b32_e64 v10, v14, v10, s0
	v_cmp_lt_u32_e64 s1, 31, v11
	v_dual_cndmask_b32 v8, v8, v18, s0 :: v_dual_cndmask_b32 v9, v9, v20, s0
	s_delay_alu instid0(VALU_DEP_2) | instskip(NEXT) | instid1(VALU_DEP_4)
	v_cndmask_b32_e64 v13, 0, 0xffffffe0, s1
	v_dual_cndmask_b32 v16, v17, v12, s1 :: v_dual_cndmask_b32 v10, v12, v10, s1
	s_delay_alu instid0(VALU_DEP_2) | instskip(NEXT) | instid1(VALU_DEP_1)
	v_add_nc_u32_e32 v11, v13, v11
	v_cmp_lt_u32_e64 s2, 31, v11
	s_delay_alu instid0(VALU_DEP_1) | instskip(NEXT) | instid1(VALU_DEP_1)
	v_cndmask_b32_e64 v13, 0, 0xffffffe0, s2
	v_dual_cndmask_b32 v10, v16, v10, s2 :: v_dual_add_nc_u32 v11, v13, v11
	v_dual_cndmask_b32 v13, v8, v15, s1 :: v_dual_cndmask_b32 v8, v9, v8, s1
	s_delay_alu instid0(VALU_DEP_2) | instskip(SKIP_1) | instid1(VALU_DEP_3)
	v_dual_cndmask_b32 v9, v15, v17, s1 :: v_dual_sub_nc_u32 v15, 32, v11
	v_cmp_eq_u32_e64 s0, 0, v11
	v_cndmask_b32_e64 v8, v8, v13, s2
	s_delay_alu instid0(VALU_DEP_3) | instskip(SKIP_1) | instid1(VALU_DEP_2)
	v_cndmask_b32_e64 v13, v13, v9, s2
	v_cndmask_b32_e64 v9, v9, v16, s2
	v_alignbit_b32 v17, v8, v13, v15
	s_delay_alu instid0(VALU_DEP_2) | instskip(SKIP_1) | instid1(VALU_DEP_2)
	v_alignbit_b32 v14, v13, v9, v15
	v_alignbit_b32 v15, v9, v10, v15
	v_dual_cndmask_b32 v8, v17, v8, s0 :: v_dual_cndmask_b32 v11, v14, v13, s0
	s_delay_alu instid0(VALU_DEP_2) | instskip(NEXT) | instid1(VALU_DEP_2)
	v_cndmask_b32_e64 v9, v15, v9, s0
	v_bfe_u32 v12, v8, 29, 1
	s_delay_alu instid0(VALU_DEP_3) | instskip(NEXT) | instid1(VALU_DEP_3)
	v_alignbit_b32 v13, v8, v11, 30
	v_alignbit_b32 v11, v11, v9, 30
	;; [unrolled: 1-line block ×3, first 2 shown]
	s_delay_alu instid0(VALU_DEP_4) | instskip(NEXT) | instid1(VALU_DEP_1)
	v_sub_nc_u32_e32 v14, 0, v12
	v_xor_b32_e32 v13, v13, v14
	s_delay_alu instid0(VALU_DEP_4) | instskip(NEXT) | instid1(VALU_DEP_4)
	v_xor_b32_e32 v10, v11, v14
	v_dual_lshrrev_b32 v14, 29, v8 :: v_dual_bitop2_b32 v9, v9, v14 bitop3:0x14
	s_delay_alu instid0(VALU_DEP_3) | instskip(NEXT) | instid1(VALU_DEP_1)
	v_clz_i32_u32_e32 v15, v13
	v_min_u32_e32 v15, 32, v15
	s_delay_alu instid0(VALU_DEP_1) | instskip(NEXT) | instid1(VALU_DEP_1)
	v_dual_sub_nc_u32 v11, 31, v15 :: v_dual_lshlrev_b32 v16, 23, v15
	v_alignbit_b32 v13, v13, v10, v11
	v_alignbit_b32 v9, v10, v9, v11
	v_lshlrev_b32_e32 v10, 31, v14
	s_delay_alu instid0(VALU_DEP_2) | instskip(NEXT) | instid1(VALU_DEP_2)
	v_alignbit_b32 v11, v13, v9, 9
	v_dual_lshrrev_b32 v13, 9, v13 :: v_dual_bitop2_b32 v14, 0.5, v10 bitop3:0x54
	v_or_b32_e32 v10, 0x33000000, v10
	s_delay_alu instid0(VALU_DEP_3) | instskip(NEXT) | instid1(VALU_DEP_3)
	v_clz_i32_u32_e32 v17, v11
	v_sub_nc_u32_e32 v14, v14, v16
	s_delay_alu instid0(VALU_DEP_2) | instskip(NEXT) | instid1(VALU_DEP_1)
	v_min_u32_e32 v16, 32, v17
	v_add_lshl_u32 v15, v16, v15, 23
	s_delay_alu instid0(VALU_DEP_3) | instskip(SKIP_1) | instid1(VALU_DEP_2)
	v_or_b32_e32 v13, v13, v14
	v_not_b32_e32 v14, v16
	v_dual_mul_f32 v17, 0x3fc90fda, v13 :: v_dual_sub_nc_u32 v10, v10, v15
	s_delay_alu instid0(VALU_DEP_2) | instskip(NEXT) | instid1(VALU_DEP_2)
	v_alignbit_b32 v9, v11, v9, v14
	v_fma_f32 v11, 0x3fc90fda, v13, -v17
	s_delay_alu instid0(VALU_DEP_2) | instskip(NEXT) | instid1(VALU_DEP_2)
	v_lshrrev_b32_e32 v9, 9, v9
	v_fmamk_f32 v11, v13, 0x33a22168, v11
	s_delay_alu instid0(VALU_DEP_2) | instskip(NEXT) | instid1(VALU_DEP_1)
	v_or_b32_e32 v9, v10, v9
	v_fmac_f32_e32 v11, 0x3fc90fda, v9
	s_delay_alu instid0(VALU_DEP_1) | instskip(NEXT) | instid1(VALU_DEP_1)
	v_dual_add_f32 v8, v17, v11 :: v_dual_lshrrev_b32 v9, 30, v8
	v_add_nc_u32_e32 v9, v12, v9
.LBB22_23:
	s_and_not1_saveexec_b32 s0, s7
; %bb.24:
	v_mul_f32_e64 v8, 0x3f22f983, |v5|
	s_delay_alu instid0(VALU_DEP_1) | instskip(NEXT) | instid1(VALU_DEP_1)
	v_rndne_f32_e32 v9, v8
	v_fma_f32 v8, 0xbfc90fda, v9, |v5|
	s_delay_alu instid0(VALU_DEP_1) | instskip(NEXT) | instid1(VALU_DEP_1)
	v_fmamk_f32 v8, v9, 0xb3a22168, v8
	v_fmamk_f32 v8, v9, 0xa7c234c4, v8
	v_cvt_i32_f32_e32 v9, v9
; %bb.25:
	s_or_b32 exec_lo, exec_lo, s0
	s_delay_alu instid0(VALU_DEP_1) | instskip(SKIP_3) | instid1(VALU_DEP_2)
	v_dual_mul_f32 v10, v8, v8 :: v_dual_bitop2_b32 v13, 1, v9 bitop3:0x40
	s_mov_b32 s0, 0xb94c1982
	s_mov_b32 s1, 0x37d75334
	v_lshlrev_b32_e32 v9, 30, v9
	v_fmaak_f32 v11, s0, v10, 0x3c0881c4
	v_cmp_eq_u32_e64 s0, 0, v13
	v_xor_b32_e32 v6, v6, v5
	s_delay_alu instid0(VALU_DEP_4) | instskip(NEXT) | instid1(VALU_DEP_4)
	v_and_b32_e32 v9, 0x80000000, v9
	v_fmaak_f32 v11, v10, v11, 0xbe2aaa9d
	s_delay_alu instid0(VALU_DEP_1) | instskip(NEXT) | instid1(VALU_DEP_1)
	v_dual_fmaak_f32 v12, s1, v10, 0xbab64f3b :: v_dual_mul_f32 v11, v10, v11
	v_fmaak_f32 v12, v10, v12, 0x3d2aabf7
	s_delay_alu instid0(VALU_DEP_2) | instskip(NEXT) | instid1(VALU_DEP_2)
	v_fmac_f32_e32 v8, v8, v11
	v_fmaak_f32 v12, v10, v12, 0xbf000004
	s_delay_alu instid0(VALU_DEP_1) | instskip(NEXT) | instid1(VALU_DEP_1)
	v_fma_f32 v10, v10, v12, 1.0
	v_cndmask_b32_e64 v8, v10, v8, s0
	v_cmp_class_f32_e64 s0, v5, 0x1f8
	s_delay_alu instid0(VALU_DEP_2) | instskip(NEXT) | instid1(VALU_DEP_1)
	v_xor3_b32 v6, v6, v9, v8
	v_cndmask_b32_e64 v5, 0x7fc00000, v6, s0
	s_delay_alu instid0(VALU_DEP_1)
	v_cvt_f16_f32_e32 v6, v5
.LBB22_26:
	s_or_b32 exec_lo, exec_lo, s6
	v_or_b32_e32 v5, 0x300, v0
	s_delay_alu instid0(VALU_DEP_1)
	v_cmp_gt_i32_e64 s0, s8, v5
                                        ; implicit-def: $vgpr5
	s_and_saveexec_b32 s6, s0
	s_cbranch_execz .LBB22_36
; %bb.27:
	v_and_b32_e32 v5, 0x7fffffff, v3
                                        ; implicit-def: $vgpr9
                                        ; implicit-def: $vgpr8
	s_mov_b32 s1, exec_lo
	v_cmpx_ngt_f32_e64 0x48000000, |v3|
	s_xor_b32 s7, exec_lo, s1
	s_cbranch_execz .LBB22_29
; %bb.28:
	s_mov_b32 s0, 0x7fffff
	v_mov_b32_e32 v9, 0
	v_and_or_b32 v8, v5, s0, 0x800000
	s_mov_b64 s[0:1], 0xfe5163ab
	s_delay_alu instid0(VALU_DEP_1) | instid1(SALU_CYCLE_1)
	v_mul_u64_e32 v[10:11], s[0:1], v[8:9]
	s_delay_alu instid0(VALU_DEP_1) | instskip(SKIP_2) | instid1(VALU_DEP_3)
	v_dual_mov_b32 v12, v11 :: v_dual_mov_b32 v13, v9
	v_dual_mov_b32 v15, v9 :: v_dual_mov_b32 v17, v9
	v_dual_mov_b32 v19, v9 :: v_dual_lshrrev_b32 v11, 23, v5
	v_mad_nc_u64_u32 v[12:13], 0x3c439041, v8, v[12:13]
	s_delay_alu instid0(VALU_DEP_1) | instskip(NEXT) | instid1(VALU_DEP_1)
	v_mov_b32_e32 v14, v13
	v_mad_nc_u64_u32 v[14:15], 0xdb629599, v8, v[14:15]
	s_delay_alu instid0(VALU_DEP_1) | instskip(NEXT) | instid1(VALU_DEP_1)
	v_mov_b32_e32 v16, v15
	;; [unrolled: 3-line block ×3, first 2 shown]
	v_mad_nc_u64_u32 v[18:19], 0xfc2757d1, v8, v[18:19]
	s_delay_alu instid0(VALU_DEP_1) | instskip(NEXT) | instid1(VALU_DEP_1)
	v_dual_mov_b32 v21, v9 :: v_dual_mov_b32 v20, v19
	v_mad_nc_u64_u32 v[20:21], 0x4e441529, v8, v[20:21]
	s_delay_alu instid0(VALU_DEP_1) | instskip(NEXT) | instid1(VALU_DEP_1)
	v_dual_mov_b32 v22, v21 :: v_dual_add_nc_u32 v11, 0xffffff88, v11
	v_cmp_lt_u32_e64 s0, 63, v11
	v_mov_b32_e32 v23, v9
	s_delay_alu instid0(VALU_DEP_2) | instskip(NEXT) | instid1(VALU_DEP_2)
	v_cndmask_b32_e64 v13, 0, 0xffffffc0, s0
	v_mad_nc_u64_u32 v[8:9], 0xa2f9836e, v8, v[22:23]
	v_dual_cndmask_b32 v15, v20, v16, s0 :: v_dual_cndmask_b32 v17, v18, v14, s0
	s_delay_alu instid0(VALU_DEP_3) | instskip(SKIP_1) | instid1(VALU_DEP_2)
	v_dual_cndmask_b32 v12, v16, v12, s0 :: v_dual_add_nc_u32 v11, v13, v11
	v_cndmask_b32_e64 v10, v14, v10, s0
	v_cmp_lt_u32_e64 s1, 31, v11
	v_dual_cndmask_b32 v8, v8, v18, s0 :: v_dual_cndmask_b32 v9, v9, v20, s0
	s_delay_alu instid0(VALU_DEP_2) | instskip(NEXT) | instid1(VALU_DEP_4)
	v_cndmask_b32_e64 v13, 0, 0xffffffe0, s1
	v_dual_cndmask_b32 v16, v17, v12, s1 :: v_dual_cndmask_b32 v10, v12, v10, s1
	s_delay_alu instid0(VALU_DEP_2) | instskip(NEXT) | instid1(VALU_DEP_1)
	v_add_nc_u32_e32 v11, v13, v11
	v_cmp_lt_u32_e64 s2, 31, v11
	s_delay_alu instid0(VALU_DEP_1) | instskip(NEXT) | instid1(VALU_DEP_1)
	v_cndmask_b32_e64 v13, 0, 0xffffffe0, s2
	v_dual_cndmask_b32 v10, v16, v10, s2 :: v_dual_add_nc_u32 v11, v13, v11
	v_dual_cndmask_b32 v13, v8, v15, s1 :: v_dual_cndmask_b32 v8, v9, v8, s1
	s_delay_alu instid0(VALU_DEP_2) | instskip(SKIP_1) | instid1(VALU_DEP_3)
	v_dual_cndmask_b32 v9, v15, v17, s1 :: v_dual_sub_nc_u32 v15, 32, v11
	v_cmp_eq_u32_e64 s0, 0, v11
	v_cndmask_b32_e64 v8, v8, v13, s2
	s_delay_alu instid0(VALU_DEP_3) | instskip(SKIP_1) | instid1(VALU_DEP_2)
	v_cndmask_b32_e64 v13, v13, v9, s2
	v_cndmask_b32_e64 v9, v9, v16, s2
	v_alignbit_b32 v17, v8, v13, v15
	s_delay_alu instid0(VALU_DEP_2) | instskip(SKIP_1) | instid1(VALU_DEP_2)
	v_alignbit_b32 v14, v13, v9, v15
	v_alignbit_b32 v15, v9, v10, v15
	v_dual_cndmask_b32 v8, v17, v8, s0 :: v_dual_cndmask_b32 v11, v14, v13, s0
	s_delay_alu instid0(VALU_DEP_2) | instskip(NEXT) | instid1(VALU_DEP_2)
	v_cndmask_b32_e64 v9, v15, v9, s0
	v_bfe_u32 v12, v8, 29, 1
	s_delay_alu instid0(VALU_DEP_3) | instskip(NEXT) | instid1(VALU_DEP_3)
	v_alignbit_b32 v13, v8, v11, 30
	v_alignbit_b32 v11, v11, v9, 30
	;; [unrolled: 1-line block ×3, first 2 shown]
	s_delay_alu instid0(VALU_DEP_4) | instskip(NEXT) | instid1(VALU_DEP_1)
	v_sub_nc_u32_e32 v14, 0, v12
	v_xor_b32_e32 v13, v13, v14
	s_delay_alu instid0(VALU_DEP_4) | instskip(NEXT) | instid1(VALU_DEP_4)
	v_xor_b32_e32 v10, v11, v14
	v_dual_lshrrev_b32 v14, 29, v8 :: v_dual_bitop2_b32 v9, v9, v14 bitop3:0x14
	s_delay_alu instid0(VALU_DEP_3) | instskip(NEXT) | instid1(VALU_DEP_1)
	v_clz_i32_u32_e32 v15, v13
	v_min_u32_e32 v15, 32, v15
	s_delay_alu instid0(VALU_DEP_1) | instskip(NEXT) | instid1(VALU_DEP_1)
	v_dual_sub_nc_u32 v11, 31, v15 :: v_dual_lshlrev_b32 v16, 23, v15
	v_alignbit_b32 v13, v13, v10, v11
	v_alignbit_b32 v9, v10, v9, v11
	v_lshlrev_b32_e32 v10, 31, v14
	s_delay_alu instid0(VALU_DEP_2) | instskip(NEXT) | instid1(VALU_DEP_2)
	v_alignbit_b32 v11, v13, v9, 9
	v_dual_lshrrev_b32 v13, 9, v13 :: v_dual_bitop2_b32 v14, 0.5, v10 bitop3:0x54
	v_or_b32_e32 v10, 0x33000000, v10
	s_delay_alu instid0(VALU_DEP_3) | instskip(NEXT) | instid1(VALU_DEP_3)
	v_clz_i32_u32_e32 v17, v11
	v_sub_nc_u32_e32 v14, v14, v16
	s_delay_alu instid0(VALU_DEP_2) | instskip(NEXT) | instid1(VALU_DEP_1)
	v_min_u32_e32 v16, 32, v17
	v_add_lshl_u32 v15, v16, v15, 23
	s_delay_alu instid0(VALU_DEP_3) | instskip(SKIP_1) | instid1(VALU_DEP_2)
	v_or_b32_e32 v13, v13, v14
	v_not_b32_e32 v14, v16
	v_dual_mul_f32 v17, 0x3fc90fda, v13 :: v_dual_sub_nc_u32 v10, v10, v15
	s_delay_alu instid0(VALU_DEP_2) | instskip(NEXT) | instid1(VALU_DEP_2)
	v_alignbit_b32 v9, v11, v9, v14
	v_fma_f32 v11, 0x3fc90fda, v13, -v17
	s_delay_alu instid0(VALU_DEP_2) | instskip(NEXT) | instid1(VALU_DEP_2)
	v_lshrrev_b32_e32 v9, 9, v9
	v_fmamk_f32 v11, v13, 0x33a22168, v11
	s_delay_alu instid0(VALU_DEP_2) | instskip(NEXT) | instid1(VALU_DEP_1)
	v_or_b32_e32 v9, v10, v9
	v_fmac_f32_e32 v11, 0x3fc90fda, v9
	s_delay_alu instid0(VALU_DEP_1) | instskip(NEXT) | instid1(VALU_DEP_1)
	v_dual_add_f32 v8, v17, v11 :: v_dual_lshrrev_b32 v9, 30, v8
	v_add_nc_u32_e32 v9, v12, v9
.LBB22_29:
	s_and_not1_saveexec_b32 s0, s7
; %bb.30:
	v_mul_f32_e64 v8, 0x3f22f983, |v3|
	s_delay_alu instid0(VALU_DEP_1) | instskip(NEXT) | instid1(VALU_DEP_1)
	v_rndne_f32_e32 v9, v8
	v_fma_f32 v8, 0xbfc90fda, v9, |v3|
	s_delay_alu instid0(VALU_DEP_1) | instskip(NEXT) | instid1(VALU_DEP_1)
	v_fmamk_f32 v8, v9, 0xb3a22168, v8
	v_fmamk_f32 v8, v9, 0xa7c234c4, v8
	v_cvt_i32_f32_e32 v9, v9
; %bb.31:
	s_or_b32 exec_lo, exec_lo, s0
	s_delay_alu instid0(VALU_DEP_1) | instskip(SKIP_3) | instid1(VALU_DEP_2)
	v_dual_mul_f32 v10, v8, v8 :: v_dual_bitop2_b32 v13, 1, v9 bitop3:0x40
	s_mov_b32 s0, 0xb94c1982
	s_mov_b32 s1, 0x37d75334
	v_lshlrev_b32_e32 v9, 30, v9
	v_fmaak_f32 v11, s0, v10, 0x3c0881c4
	v_cmp_eq_u32_e64 s0, 0, v13
	v_xor_b32_e32 v5, v5, v3
	s_delay_alu instid0(VALU_DEP_4) | instskip(NEXT) | instid1(VALU_DEP_4)
	v_and_b32_e32 v9, 0x80000000, v9
	v_fmaak_f32 v11, v10, v11, 0xbe2aaa9d
	s_delay_alu instid0(VALU_DEP_1) | instskip(NEXT) | instid1(VALU_DEP_1)
	v_dual_fmaak_f32 v12, s1, v10, 0xbab64f3b :: v_dual_mul_f32 v11, v10, v11
	v_fmaak_f32 v12, v10, v12, 0x3d2aabf7
	s_delay_alu instid0(VALU_DEP_2) | instskip(NEXT) | instid1(VALU_DEP_2)
	v_fmac_f32_e32 v8, v8, v11
	v_fmaak_f32 v12, v10, v12, 0xbf000004
	s_delay_alu instid0(VALU_DEP_1) | instskip(NEXT) | instid1(VALU_DEP_1)
	v_fma_f32 v10, v10, v12, 1.0
	v_cndmask_b32_e64 v8, v10, v8, s0
	v_cmp_class_f32_e64 s0, v3, 0x1f8
	s_delay_alu instid0(VALU_DEP_2) | instskip(NEXT) | instid1(VALU_DEP_1)
	v_xor3_b32 v5, v5, v9, v8
	v_cndmask_b32_e64 v3, 0x7fc00000, v5, s0
	s_delay_alu instid0(VALU_DEP_1) | instskip(SKIP_2) | instid1(SALU_CYCLE_1)
	v_cvt_f16_f32_e32 v5, v3
	s_or_b32 exec_lo, exec_lo, s6
	s_and_saveexec_b32 s0, vcc_lo
	s_xor_b32 s0, exec_lo, s0
	s_cbranch_execnz .LBB22_37
.LBB22_32:
	s_or_b32 exec_lo, exec_lo, s0
	s_delay_alu instid0(SALU_CYCLE_1)
	s_mov_b32 s0, exec_lo
	v_cmpx_gt_i32_e64 s8, v0
	s_cbranch_execz .LBB22_38
.LBB22_33:
	v_add_nc_u32_e32 v1, 0x100, v0
	s_delay_alu instid0(VALU_DEP_1) | instskip(SKIP_3) | instid1(SALU_CYCLE_1)
	v_dual_add_nc_u32 v2, s3, v0 :: v_dual_mov_b32 v0, v1
	global_store_b16 v2, v7, s[4:5] scale_offset
	s_wait_xcnt 0x0
	s_or_b32 exec_lo, exec_lo, s0
	s_mov_b32 s0, exec_lo
	v_cmpx_gt_i32_e64 s8, v0
	s_cbranch_execnz .LBB22_39
.LBB22_34:
	s_or_b32 exec_lo, exec_lo, s0
	s_delay_alu instid0(SALU_CYCLE_1)
	s_mov_b32 s0, exec_lo
	v_cmpx_gt_i32_e64 s8, v0
	s_cbranch_execz .LBB22_40
.LBB22_35:
	v_add_nc_u32_e32 v0, s3, v0
	global_store_b16 v0, v5, s[4:5] scale_offset
	s_endpgm
.LBB22_36:
	s_or_b32 exec_lo, exec_lo, s6
	s_and_saveexec_b32 s0, vcc_lo
	s_delay_alu instid0(SALU_CYCLE_1)
	s_xor_b32 s0, exec_lo, s0
	s_cbranch_execz .LBB22_32
.LBB22_37:
	v_mov_b32_e32 v0, v1
	global_store_b16 v2, v4, s[4:5] scale_offset
	s_wait_xcnt 0x0
	s_or_b32 exec_lo, exec_lo, s0
	s_delay_alu instid0(SALU_CYCLE_1)
	s_mov_b32 s0, exec_lo
	v_cmpx_gt_i32_e64 s8, v0
	s_cbranch_execnz .LBB22_33
.LBB22_38:
	s_or_b32 exec_lo, exec_lo, s0
	s_delay_alu instid0(SALU_CYCLE_1)
	s_mov_b32 s0, exec_lo
	v_cmpx_gt_i32_e64 s8, v0
	s_cbranch_execz .LBB22_34
.LBB22_39:
	v_add_nc_u32_e32 v1, 0x100, v0
	s_delay_alu instid0(VALU_DEP_1) | instskip(SKIP_3) | instid1(SALU_CYCLE_1)
	v_dual_add_nc_u32 v2, s3, v0 :: v_dual_mov_b32 v0, v1
	global_store_b16 v2, v6, s[4:5] scale_offset
	s_wait_xcnt 0x0
	s_or_b32 exec_lo, exec_lo, s0
	s_mov_b32 s0, exec_lo
	v_cmpx_gt_i32_e64 s8, v0
	s_cbranch_execnz .LBB22_35
.LBB22_40:
	s_endpgm
	.section	.rodata,"a",@progbits
	.p2align	6, 0x0
	.amdhsa_kernel _ZN2at6native27unrolled_elementwise_kernelIZZZNS0_15sin_kernel_cudaERNS_18TensorIteratorBaseEENKUlvE0_clEvENKUlvE1_clEvEUlN3c104HalfEE_St5arrayIPcLm2EELi4E23TrivialOffsetCalculatorILi1EjESD_NS0_6memory15LoadWithoutCastENSE_16StoreWithoutCastEEEviT_T0_T2_T3_T4_T5_
		.amdhsa_group_segment_fixed_size 0
		.amdhsa_private_segment_fixed_size 0
		.amdhsa_kernarg_size 28
		.amdhsa_user_sgpr_count 2
		.amdhsa_user_sgpr_dispatch_ptr 0
		.amdhsa_user_sgpr_queue_ptr 0
		.amdhsa_user_sgpr_kernarg_segment_ptr 1
		.amdhsa_user_sgpr_dispatch_id 0
		.amdhsa_user_sgpr_kernarg_preload_length 0
		.amdhsa_user_sgpr_kernarg_preload_offset 0
		.amdhsa_user_sgpr_private_segment_size 0
		.amdhsa_wavefront_size32 1
		.amdhsa_uses_dynamic_stack 0
		.amdhsa_enable_private_segment 0
		.amdhsa_system_sgpr_workgroup_id_x 1
		.amdhsa_system_sgpr_workgroup_id_y 0
		.amdhsa_system_sgpr_workgroup_id_z 0
		.amdhsa_system_sgpr_workgroup_info 0
		.amdhsa_system_vgpr_workitem_id 0
		.amdhsa_next_free_vgpr 24
		.amdhsa_next_free_sgpr 9
		.amdhsa_named_barrier_count 0
		.amdhsa_reserve_vcc 1
		.amdhsa_float_round_mode_32 0
		.amdhsa_float_round_mode_16_64 0
		.amdhsa_float_denorm_mode_32 3
		.amdhsa_float_denorm_mode_16_64 3
		.amdhsa_fp16_overflow 0
		.amdhsa_memory_ordered 1
		.amdhsa_forward_progress 1
		.amdhsa_inst_pref_size 38
		.amdhsa_round_robin_scheduling 0
		.amdhsa_exception_fp_ieee_invalid_op 0
		.amdhsa_exception_fp_denorm_src 0
		.amdhsa_exception_fp_ieee_div_zero 0
		.amdhsa_exception_fp_ieee_overflow 0
		.amdhsa_exception_fp_ieee_underflow 0
		.amdhsa_exception_fp_ieee_inexact 0
		.amdhsa_exception_int_div_zero 0
	.end_amdhsa_kernel
	.section	.text._ZN2at6native27unrolled_elementwise_kernelIZZZNS0_15sin_kernel_cudaERNS_18TensorIteratorBaseEENKUlvE0_clEvENKUlvE1_clEvEUlN3c104HalfEE_St5arrayIPcLm2EELi4E23TrivialOffsetCalculatorILi1EjESD_NS0_6memory15LoadWithoutCastENSE_16StoreWithoutCastEEEviT_T0_T2_T3_T4_T5_,"axG",@progbits,_ZN2at6native27unrolled_elementwise_kernelIZZZNS0_15sin_kernel_cudaERNS_18TensorIteratorBaseEENKUlvE0_clEvENKUlvE1_clEvEUlN3c104HalfEE_St5arrayIPcLm2EELi4E23TrivialOffsetCalculatorILi1EjESD_NS0_6memory15LoadWithoutCastENSE_16StoreWithoutCastEEEviT_T0_T2_T3_T4_T5_,comdat
.Lfunc_end22:
	.size	_ZN2at6native27unrolled_elementwise_kernelIZZZNS0_15sin_kernel_cudaERNS_18TensorIteratorBaseEENKUlvE0_clEvENKUlvE1_clEvEUlN3c104HalfEE_St5arrayIPcLm2EELi4E23TrivialOffsetCalculatorILi1EjESD_NS0_6memory15LoadWithoutCastENSE_16StoreWithoutCastEEEviT_T0_T2_T3_T4_T5_, .Lfunc_end22-_ZN2at6native27unrolled_elementwise_kernelIZZZNS0_15sin_kernel_cudaERNS_18TensorIteratorBaseEENKUlvE0_clEvENKUlvE1_clEvEUlN3c104HalfEE_St5arrayIPcLm2EELi4E23TrivialOffsetCalculatorILi1EjESD_NS0_6memory15LoadWithoutCastENSE_16StoreWithoutCastEEEviT_T0_T2_T3_T4_T5_
                                        ; -- End function
	.set _ZN2at6native27unrolled_elementwise_kernelIZZZNS0_15sin_kernel_cudaERNS_18TensorIteratorBaseEENKUlvE0_clEvENKUlvE1_clEvEUlN3c104HalfEE_St5arrayIPcLm2EELi4E23TrivialOffsetCalculatorILi1EjESD_NS0_6memory15LoadWithoutCastENSE_16StoreWithoutCastEEEviT_T0_T2_T3_T4_T5_.num_vgpr, 24
	.set _ZN2at6native27unrolled_elementwise_kernelIZZZNS0_15sin_kernel_cudaERNS_18TensorIteratorBaseEENKUlvE0_clEvENKUlvE1_clEvEUlN3c104HalfEE_St5arrayIPcLm2EELi4E23TrivialOffsetCalculatorILi1EjESD_NS0_6memory15LoadWithoutCastENSE_16StoreWithoutCastEEEviT_T0_T2_T3_T4_T5_.num_agpr, 0
	.set _ZN2at6native27unrolled_elementwise_kernelIZZZNS0_15sin_kernel_cudaERNS_18TensorIteratorBaseEENKUlvE0_clEvENKUlvE1_clEvEUlN3c104HalfEE_St5arrayIPcLm2EELi4E23TrivialOffsetCalculatorILi1EjESD_NS0_6memory15LoadWithoutCastENSE_16StoreWithoutCastEEEviT_T0_T2_T3_T4_T5_.numbered_sgpr, 9
	.set _ZN2at6native27unrolled_elementwise_kernelIZZZNS0_15sin_kernel_cudaERNS_18TensorIteratorBaseEENKUlvE0_clEvENKUlvE1_clEvEUlN3c104HalfEE_St5arrayIPcLm2EELi4E23TrivialOffsetCalculatorILi1EjESD_NS0_6memory15LoadWithoutCastENSE_16StoreWithoutCastEEEviT_T0_T2_T3_T4_T5_.num_named_barrier, 0
	.set _ZN2at6native27unrolled_elementwise_kernelIZZZNS0_15sin_kernel_cudaERNS_18TensorIteratorBaseEENKUlvE0_clEvENKUlvE1_clEvEUlN3c104HalfEE_St5arrayIPcLm2EELi4E23TrivialOffsetCalculatorILi1EjESD_NS0_6memory15LoadWithoutCastENSE_16StoreWithoutCastEEEviT_T0_T2_T3_T4_T5_.private_seg_size, 0
	.set _ZN2at6native27unrolled_elementwise_kernelIZZZNS0_15sin_kernel_cudaERNS_18TensorIteratorBaseEENKUlvE0_clEvENKUlvE1_clEvEUlN3c104HalfEE_St5arrayIPcLm2EELi4E23TrivialOffsetCalculatorILi1EjESD_NS0_6memory15LoadWithoutCastENSE_16StoreWithoutCastEEEviT_T0_T2_T3_T4_T5_.uses_vcc, 1
	.set _ZN2at6native27unrolled_elementwise_kernelIZZZNS0_15sin_kernel_cudaERNS_18TensorIteratorBaseEENKUlvE0_clEvENKUlvE1_clEvEUlN3c104HalfEE_St5arrayIPcLm2EELi4E23TrivialOffsetCalculatorILi1EjESD_NS0_6memory15LoadWithoutCastENSE_16StoreWithoutCastEEEviT_T0_T2_T3_T4_T5_.uses_flat_scratch, 0
	.set _ZN2at6native27unrolled_elementwise_kernelIZZZNS0_15sin_kernel_cudaERNS_18TensorIteratorBaseEENKUlvE0_clEvENKUlvE1_clEvEUlN3c104HalfEE_St5arrayIPcLm2EELi4E23TrivialOffsetCalculatorILi1EjESD_NS0_6memory15LoadWithoutCastENSE_16StoreWithoutCastEEEviT_T0_T2_T3_T4_T5_.has_dyn_sized_stack, 0
	.set _ZN2at6native27unrolled_elementwise_kernelIZZZNS0_15sin_kernel_cudaERNS_18TensorIteratorBaseEENKUlvE0_clEvENKUlvE1_clEvEUlN3c104HalfEE_St5arrayIPcLm2EELi4E23TrivialOffsetCalculatorILi1EjESD_NS0_6memory15LoadWithoutCastENSE_16StoreWithoutCastEEEviT_T0_T2_T3_T4_T5_.has_recursion, 0
	.set _ZN2at6native27unrolled_elementwise_kernelIZZZNS0_15sin_kernel_cudaERNS_18TensorIteratorBaseEENKUlvE0_clEvENKUlvE1_clEvEUlN3c104HalfEE_St5arrayIPcLm2EELi4E23TrivialOffsetCalculatorILi1EjESD_NS0_6memory15LoadWithoutCastENSE_16StoreWithoutCastEEEviT_T0_T2_T3_T4_T5_.has_indirect_call, 0
	.section	.AMDGPU.csdata,"",@progbits
; Kernel info:
; codeLenInByte = 4844
; TotalNumSgprs: 11
; NumVgprs: 24
; ScratchSize: 0
; MemoryBound: 0
; FloatMode: 240
; IeeeMode: 1
; LDSByteSize: 0 bytes/workgroup (compile time only)
; SGPRBlocks: 0
; VGPRBlocks: 1
; NumSGPRsForWavesPerEU: 11
; NumVGPRsForWavesPerEU: 24
; NamedBarCnt: 0
; Occupancy: 16
; WaveLimiterHint : 0
; COMPUTE_PGM_RSRC2:SCRATCH_EN: 0
; COMPUTE_PGM_RSRC2:USER_SGPR: 2
; COMPUTE_PGM_RSRC2:TRAP_HANDLER: 0
; COMPUTE_PGM_RSRC2:TGID_X_EN: 1
; COMPUTE_PGM_RSRC2:TGID_Y_EN: 0
; COMPUTE_PGM_RSRC2:TGID_Z_EN: 0
; COMPUTE_PGM_RSRC2:TIDIG_COMP_CNT: 0
	.section	.text._ZN2at6native32elementwise_kernel_manual_unrollILi128ELi8EZNS0_22gpu_kernel_impl_nocastIZZZNS0_15sin_kernel_cudaERNS_18TensorIteratorBaseEENKUlvE0_clEvENKUlvE1_clEvEUlN3c104HalfEE_EEvS4_RKT_EUlibE_EEviT1_,"axG",@progbits,_ZN2at6native32elementwise_kernel_manual_unrollILi128ELi8EZNS0_22gpu_kernel_impl_nocastIZZZNS0_15sin_kernel_cudaERNS_18TensorIteratorBaseEENKUlvE0_clEvENKUlvE1_clEvEUlN3c104HalfEE_EEvS4_RKT_EUlibE_EEviT1_,comdat
	.globl	_ZN2at6native32elementwise_kernel_manual_unrollILi128ELi8EZNS0_22gpu_kernel_impl_nocastIZZZNS0_15sin_kernel_cudaERNS_18TensorIteratorBaseEENKUlvE0_clEvENKUlvE1_clEvEUlN3c104HalfEE_EEvS4_RKT_EUlibE_EEviT1_ ; -- Begin function _ZN2at6native32elementwise_kernel_manual_unrollILi128ELi8EZNS0_22gpu_kernel_impl_nocastIZZZNS0_15sin_kernel_cudaERNS_18TensorIteratorBaseEENKUlvE0_clEvENKUlvE1_clEvEUlN3c104HalfEE_EEvS4_RKT_EUlibE_EEviT1_
	.p2align	8
	.type	_ZN2at6native32elementwise_kernel_manual_unrollILi128ELi8EZNS0_22gpu_kernel_impl_nocastIZZZNS0_15sin_kernel_cudaERNS_18TensorIteratorBaseEENKUlvE0_clEvENKUlvE1_clEvEUlN3c104HalfEE_EEvS4_RKT_EUlibE_EEviT1_,@function
_ZN2at6native32elementwise_kernel_manual_unrollILi128ELi8EZNS0_22gpu_kernel_impl_nocastIZZZNS0_15sin_kernel_cudaERNS_18TensorIteratorBaseEENKUlvE0_clEvENKUlvE1_clEvEUlN3c104HalfEE_EEvS4_RKT_EUlibE_EEviT1_: ; @_ZN2at6native32elementwise_kernel_manual_unrollILi128ELi8EZNS0_22gpu_kernel_impl_nocastIZZZNS0_15sin_kernel_cudaERNS_18TensorIteratorBaseEENKUlvE0_clEvENKUlvE1_clEvEUlN3c104HalfEE_EEvS4_RKT_EUlibE_EEviT1_
; %bb.0:
	s_clause 0x1
	s_load_b32 s28, s[0:1], 0x8
	s_load_b32 s34, s[0:1], 0x0
	s_bfe_u32 s2, ttmp6, 0x4000c
	s_and_b32 s3, ttmp6, 15
	s_add_co_i32 s2, s2, 1
	s_getreg_b32 s4, hwreg(HW_REG_IB_STS2, 6, 4)
	s_mul_i32 s2, ttmp9, s2
	s_mov_b32 s19, 0
	s_add_co_i32 s3, s3, s2
	s_cmp_eq_u32 s4, 0
	s_cselect_b32 s2, ttmp9, s3
	s_delay_alu instid0(SALU_CYCLE_1) | instskip(SKIP_3) | instid1(VALU_DEP_1)
	v_lshl_or_b32 v0, s2, 10, v0
	s_add_nc_u64 s[2:3], s[0:1], 8
	s_wait_xcnt 0x0
	s_mov_b32 s0, exec_lo
	v_or_b32_e32 v16, 0x380, v0
	s_wait_kmcnt 0x0
	s_add_co_i32 s29, s28, -1
	s_delay_alu instid0(SALU_CYCLE_1)
	s_cmp_gt_u32 s29, 1
	s_cselect_b32 s30, -1, 0
	v_cmpx_le_i32_e64 s34, v16
	s_xor_b32 s31, exec_lo, s0
	s_cbranch_execz .LBB23_7
; %bb.1:
	s_clause 0x3
	s_load_b128 s[8:11], s[2:3], 0x4
	s_load_b64 s[16:17], s[2:3], 0x14
	s_load_b128 s[12:15], s[2:3], 0xc4
	s_load_b128 s[4:7], s[2:3], 0x148
	s_cmp_lg_u32 s28, 0
	s_add_nc_u64 s[22:23], s[2:3], 0xc4
	s_cselect_b32 s36, -1, 0
	s_min_u32 s35, s29, 15
	s_cmp_gt_u32 s28, 1
	s_mov_b32 s21, s19
	s_cselect_b32 s33, -1, 0
	s_wait_kmcnt 0x0
	s_mov_b32 s18, s9
	s_mov_b32 s20, s16
	s_mov_b32 s9, exec_lo
	v_cmpx_gt_i32_e64 s34, v0
	s_cbranch_execz .LBB23_14
; %bb.2:
	s_and_not1_b32 vcc_lo, exec_lo, s30
	s_cbranch_vccnz .LBB23_21
; %bb.3:
	s_and_not1_b32 vcc_lo, exec_lo, s36
	s_cbranch_vccnz .LBB23_161
; %bb.4:
	s_add_co_i32 s1, s35, 1
	s_cmp_eq_u32 s29, 2
	s_cbranch_scc1 .LBB23_163
; %bb.5:
	v_dual_mov_b32 v2, 0 :: v_dual_mov_b32 v3, 0
	v_mov_b32_e32 v1, v0
	s_and_b32 s0, s1, 28
	s_mov_b32 s16, 0
	s_mov_b64 s[24:25], s[2:3]
	s_mov_b64 s[26:27], s[22:23]
.LBB23_6:                               ; =>This Inner Loop Header: Depth=1
	s_clause 0x1
	s_load_b256 s[40:47], s[24:25], 0x4
	s_load_b128 s[56:59], s[24:25], 0x24
	s_load_b256 s[48:55], s[26:27], 0x0
	s_add_co_i32 s16, s16, 4
	s_wait_xcnt 0x0
	s_add_nc_u64 s[24:25], s[24:25], 48
	s_cmp_lg_u32 s0, s16
	s_add_nc_u64 s[26:27], s[26:27], 32
	s_wait_kmcnt 0x0
	v_mul_hi_u32 v4, s41, v1
	s_delay_alu instid0(VALU_DEP_1) | instskip(NEXT) | instid1(VALU_DEP_1)
	v_add_nc_u32_e32 v4, v1, v4
	v_lshrrev_b32_e32 v4, s42, v4
	s_delay_alu instid0(VALU_DEP_1) | instskip(NEXT) | instid1(VALU_DEP_1)
	v_mul_hi_u32 v5, s44, v4
	v_add_nc_u32_e32 v5, v4, v5
	s_delay_alu instid0(VALU_DEP_1) | instskip(NEXT) | instid1(VALU_DEP_1)
	v_lshrrev_b32_e32 v5, s45, v5
	v_mul_hi_u32 v6, s47, v5
	s_delay_alu instid0(VALU_DEP_1) | instskip(SKIP_1) | instid1(VALU_DEP_1)
	v_add_nc_u32_e32 v6, v5, v6
	v_mul_lo_u32 v7, v4, s40
	v_sub_nc_u32_e32 v1, v1, v7
	v_mul_lo_u32 v7, v5, s43
	s_delay_alu instid0(VALU_DEP_4) | instskip(NEXT) | instid1(VALU_DEP_3)
	v_lshrrev_b32_e32 v6, s56, v6
	v_mad_u32 v3, v1, s49, v3
	v_mad_u32 v1, v1, s48, v2
	s_delay_alu instid0(VALU_DEP_4) | instskip(NEXT) | instid1(VALU_DEP_4)
	v_sub_nc_u32_e32 v2, v4, v7
	v_mul_hi_u32 v8, s58, v6
	v_mul_lo_u32 v4, v6, s46
	s_delay_alu instid0(VALU_DEP_3) | instskip(SKIP_1) | instid1(VALU_DEP_4)
	v_mad_u32 v3, v2, s51, v3
	v_mad_u32 v2, v2, s50, v1
	v_add_nc_u32_e32 v7, v6, v8
	s_delay_alu instid0(VALU_DEP_1) | instskip(NEXT) | instid1(VALU_DEP_1)
	v_dual_sub_nc_u32 v4, v5, v4 :: v_dual_lshrrev_b32 v1, s59, v7
	v_mad_u32 v3, v4, s53, v3
	s_delay_alu instid0(VALU_DEP_4) | instskip(NEXT) | instid1(VALU_DEP_3)
	v_mad_u32 v2, v4, s52, v2
	v_mul_lo_u32 v5, v1, s57
	s_delay_alu instid0(VALU_DEP_1) | instskip(NEXT) | instid1(VALU_DEP_1)
	v_sub_nc_u32_e32 v4, v6, v5
	v_mad_u32 v3, v4, s55, v3
	s_delay_alu instid0(VALU_DEP_4)
	v_mad_u32 v2, v4, s54, v2
	s_cbranch_scc1 .LBB23_6
	s_branch .LBB23_164
.LBB23_7:
	s_and_not1_saveexec_b32 s0, s31
	s_cbranch_execz .LBB23_277
.LBB23_8:
	v_cndmask_b32_e64 v14, 0, 1, s30
	s_and_not1_b32 vcc_lo, exec_lo, s30
	s_cbranch_vccnz .LBB23_20
; %bb.9:
	s_cmp_lg_u32 s28, 0
	s_mov_b32 s8, 0
	s_cbranch_scc0 .LBB23_23
; %bb.10:
	s_min_u32 s1, s29, 15
	s_delay_alu instid0(SALU_CYCLE_1)
	s_add_co_i32 s1, s1, 1
	s_cmp_eq_u32 s29, 2
	s_cbranch_scc1 .LBB23_24
; %bb.11:
	v_dual_mov_b32 v2, 0 :: v_dual_mov_b32 v3, 0
	v_mov_b32_e32 v1, v0
	s_and_b32 s0, s1, 28
	s_add_nc_u64 s[4:5], s[2:3], 0xc4
	s_mov_b32 s9, 0
	s_mov_b64 s[6:7], s[2:3]
.LBB23_12:                              ; =>This Inner Loop Header: Depth=1
	s_clause 0x1
	s_load_b256 s[12:19], s[6:7], 0x4
	s_load_b128 s[36:39], s[6:7], 0x24
	s_load_b256 s[20:27], s[4:5], 0x0
	s_add_co_i32 s9, s9, 4
	s_wait_xcnt 0x0
	s_add_nc_u64 s[6:7], s[6:7], 48
	s_cmp_lg_u32 s0, s9
	s_add_nc_u64 s[4:5], s[4:5], 32
	s_wait_kmcnt 0x0
	v_mul_hi_u32 v4, s13, v1
	s_delay_alu instid0(VALU_DEP_1) | instskip(NEXT) | instid1(VALU_DEP_1)
	v_add_nc_u32_e32 v4, v1, v4
	v_lshrrev_b32_e32 v4, s14, v4
	s_delay_alu instid0(VALU_DEP_1) | instskip(NEXT) | instid1(VALU_DEP_1)
	v_mul_hi_u32 v5, s16, v4
	v_add_nc_u32_e32 v5, v4, v5
	s_delay_alu instid0(VALU_DEP_1) | instskip(NEXT) | instid1(VALU_DEP_1)
	v_lshrrev_b32_e32 v5, s17, v5
	v_mul_hi_u32 v6, s19, v5
	s_delay_alu instid0(VALU_DEP_1) | instskip(SKIP_1) | instid1(VALU_DEP_1)
	v_add_nc_u32_e32 v6, v5, v6
	v_mul_lo_u32 v7, v4, s12
	v_sub_nc_u32_e32 v1, v1, v7
	v_mul_lo_u32 v7, v5, s15
	s_delay_alu instid0(VALU_DEP_4) | instskip(NEXT) | instid1(VALU_DEP_3)
	v_lshrrev_b32_e32 v6, s36, v6
	v_mad_u32 v3, v1, s21, v3
	v_mad_u32 v1, v1, s20, v2
	s_delay_alu instid0(VALU_DEP_4) | instskip(NEXT) | instid1(VALU_DEP_4)
	v_sub_nc_u32_e32 v2, v4, v7
	v_mul_hi_u32 v8, s38, v6
	v_mul_lo_u32 v4, v6, s18
	s_delay_alu instid0(VALU_DEP_3) | instskip(SKIP_1) | instid1(VALU_DEP_4)
	v_mad_u32 v3, v2, s23, v3
	v_mad_u32 v2, v2, s22, v1
	v_add_nc_u32_e32 v7, v6, v8
	s_delay_alu instid0(VALU_DEP_1) | instskip(NEXT) | instid1(VALU_DEP_1)
	v_dual_sub_nc_u32 v4, v5, v4 :: v_dual_lshrrev_b32 v1, s39, v7
	v_mad_u32 v3, v4, s25, v3
	s_delay_alu instid0(VALU_DEP_4) | instskip(NEXT) | instid1(VALU_DEP_3)
	v_mad_u32 v2, v4, s24, v2
	v_mul_lo_u32 v5, v1, s37
	s_delay_alu instid0(VALU_DEP_1) | instskip(NEXT) | instid1(VALU_DEP_1)
	v_sub_nc_u32_e32 v4, v6, v5
	v_mad_u32 v3, v4, s27, v3
	s_delay_alu instid0(VALU_DEP_4)
	v_mad_u32 v2, v4, s26, v2
	s_cbranch_scc1 .LBB23_12
; %bb.13:
	s_and_b32 s6, s1, 3
	s_mov_b32 s1, 0
	s_cmp_eq_u32 s6, 0
	s_cbranch_scc0 .LBB23_25
	s_branch .LBB23_27
.LBB23_14:
	s_or_b32 exec_lo, exec_lo, s9
	s_delay_alu instid0(SALU_CYCLE_1)
	s_mov_b32 s9, exec_lo
	v_cmpx_gt_i32_e64 s34, v0
	s_cbranch_execz .LBB23_175
.LBB23_15:
	s_and_not1_b32 vcc_lo, exec_lo, s30
	s_cbranch_vccnz .LBB23_22
; %bb.16:
	s_and_not1_b32 vcc_lo, exec_lo, s36
	s_cbranch_vccnz .LBB23_162
; %bb.17:
	s_add_co_i32 s1, s35, 1
	s_cmp_eq_u32 s29, 2
	s_cbranch_scc1 .LBB23_183
; %bb.18:
	v_dual_mov_b32 v2, 0 :: v_dual_mov_b32 v3, 0
	v_mov_b32_e32 v1, v0
	s_and_b32 s0, s1, 28
	s_mov_b32 s16, 0
	s_mov_b64 s[24:25], s[2:3]
	s_mov_b64 s[26:27], s[22:23]
.LBB23_19:                              ; =>This Inner Loop Header: Depth=1
	s_clause 0x1
	s_load_b256 s[40:47], s[24:25], 0x4
	s_load_b128 s[56:59], s[24:25], 0x24
	s_load_b256 s[48:55], s[26:27], 0x0
	s_add_co_i32 s16, s16, 4
	s_wait_xcnt 0x0
	s_add_nc_u64 s[24:25], s[24:25], 48
	s_cmp_eq_u32 s0, s16
	s_add_nc_u64 s[26:27], s[26:27], 32
	s_wait_kmcnt 0x0
	v_mul_hi_u32 v4, s41, v1
	s_delay_alu instid0(VALU_DEP_1) | instskip(NEXT) | instid1(VALU_DEP_1)
	v_add_nc_u32_e32 v4, v1, v4
	v_lshrrev_b32_e32 v4, s42, v4
	s_delay_alu instid0(VALU_DEP_1) | instskip(NEXT) | instid1(VALU_DEP_1)
	v_mul_hi_u32 v5, s44, v4
	v_add_nc_u32_e32 v5, v4, v5
	s_delay_alu instid0(VALU_DEP_1) | instskip(NEXT) | instid1(VALU_DEP_1)
	v_lshrrev_b32_e32 v5, s45, v5
	v_mul_hi_u32 v6, s47, v5
	s_delay_alu instid0(VALU_DEP_1) | instskip(SKIP_1) | instid1(VALU_DEP_1)
	v_add_nc_u32_e32 v6, v5, v6
	v_mul_lo_u32 v7, v4, s40
	v_sub_nc_u32_e32 v1, v1, v7
	v_mul_lo_u32 v7, v5, s43
	s_delay_alu instid0(VALU_DEP_4) | instskip(NEXT) | instid1(VALU_DEP_3)
	v_lshrrev_b32_e32 v6, s56, v6
	v_mad_u32 v3, v1, s49, v3
	v_mad_u32 v1, v1, s48, v2
	s_delay_alu instid0(VALU_DEP_4) | instskip(NEXT) | instid1(VALU_DEP_4)
	v_sub_nc_u32_e32 v2, v4, v7
	v_mul_hi_u32 v8, s58, v6
	v_mul_lo_u32 v4, v6, s46
	s_delay_alu instid0(VALU_DEP_3) | instskip(SKIP_1) | instid1(VALU_DEP_4)
	v_mad_u32 v3, v2, s51, v3
	v_mad_u32 v2, v2, s50, v1
	v_add_nc_u32_e32 v7, v6, v8
	s_delay_alu instid0(VALU_DEP_1) | instskip(NEXT) | instid1(VALU_DEP_1)
	v_dual_sub_nc_u32 v4, v5, v4 :: v_dual_lshrrev_b32 v1, s59, v7
	v_mad_u32 v3, v4, s53, v3
	s_delay_alu instid0(VALU_DEP_4) | instskip(NEXT) | instid1(VALU_DEP_3)
	v_mad_u32 v2, v4, s52, v2
	v_mul_lo_u32 v5, v1, s57
	s_delay_alu instid0(VALU_DEP_1) | instskip(NEXT) | instid1(VALU_DEP_1)
	v_sub_nc_u32_e32 v4, v6, v5
	v_mad_u32 v3, v4, s55, v3
	s_delay_alu instid0(VALU_DEP_4)
	v_mad_u32 v2, v4, s54, v2
	s_cbranch_scc0 .LBB23_19
	s_branch .LBB23_184
.LBB23_20:
	s_mov_b32 s8, -1
                                        ; implicit-def: $vgpr3
	s_branch .LBB23_27
.LBB23_21:
                                        ; implicit-def: $vgpr3
	s_branch .LBB23_168
.LBB23_22:
                                        ; implicit-def: $vgpr3
	s_branch .LBB23_188
.LBB23_23:
	v_dual_mov_b32 v3, 0 :: v_dual_mov_b32 v2, 0
	s_branch .LBB23_27
.LBB23_24:
	v_mov_b64_e32 v[2:3], 0
	v_mov_b32_e32 v1, v0
	s_mov_b32 s0, 0
	s_and_b32 s6, s1, 3
	s_mov_b32 s1, 0
	s_cmp_eq_u32 s6, 0
	s_cbranch_scc1 .LBB23_27
.LBB23_25:
	s_lshl_b32 s4, s0, 3
	s_mov_b32 s5, s1
	s_mul_u64 s[10:11], s[0:1], 12
	s_add_nc_u64 s[4:5], s[2:3], s[4:5]
	s_delay_alu instid0(SALU_CYCLE_1)
	s_add_nc_u64 s[0:1], s[4:5], 0xc4
	s_add_nc_u64 s[4:5], s[2:3], s[10:11]
.LBB23_26:                              ; =>This Inner Loop Header: Depth=1
	s_load_b96 s[12:14], s[4:5], 0x4
	s_load_b64 s[10:11], s[0:1], 0x0
	s_add_co_i32 s6, s6, -1
	s_wait_xcnt 0x0
	s_add_nc_u64 s[4:5], s[4:5], 12
	s_cmp_lg_u32 s6, 0
	s_add_nc_u64 s[0:1], s[0:1], 8
	s_wait_kmcnt 0x0
	v_mul_hi_u32 v4, s13, v1
	s_delay_alu instid0(VALU_DEP_1) | instskip(NEXT) | instid1(VALU_DEP_1)
	v_add_nc_u32_e32 v4, v1, v4
	v_lshrrev_b32_e32 v4, s14, v4
	s_delay_alu instid0(VALU_DEP_1) | instskip(NEXT) | instid1(VALU_DEP_1)
	v_mul_lo_u32 v5, v4, s12
	v_sub_nc_u32_e32 v1, v1, v5
	s_delay_alu instid0(VALU_DEP_1)
	v_mad_u32 v3, v1, s11, v3
	v_mad_u32 v2, v1, s10, v2
	v_mov_b32_e32 v1, v4
	s_cbranch_scc1 .LBB23_26
.LBB23_27:
	s_and_not1_b32 vcc_lo, exec_lo, s8
	s_cbranch_vccnz .LBB23_30
; %bb.28:
	s_clause 0x1
	s_load_b96 s[4:6], s[2:3], 0x4
	s_load_b64 s[0:1], s[2:3], 0xc4
	s_cmp_lt_u32 s28, 2
	s_wait_kmcnt 0x0
	v_mul_hi_u32 v1, s5, v0
	s_delay_alu instid0(VALU_DEP_1) | instskip(NEXT) | instid1(VALU_DEP_1)
	v_add_nc_u32_e32 v1, v0, v1
	v_lshrrev_b32_e32 v1, s6, v1
	s_delay_alu instid0(VALU_DEP_1) | instskip(NEXT) | instid1(VALU_DEP_1)
	v_mul_lo_u32 v2, v1, s4
	v_sub_nc_u32_e32 v2, v0, v2
	s_delay_alu instid0(VALU_DEP_1)
	v_mul_lo_u32 v3, v2, s1
	v_mul_lo_u32 v2, v2, s0
	s_cbranch_scc1 .LBB23_30
; %bb.29:
	s_clause 0x1
	s_load_b96 s[4:6], s[2:3], 0x10
	s_load_b64 s[0:1], s[2:3], 0xcc
	s_wait_kmcnt 0x0
	v_mul_hi_u32 v4, s5, v1
	s_delay_alu instid0(VALU_DEP_1) | instskip(NEXT) | instid1(VALU_DEP_1)
	v_add_nc_u32_e32 v4, v1, v4
	v_lshrrev_b32_e32 v4, s6, v4
	s_delay_alu instid0(VALU_DEP_1) | instskip(NEXT) | instid1(VALU_DEP_1)
	v_mul_lo_u32 v4, v4, s4
	v_sub_nc_u32_e32 v1, v1, v4
	s_delay_alu instid0(VALU_DEP_1)
	v_mad_u32 v2, v1, s0, v2
	v_mad_u32 v3, v1, s1, v3
.LBB23_30:
	v_cmp_ne_u32_e32 vcc_lo, 1, v14
	v_add_nc_u32_e32 v1, 0x80, v0
	s_cbranch_vccnz .LBB23_36
; %bb.31:
	s_cmp_lg_u32 s28, 0
	s_mov_b32 s8, 0
	s_cbranch_scc0 .LBB23_37
; %bb.32:
	s_min_u32 s1, s29, 15
	s_delay_alu instid0(SALU_CYCLE_1)
	s_add_co_i32 s1, s1, 1
	s_cmp_eq_u32 s29, 2
	s_cbranch_scc1 .LBB23_38
; %bb.33:
	v_dual_mov_b32 v4, 0 :: v_dual_mov_b32 v5, 0
	v_mov_b32_e32 v6, v1
	s_and_b32 s0, s1, 28
	s_add_nc_u64 s[4:5], s[2:3], 0xc4
	s_mov_b32 s9, 0
	s_mov_b64 s[6:7], s[2:3]
.LBB23_34:                              ; =>This Inner Loop Header: Depth=1
	s_clause 0x1
	s_load_b256 s[12:19], s[6:7], 0x4
	s_load_b128 s[36:39], s[6:7], 0x24
	s_load_b256 s[20:27], s[4:5], 0x0
	s_add_co_i32 s9, s9, 4
	s_wait_xcnt 0x0
	s_add_nc_u64 s[6:7], s[6:7], 48
	s_cmp_lg_u32 s0, s9
	s_add_nc_u64 s[4:5], s[4:5], 32
	s_wait_kmcnt 0x0
	v_mul_hi_u32 v7, s13, v6
	s_delay_alu instid0(VALU_DEP_1) | instskip(NEXT) | instid1(VALU_DEP_1)
	v_add_nc_u32_e32 v7, v6, v7
	v_lshrrev_b32_e32 v7, s14, v7
	s_delay_alu instid0(VALU_DEP_1) | instskip(NEXT) | instid1(VALU_DEP_1)
	v_mul_hi_u32 v8, s16, v7
	v_add_nc_u32_e32 v8, v7, v8
	s_delay_alu instid0(VALU_DEP_1) | instskip(NEXT) | instid1(VALU_DEP_1)
	v_lshrrev_b32_e32 v8, s17, v8
	v_mul_hi_u32 v9, s19, v8
	s_delay_alu instid0(VALU_DEP_1) | instskip(SKIP_1) | instid1(VALU_DEP_1)
	v_add_nc_u32_e32 v9, v8, v9
	v_mul_lo_u32 v10, v7, s12
	v_sub_nc_u32_e32 v6, v6, v10
	v_mul_lo_u32 v10, v8, s15
	s_delay_alu instid0(VALU_DEP_4) | instskip(NEXT) | instid1(VALU_DEP_3)
	v_lshrrev_b32_e32 v9, s36, v9
	v_mad_u32 v5, v6, s21, v5
	v_mad_u32 v4, v6, s20, v4
	s_delay_alu instid0(VALU_DEP_4) | instskip(NEXT) | instid1(VALU_DEP_4)
	v_sub_nc_u32_e32 v6, v7, v10
	v_mul_hi_u32 v11, s38, v9
	v_mul_lo_u32 v7, v9, s18
	s_delay_alu instid0(VALU_DEP_3) | instskip(SKIP_1) | instid1(VALU_DEP_4)
	v_mad_u32 v5, v6, s23, v5
	v_mad_u32 v4, v6, s22, v4
	v_add_nc_u32_e32 v10, v9, v11
	s_delay_alu instid0(VALU_DEP_1) | instskip(NEXT) | instid1(VALU_DEP_1)
	v_dual_sub_nc_u32 v7, v8, v7 :: v_dual_lshrrev_b32 v6, s39, v10
	v_mad_u32 v5, v7, s25, v5
	s_delay_alu instid0(VALU_DEP_4) | instskip(NEXT) | instid1(VALU_DEP_3)
	v_mad_u32 v4, v7, s24, v4
	v_mul_lo_u32 v8, v6, s37
	s_delay_alu instid0(VALU_DEP_1) | instskip(NEXT) | instid1(VALU_DEP_1)
	v_sub_nc_u32_e32 v7, v9, v8
	v_mad_u32 v5, v7, s27, v5
	s_delay_alu instid0(VALU_DEP_4)
	v_mad_u32 v4, v7, s26, v4
	s_cbranch_scc1 .LBB23_34
; %bb.35:
	s_and_b32 s6, s1, 3
	s_mov_b32 s1, 0
	s_cmp_eq_u32 s6, 0
	s_cbranch_scc0 .LBB23_39
	s_branch .LBB23_41
.LBB23_36:
	s_mov_b32 s8, -1
                                        ; implicit-def: $vgpr5
	s_branch .LBB23_41
.LBB23_37:
	v_dual_mov_b32 v5, 0 :: v_dual_mov_b32 v4, 0
	s_branch .LBB23_41
.LBB23_38:
	v_mov_b64_e32 v[4:5], 0
	v_mov_b32_e32 v6, v1
	s_mov_b32 s0, 0
	s_and_b32 s6, s1, 3
	s_mov_b32 s1, 0
	s_cmp_eq_u32 s6, 0
	s_cbranch_scc1 .LBB23_41
.LBB23_39:
	s_lshl_b32 s4, s0, 3
	s_mov_b32 s5, s1
	s_mul_u64 s[10:11], s[0:1], 12
	s_add_nc_u64 s[4:5], s[2:3], s[4:5]
	s_delay_alu instid0(SALU_CYCLE_1)
	s_add_nc_u64 s[0:1], s[4:5], 0xc4
	s_add_nc_u64 s[4:5], s[2:3], s[10:11]
.LBB23_40:                              ; =>This Inner Loop Header: Depth=1
	s_load_b96 s[12:14], s[4:5], 0x4
	s_load_b64 s[10:11], s[0:1], 0x0
	s_add_co_i32 s6, s6, -1
	s_wait_xcnt 0x0
	s_add_nc_u64 s[4:5], s[4:5], 12
	s_cmp_lg_u32 s6, 0
	s_add_nc_u64 s[0:1], s[0:1], 8
	s_wait_kmcnt 0x0
	v_mul_hi_u32 v7, s13, v6
	s_delay_alu instid0(VALU_DEP_1) | instskip(NEXT) | instid1(VALU_DEP_1)
	v_add_nc_u32_e32 v7, v6, v7
	v_lshrrev_b32_e32 v7, s14, v7
	s_delay_alu instid0(VALU_DEP_1) | instskip(NEXT) | instid1(VALU_DEP_1)
	v_mul_lo_u32 v8, v7, s12
	v_sub_nc_u32_e32 v6, v6, v8
	s_delay_alu instid0(VALU_DEP_1)
	v_mad_u32 v5, v6, s11, v5
	v_mad_u32 v4, v6, s10, v4
	v_mov_b32_e32 v6, v7
	s_cbranch_scc1 .LBB23_40
.LBB23_41:
	s_and_not1_b32 vcc_lo, exec_lo, s8
	s_cbranch_vccnz .LBB23_44
; %bb.42:
	s_clause 0x1
	s_load_b96 s[4:6], s[2:3], 0x4
	s_load_b64 s[0:1], s[2:3], 0xc4
	s_cmp_lt_u32 s28, 2
	s_wait_kmcnt 0x0
	v_mul_hi_u32 v4, s5, v1
	s_delay_alu instid0(VALU_DEP_1) | instskip(NEXT) | instid1(VALU_DEP_1)
	v_add_nc_u32_e32 v4, v1, v4
	v_lshrrev_b32_e32 v6, s6, v4
	s_delay_alu instid0(VALU_DEP_1) | instskip(NEXT) | instid1(VALU_DEP_1)
	v_mul_lo_u32 v4, v6, s4
	v_sub_nc_u32_e32 v1, v1, v4
	s_delay_alu instid0(VALU_DEP_1)
	v_mul_lo_u32 v5, v1, s1
	v_mul_lo_u32 v4, v1, s0
	s_cbranch_scc1 .LBB23_44
; %bb.43:
	s_clause 0x1
	s_load_b96 s[4:6], s[2:3], 0x10
	s_load_b64 s[0:1], s[2:3], 0xcc
	s_wait_kmcnt 0x0
	v_mul_hi_u32 v1, s5, v6
	s_delay_alu instid0(VALU_DEP_1) | instskip(NEXT) | instid1(VALU_DEP_1)
	v_add_nc_u32_e32 v1, v6, v1
	v_lshrrev_b32_e32 v1, s6, v1
	s_delay_alu instid0(VALU_DEP_1) | instskip(NEXT) | instid1(VALU_DEP_1)
	v_mul_lo_u32 v1, v1, s4
	v_sub_nc_u32_e32 v1, v6, v1
	s_delay_alu instid0(VALU_DEP_1)
	v_mad_u32 v4, v1, s0, v4
	v_mad_u32 v5, v1, s1, v5
.LBB23_44:
	v_cmp_ne_u32_e32 vcc_lo, 1, v14
	v_add_nc_u32_e32 v1, 0x100, v0
	s_cbranch_vccnz .LBB23_50
; %bb.45:
	s_cmp_lg_u32 s28, 0
	s_mov_b32 s8, 0
	s_cbranch_scc0 .LBB23_51
; %bb.46:
	s_min_u32 s1, s29, 15
	s_delay_alu instid0(SALU_CYCLE_1)
	s_add_co_i32 s1, s1, 1
	s_cmp_eq_u32 s29, 2
	s_cbranch_scc1 .LBB23_52
; %bb.47:
	v_dual_mov_b32 v6, 0 :: v_dual_mov_b32 v7, 0
	v_mov_b32_e32 v8, v1
	s_and_b32 s0, s1, 28
	s_add_nc_u64 s[4:5], s[2:3], 0xc4
	s_mov_b32 s9, 0
	s_mov_b64 s[6:7], s[2:3]
.LBB23_48:                              ; =>This Inner Loop Header: Depth=1
	s_clause 0x1
	s_load_b256 s[12:19], s[6:7], 0x4
	s_load_b128 s[36:39], s[6:7], 0x24
	s_load_b256 s[20:27], s[4:5], 0x0
	s_add_co_i32 s9, s9, 4
	s_wait_xcnt 0x0
	s_add_nc_u64 s[6:7], s[6:7], 48
	s_cmp_lg_u32 s0, s9
	s_add_nc_u64 s[4:5], s[4:5], 32
	s_wait_kmcnt 0x0
	v_mul_hi_u32 v9, s13, v8
	s_delay_alu instid0(VALU_DEP_1) | instskip(NEXT) | instid1(VALU_DEP_1)
	v_add_nc_u32_e32 v9, v8, v9
	v_lshrrev_b32_e32 v9, s14, v9
	s_delay_alu instid0(VALU_DEP_1) | instskip(NEXT) | instid1(VALU_DEP_1)
	v_mul_hi_u32 v10, s16, v9
	v_add_nc_u32_e32 v10, v9, v10
	s_delay_alu instid0(VALU_DEP_1) | instskip(NEXT) | instid1(VALU_DEP_1)
	v_lshrrev_b32_e32 v10, s17, v10
	v_mul_hi_u32 v11, s19, v10
	s_delay_alu instid0(VALU_DEP_1) | instskip(SKIP_1) | instid1(VALU_DEP_1)
	v_add_nc_u32_e32 v11, v10, v11
	v_mul_lo_u32 v12, v9, s12
	v_sub_nc_u32_e32 v8, v8, v12
	v_mul_lo_u32 v12, v10, s15
	s_delay_alu instid0(VALU_DEP_4) | instskip(NEXT) | instid1(VALU_DEP_3)
	v_lshrrev_b32_e32 v11, s36, v11
	v_mad_u32 v7, v8, s21, v7
	v_mad_u32 v6, v8, s20, v6
	s_delay_alu instid0(VALU_DEP_4) | instskip(NEXT) | instid1(VALU_DEP_4)
	v_sub_nc_u32_e32 v8, v9, v12
	v_mul_hi_u32 v13, s38, v11
	v_mul_lo_u32 v9, v11, s18
	s_delay_alu instid0(VALU_DEP_3) | instskip(SKIP_1) | instid1(VALU_DEP_4)
	v_mad_u32 v7, v8, s23, v7
	v_mad_u32 v6, v8, s22, v6
	v_add_nc_u32_e32 v12, v11, v13
	s_delay_alu instid0(VALU_DEP_1) | instskip(NEXT) | instid1(VALU_DEP_1)
	v_dual_sub_nc_u32 v9, v10, v9 :: v_dual_lshrrev_b32 v8, s39, v12
	v_mad_u32 v7, v9, s25, v7
	s_delay_alu instid0(VALU_DEP_4) | instskip(NEXT) | instid1(VALU_DEP_3)
	v_mad_u32 v6, v9, s24, v6
	v_mul_lo_u32 v10, v8, s37
	s_delay_alu instid0(VALU_DEP_1) | instskip(NEXT) | instid1(VALU_DEP_1)
	v_sub_nc_u32_e32 v9, v11, v10
	v_mad_u32 v7, v9, s27, v7
	s_delay_alu instid0(VALU_DEP_4)
	v_mad_u32 v6, v9, s26, v6
	s_cbranch_scc1 .LBB23_48
; %bb.49:
	s_and_b32 s6, s1, 3
	s_mov_b32 s1, 0
	s_cmp_eq_u32 s6, 0
	s_cbranch_scc0 .LBB23_53
	s_branch .LBB23_55
.LBB23_50:
	s_mov_b32 s8, -1
                                        ; implicit-def: $vgpr7
	s_branch .LBB23_55
.LBB23_51:
	v_dual_mov_b32 v7, 0 :: v_dual_mov_b32 v6, 0
	s_branch .LBB23_55
.LBB23_52:
	v_mov_b64_e32 v[6:7], 0
	v_mov_b32_e32 v8, v1
	s_mov_b32 s0, 0
	s_and_b32 s6, s1, 3
	s_mov_b32 s1, 0
	s_cmp_eq_u32 s6, 0
	s_cbranch_scc1 .LBB23_55
.LBB23_53:
	s_lshl_b32 s4, s0, 3
	s_mov_b32 s5, s1
	s_mul_u64 s[10:11], s[0:1], 12
	s_add_nc_u64 s[4:5], s[2:3], s[4:5]
	s_delay_alu instid0(SALU_CYCLE_1)
	s_add_nc_u64 s[0:1], s[4:5], 0xc4
	s_add_nc_u64 s[4:5], s[2:3], s[10:11]
.LBB23_54:                              ; =>This Inner Loop Header: Depth=1
	s_load_b96 s[12:14], s[4:5], 0x4
	s_load_b64 s[10:11], s[0:1], 0x0
	s_add_co_i32 s6, s6, -1
	s_wait_xcnt 0x0
	s_add_nc_u64 s[4:5], s[4:5], 12
	s_cmp_lg_u32 s6, 0
	s_add_nc_u64 s[0:1], s[0:1], 8
	s_wait_kmcnt 0x0
	v_mul_hi_u32 v9, s13, v8
	s_delay_alu instid0(VALU_DEP_1) | instskip(NEXT) | instid1(VALU_DEP_1)
	v_add_nc_u32_e32 v9, v8, v9
	v_lshrrev_b32_e32 v9, s14, v9
	s_delay_alu instid0(VALU_DEP_1) | instskip(NEXT) | instid1(VALU_DEP_1)
	v_mul_lo_u32 v10, v9, s12
	v_sub_nc_u32_e32 v8, v8, v10
	s_delay_alu instid0(VALU_DEP_1)
	v_mad_u32 v7, v8, s11, v7
	v_mad_u32 v6, v8, s10, v6
	v_mov_b32_e32 v8, v9
	s_cbranch_scc1 .LBB23_54
.LBB23_55:
	s_and_not1_b32 vcc_lo, exec_lo, s8
	s_cbranch_vccnz .LBB23_58
; %bb.56:
	s_clause 0x1
	s_load_b96 s[4:6], s[2:3], 0x4
	s_load_b64 s[0:1], s[2:3], 0xc4
	s_cmp_lt_u32 s28, 2
	s_wait_kmcnt 0x0
	v_mul_hi_u32 v6, s5, v1
	s_delay_alu instid0(VALU_DEP_1) | instskip(NEXT) | instid1(VALU_DEP_1)
	v_add_nc_u32_e32 v6, v1, v6
	v_lshrrev_b32_e32 v8, s6, v6
	s_delay_alu instid0(VALU_DEP_1) | instskip(NEXT) | instid1(VALU_DEP_1)
	v_mul_lo_u32 v6, v8, s4
	v_sub_nc_u32_e32 v1, v1, v6
	s_delay_alu instid0(VALU_DEP_1)
	v_mul_lo_u32 v7, v1, s1
	v_mul_lo_u32 v6, v1, s0
	s_cbranch_scc1 .LBB23_58
; %bb.57:
	s_clause 0x1
	s_load_b96 s[4:6], s[2:3], 0x10
	s_load_b64 s[0:1], s[2:3], 0xcc
	s_wait_kmcnt 0x0
	v_mul_hi_u32 v1, s5, v8
	s_delay_alu instid0(VALU_DEP_1) | instskip(NEXT) | instid1(VALU_DEP_1)
	v_add_nc_u32_e32 v1, v8, v1
	v_lshrrev_b32_e32 v1, s6, v1
	s_delay_alu instid0(VALU_DEP_1) | instskip(NEXT) | instid1(VALU_DEP_1)
	v_mul_lo_u32 v1, v1, s4
	v_sub_nc_u32_e32 v1, v8, v1
	s_delay_alu instid0(VALU_DEP_1)
	v_mad_u32 v6, v1, s0, v6
	v_mad_u32 v7, v1, s1, v7
.LBB23_58:
	v_cmp_ne_u32_e32 vcc_lo, 1, v14
	v_add_nc_u32_e32 v1, 0x180, v0
	s_cbranch_vccnz .LBB23_64
; %bb.59:
	s_cmp_lg_u32 s28, 0
	s_mov_b32 s8, 0
	s_cbranch_scc0 .LBB23_65
; %bb.60:
	s_min_u32 s1, s29, 15
	s_delay_alu instid0(SALU_CYCLE_1)
	s_add_co_i32 s1, s1, 1
	s_cmp_eq_u32 s29, 2
	s_cbranch_scc1 .LBB23_66
; %bb.61:
	v_dual_mov_b32 v8, 0 :: v_dual_mov_b32 v9, 0
	v_mov_b32_e32 v10, v1
	s_and_b32 s0, s1, 28
	s_add_nc_u64 s[4:5], s[2:3], 0xc4
	s_mov_b32 s9, 0
	s_mov_b64 s[6:7], s[2:3]
.LBB23_62:                              ; =>This Inner Loop Header: Depth=1
	s_clause 0x1
	s_load_b256 s[12:19], s[6:7], 0x4
	s_load_b128 s[36:39], s[6:7], 0x24
	s_load_b256 s[20:27], s[4:5], 0x0
	s_add_co_i32 s9, s9, 4
	s_wait_xcnt 0x0
	s_add_nc_u64 s[6:7], s[6:7], 48
	s_cmp_lg_u32 s0, s9
	s_add_nc_u64 s[4:5], s[4:5], 32
	s_wait_kmcnt 0x0
	v_mul_hi_u32 v11, s13, v10
	s_delay_alu instid0(VALU_DEP_1) | instskip(NEXT) | instid1(VALU_DEP_1)
	v_add_nc_u32_e32 v11, v10, v11
	v_lshrrev_b32_e32 v11, s14, v11
	s_delay_alu instid0(VALU_DEP_1) | instskip(NEXT) | instid1(VALU_DEP_1)
	v_mul_hi_u32 v12, s16, v11
	v_add_nc_u32_e32 v12, v11, v12
	s_delay_alu instid0(VALU_DEP_1) | instskip(NEXT) | instid1(VALU_DEP_1)
	v_lshrrev_b32_e32 v12, s17, v12
	v_mul_hi_u32 v13, s19, v12
	s_delay_alu instid0(VALU_DEP_1) | instskip(SKIP_1) | instid1(VALU_DEP_1)
	v_add_nc_u32_e32 v13, v12, v13
	v_mul_lo_u32 v15, v11, s12
	v_sub_nc_u32_e32 v10, v10, v15
	v_mul_lo_u32 v15, v12, s15
	s_delay_alu instid0(VALU_DEP_4) | instskip(NEXT) | instid1(VALU_DEP_3)
	v_lshrrev_b32_e32 v13, s36, v13
	v_mad_u32 v9, v10, s21, v9
	v_mad_u32 v8, v10, s20, v8
	s_delay_alu instid0(VALU_DEP_4) | instskip(NEXT) | instid1(VALU_DEP_4)
	v_sub_nc_u32_e32 v10, v11, v15
	v_mul_hi_u32 v17, s38, v13
	v_mul_lo_u32 v11, v13, s18
	s_delay_alu instid0(VALU_DEP_3) | instskip(SKIP_1) | instid1(VALU_DEP_3)
	v_mad_u32 v9, v10, s23, v9
	v_mad_u32 v8, v10, s22, v8
	v_dual_add_nc_u32 v15, v13, v17 :: v_dual_sub_nc_u32 v11, v12, v11
	s_delay_alu instid0(VALU_DEP_1) | instskip(NEXT) | instid1(VALU_DEP_2)
	v_lshrrev_b32_e32 v10, s39, v15
	v_mad_u32 v9, v11, s25, v9
	s_delay_alu instid0(VALU_DEP_4) | instskip(NEXT) | instid1(VALU_DEP_3)
	v_mad_u32 v8, v11, s24, v8
	v_mul_lo_u32 v12, v10, s37
	s_delay_alu instid0(VALU_DEP_1) | instskip(NEXT) | instid1(VALU_DEP_1)
	v_sub_nc_u32_e32 v11, v13, v12
	v_mad_u32 v9, v11, s27, v9
	s_delay_alu instid0(VALU_DEP_4)
	v_mad_u32 v8, v11, s26, v8
	s_cbranch_scc1 .LBB23_62
; %bb.63:
	s_and_b32 s6, s1, 3
	s_mov_b32 s1, 0
	s_cmp_eq_u32 s6, 0
	s_cbranch_scc0 .LBB23_67
	s_branch .LBB23_69
.LBB23_64:
	s_mov_b32 s8, -1
                                        ; implicit-def: $vgpr9
	s_branch .LBB23_69
.LBB23_65:
	v_dual_mov_b32 v9, 0 :: v_dual_mov_b32 v8, 0
	s_branch .LBB23_69
.LBB23_66:
	v_mov_b64_e32 v[8:9], 0
	v_mov_b32_e32 v10, v1
	s_mov_b32 s0, 0
	s_and_b32 s6, s1, 3
	s_mov_b32 s1, 0
	s_cmp_eq_u32 s6, 0
	s_cbranch_scc1 .LBB23_69
.LBB23_67:
	s_lshl_b32 s4, s0, 3
	s_mov_b32 s5, s1
	s_mul_u64 s[10:11], s[0:1], 12
	s_add_nc_u64 s[4:5], s[2:3], s[4:5]
	s_delay_alu instid0(SALU_CYCLE_1)
	s_add_nc_u64 s[0:1], s[4:5], 0xc4
	s_add_nc_u64 s[4:5], s[2:3], s[10:11]
.LBB23_68:                              ; =>This Inner Loop Header: Depth=1
	s_load_b96 s[12:14], s[4:5], 0x4
	s_load_b64 s[10:11], s[0:1], 0x0
	s_add_co_i32 s6, s6, -1
	s_wait_xcnt 0x0
	s_add_nc_u64 s[4:5], s[4:5], 12
	s_cmp_lg_u32 s6, 0
	s_add_nc_u64 s[0:1], s[0:1], 8
	s_wait_kmcnt 0x0
	v_mul_hi_u32 v11, s13, v10
	s_delay_alu instid0(VALU_DEP_1) | instskip(NEXT) | instid1(VALU_DEP_1)
	v_add_nc_u32_e32 v11, v10, v11
	v_lshrrev_b32_e32 v11, s14, v11
	s_delay_alu instid0(VALU_DEP_1) | instskip(NEXT) | instid1(VALU_DEP_1)
	v_mul_lo_u32 v12, v11, s12
	v_sub_nc_u32_e32 v10, v10, v12
	s_delay_alu instid0(VALU_DEP_1)
	v_mad_u32 v9, v10, s11, v9
	v_mad_u32 v8, v10, s10, v8
	v_mov_b32_e32 v10, v11
	s_cbranch_scc1 .LBB23_68
.LBB23_69:
	s_and_not1_b32 vcc_lo, exec_lo, s8
	s_cbranch_vccnz .LBB23_72
; %bb.70:
	s_clause 0x1
	s_load_b96 s[4:6], s[2:3], 0x4
	s_load_b64 s[0:1], s[2:3], 0xc4
	s_cmp_lt_u32 s28, 2
	s_wait_kmcnt 0x0
	v_mul_hi_u32 v8, s5, v1
	s_delay_alu instid0(VALU_DEP_1) | instskip(NEXT) | instid1(VALU_DEP_1)
	v_add_nc_u32_e32 v8, v1, v8
	v_lshrrev_b32_e32 v10, s6, v8
	s_delay_alu instid0(VALU_DEP_1) | instskip(NEXT) | instid1(VALU_DEP_1)
	v_mul_lo_u32 v8, v10, s4
	v_sub_nc_u32_e32 v1, v1, v8
	s_delay_alu instid0(VALU_DEP_1)
	v_mul_lo_u32 v9, v1, s1
	v_mul_lo_u32 v8, v1, s0
	s_cbranch_scc1 .LBB23_72
; %bb.71:
	s_clause 0x1
	s_load_b96 s[4:6], s[2:3], 0x10
	s_load_b64 s[0:1], s[2:3], 0xcc
	s_wait_kmcnt 0x0
	v_mul_hi_u32 v1, s5, v10
	s_delay_alu instid0(VALU_DEP_1) | instskip(NEXT) | instid1(VALU_DEP_1)
	v_add_nc_u32_e32 v1, v10, v1
	v_lshrrev_b32_e32 v1, s6, v1
	s_delay_alu instid0(VALU_DEP_1) | instskip(NEXT) | instid1(VALU_DEP_1)
	v_mul_lo_u32 v1, v1, s4
	v_sub_nc_u32_e32 v1, v10, v1
	s_delay_alu instid0(VALU_DEP_1)
	v_mad_u32 v8, v1, s0, v8
	v_mad_u32 v9, v1, s1, v9
.LBB23_72:
	v_cmp_ne_u32_e32 vcc_lo, 1, v14
	v_add_nc_u32_e32 v1, 0x200, v0
	s_cbranch_vccnz .LBB23_78
; %bb.73:
	s_cmp_lg_u32 s28, 0
	s_mov_b32 s8, 0
	s_cbranch_scc0 .LBB23_79
; %bb.74:
	s_min_u32 s1, s29, 15
	s_delay_alu instid0(SALU_CYCLE_1)
	s_add_co_i32 s1, s1, 1
	s_cmp_eq_u32 s29, 2
	s_cbranch_scc1 .LBB23_80
; %bb.75:
	v_dual_mov_b32 v10, 0 :: v_dual_mov_b32 v11, 0
	v_mov_b32_e32 v12, v1
	s_and_b32 s0, s1, 28
	s_add_nc_u64 s[4:5], s[2:3], 0xc4
	s_mov_b32 s9, 0
	s_mov_b64 s[6:7], s[2:3]
.LBB23_76:                              ; =>This Inner Loop Header: Depth=1
	s_clause 0x1
	s_load_b256 s[12:19], s[6:7], 0x4
	s_load_b128 s[36:39], s[6:7], 0x24
	s_load_b256 s[20:27], s[4:5], 0x0
	s_add_co_i32 s9, s9, 4
	s_wait_xcnt 0x0
	s_add_nc_u64 s[6:7], s[6:7], 48
	s_cmp_lg_u32 s0, s9
	s_add_nc_u64 s[4:5], s[4:5], 32
	s_wait_kmcnt 0x0
	v_mul_hi_u32 v13, s13, v12
	s_delay_alu instid0(VALU_DEP_1) | instskip(NEXT) | instid1(VALU_DEP_1)
	v_add_nc_u32_e32 v13, v12, v13
	v_lshrrev_b32_e32 v13, s14, v13
	s_delay_alu instid0(VALU_DEP_1) | instskip(NEXT) | instid1(VALU_DEP_1)
	v_mul_lo_u32 v18, v13, s12
	v_sub_nc_u32_e32 v12, v12, v18
	v_mul_hi_u32 v15, s16, v13
	s_delay_alu instid0(VALU_DEP_2) | instskip(SKIP_1) | instid1(VALU_DEP_3)
	v_mad_u32 v11, v12, s21, v11
	v_mad_u32 v10, v12, s20, v10
	v_add_nc_u32_e32 v15, v13, v15
	s_delay_alu instid0(VALU_DEP_1) | instskip(NEXT) | instid1(VALU_DEP_1)
	v_lshrrev_b32_e32 v15, s17, v15
	v_mul_hi_u32 v17, s19, v15
	v_mul_lo_u32 v18, v15, s15
	s_delay_alu instid0(VALU_DEP_1) | instskip(NEXT) | instid1(VALU_DEP_1)
	v_dual_add_nc_u32 v17, v15, v17 :: v_dual_sub_nc_u32 v12, v13, v18
	v_lshrrev_b32_e32 v17, s36, v17
	s_delay_alu instid0(VALU_DEP_2) | instskip(SKIP_1) | instid1(VALU_DEP_3)
	v_mad_u32 v11, v12, s23, v11
	v_mad_u32 v10, v12, s22, v10
	v_mul_hi_u32 v19, s38, v17
	v_mul_lo_u32 v13, v17, s18
	s_delay_alu instid0(VALU_DEP_1) | instskip(NEXT) | instid1(VALU_DEP_1)
	v_dual_add_nc_u32 v18, v17, v19 :: v_dual_sub_nc_u32 v13, v15, v13
	v_lshrrev_b32_e32 v12, s39, v18
	s_delay_alu instid0(VALU_DEP_2) | instskip(SKIP_1) | instid1(VALU_DEP_3)
	v_mad_u32 v11, v13, s25, v11
	v_mad_u32 v10, v13, s24, v10
	v_mul_lo_u32 v15, v12, s37
	s_delay_alu instid0(VALU_DEP_1) | instskip(NEXT) | instid1(VALU_DEP_1)
	v_sub_nc_u32_e32 v13, v17, v15
	v_mad_u32 v11, v13, s27, v11
	s_delay_alu instid0(VALU_DEP_4)
	v_mad_u32 v10, v13, s26, v10
	s_cbranch_scc1 .LBB23_76
; %bb.77:
	s_and_b32 s6, s1, 3
	s_mov_b32 s1, 0
	s_cmp_eq_u32 s6, 0
	s_cbranch_scc0 .LBB23_81
	s_branch .LBB23_83
.LBB23_78:
	s_mov_b32 s8, -1
                                        ; implicit-def: $vgpr11
	s_branch .LBB23_83
.LBB23_79:
	v_dual_mov_b32 v11, 0 :: v_dual_mov_b32 v10, 0
	s_branch .LBB23_83
.LBB23_80:
	v_mov_b64_e32 v[10:11], 0
	v_mov_b32_e32 v12, v1
	s_mov_b32 s0, 0
	s_and_b32 s6, s1, 3
	s_mov_b32 s1, 0
	s_cmp_eq_u32 s6, 0
	s_cbranch_scc1 .LBB23_83
.LBB23_81:
	s_lshl_b32 s4, s0, 3
	s_mov_b32 s5, s1
	s_mul_u64 s[10:11], s[0:1], 12
	s_add_nc_u64 s[4:5], s[2:3], s[4:5]
	s_delay_alu instid0(SALU_CYCLE_1)
	s_add_nc_u64 s[0:1], s[4:5], 0xc4
	s_add_nc_u64 s[4:5], s[2:3], s[10:11]
.LBB23_82:                              ; =>This Inner Loop Header: Depth=1
	s_load_b96 s[12:14], s[4:5], 0x4
	s_load_b64 s[10:11], s[0:1], 0x0
	s_add_co_i32 s6, s6, -1
	s_wait_xcnt 0x0
	s_add_nc_u64 s[4:5], s[4:5], 12
	s_cmp_lg_u32 s6, 0
	s_add_nc_u64 s[0:1], s[0:1], 8
	s_wait_kmcnt 0x0
	v_mul_hi_u32 v13, s13, v12
	s_delay_alu instid0(VALU_DEP_1) | instskip(NEXT) | instid1(VALU_DEP_1)
	v_add_nc_u32_e32 v13, v12, v13
	v_lshrrev_b32_e32 v13, s14, v13
	s_delay_alu instid0(VALU_DEP_1) | instskip(NEXT) | instid1(VALU_DEP_1)
	v_mul_lo_u32 v15, v13, s12
	v_sub_nc_u32_e32 v12, v12, v15
	s_delay_alu instid0(VALU_DEP_1)
	v_mad_u32 v11, v12, s11, v11
	v_mad_u32 v10, v12, s10, v10
	v_mov_b32_e32 v12, v13
	s_cbranch_scc1 .LBB23_82
.LBB23_83:
	s_and_not1_b32 vcc_lo, exec_lo, s8
	s_cbranch_vccnz .LBB23_86
; %bb.84:
	s_clause 0x1
	s_load_b96 s[4:6], s[2:3], 0x4
	s_load_b64 s[0:1], s[2:3], 0xc4
	s_cmp_lt_u32 s28, 2
	s_wait_kmcnt 0x0
	v_mul_hi_u32 v10, s5, v1
	s_delay_alu instid0(VALU_DEP_1) | instskip(NEXT) | instid1(VALU_DEP_1)
	v_add_nc_u32_e32 v10, v1, v10
	v_lshrrev_b32_e32 v12, s6, v10
	s_delay_alu instid0(VALU_DEP_1) | instskip(NEXT) | instid1(VALU_DEP_1)
	v_mul_lo_u32 v10, v12, s4
	v_sub_nc_u32_e32 v1, v1, v10
	s_delay_alu instid0(VALU_DEP_1)
	v_mul_lo_u32 v11, v1, s1
	v_mul_lo_u32 v10, v1, s0
	s_cbranch_scc1 .LBB23_86
; %bb.85:
	s_clause 0x1
	s_load_b96 s[4:6], s[2:3], 0x10
	s_load_b64 s[0:1], s[2:3], 0xcc
	s_wait_kmcnt 0x0
	v_mul_hi_u32 v1, s5, v12
	s_delay_alu instid0(VALU_DEP_1) | instskip(NEXT) | instid1(VALU_DEP_1)
	v_add_nc_u32_e32 v1, v12, v1
	v_lshrrev_b32_e32 v1, s6, v1
	s_delay_alu instid0(VALU_DEP_1) | instskip(NEXT) | instid1(VALU_DEP_1)
	v_mul_lo_u32 v1, v1, s4
	v_sub_nc_u32_e32 v1, v12, v1
	s_delay_alu instid0(VALU_DEP_1)
	v_mad_u32 v10, v1, s0, v10
	v_mad_u32 v11, v1, s1, v11
.LBB23_86:
	v_cmp_ne_u32_e32 vcc_lo, 1, v14
	v_add_nc_u32_e32 v1, 0x280, v0
	s_cbranch_vccnz .LBB23_92
; %bb.87:
	s_cmp_lg_u32 s28, 0
	s_mov_b32 s8, 0
	s_cbranch_scc0 .LBB23_93
; %bb.88:
	s_min_u32 s1, s29, 15
	s_delay_alu instid0(SALU_CYCLE_1)
	s_add_co_i32 s1, s1, 1
	s_cmp_eq_u32 s29, 2
	s_cbranch_scc1 .LBB23_94
; %bb.89:
	v_dual_mov_b32 v12, 0 :: v_dual_mov_b32 v13, 0
	v_mov_b32_e32 v15, v1
	s_and_b32 s0, s1, 28
	s_add_nc_u64 s[4:5], s[2:3], 0xc4
	s_mov_b32 s9, 0
	s_mov_b64 s[6:7], s[2:3]
.LBB23_90:                              ; =>This Inner Loop Header: Depth=1
	s_clause 0x1
	s_load_b256 s[12:19], s[6:7], 0x4
	s_load_b128 s[36:39], s[6:7], 0x24
	s_load_b256 s[20:27], s[4:5], 0x0
	s_add_co_i32 s9, s9, 4
	s_wait_xcnt 0x0
	s_add_nc_u64 s[6:7], s[6:7], 48
	s_cmp_lg_u32 s0, s9
	s_add_nc_u64 s[4:5], s[4:5], 32
	s_wait_kmcnt 0x0
	v_mul_hi_u32 v17, s13, v15
	s_delay_alu instid0(VALU_DEP_1) | instskip(NEXT) | instid1(VALU_DEP_1)
	v_add_nc_u32_e32 v17, v15, v17
	v_lshrrev_b32_e32 v17, s14, v17
	s_delay_alu instid0(VALU_DEP_1) | instskip(NEXT) | instid1(VALU_DEP_1)
	v_mul_hi_u32 v18, s16, v17
	v_add_nc_u32_e32 v18, v17, v18
	s_delay_alu instid0(VALU_DEP_1) | instskip(NEXT) | instid1(VALU_DEP_1)
	v_lshrrev_b32_e32 v18, s17, v18
	v_mul_hi_u32 v19, s19, v18
	s_delay_alu instid0(VALU_DEP_1) | instskip(SKIP_1) | instid1(VALU_DEP_1)
	v_add_nc_u32_e32 v19, v18, v19
	v_mul_lo_u32 v20, v17, s12
	v_sub_nc_u32_e32 v15, v15, v20
	v_mul_lo_u32 v20, v18, s15
	s_delay_alu instid0(VALU_DEP_4) | instskip(NEXT) | instid1(VALU_DEP_3)
	v_lshrrev_b32_e32 v19, s36, v19
	v_mad_u32 v13, v15, s21, v13
	v_mad_u32 v12, v15, s20, v12
	s_delay_alu instid0(VALU_DEP_4) | instskip(NEXT) | instid1(VALU_DEP_4)
	v_sub_nc_u32_e32 v15, v17, v20
	v_mul_hi_u32 v21, s38, v19
	v_mul_lo_u32 v17, v19, s18
	s_delay_alu instid0(VALU_DEP_3) | instskip(SKIP_1) | instid1(VALU_DEP_4)
	v_mad_u32 v13, v15, s23, v13
	v_mad_u32 v12, v15, s22, v12
	v_add_nc_u32_e32 v20, v19, v21
	s_delay_alu instid0(VALU_DEP_1) | instskip(NEXT) | instid1(VALU_DEP_1)
	v_dual_sub_nc_u32 v17, v18, v17 :: v_dual_lshrrev_b32 v15, s39, v20
	v_mad_u32 v13, v17, s25, v13
	s_delay_alu instid0(VALU_DEP_4) | instskip(NEXT) | instid1(VALU_DEP_3)
	v_mad_u32 v12, v17, s24, v12
	v_mul_lo_u32 v18, v15, s37
	s_delay_alu instid0(VALU_DEP_1) | instskip(NEXT) | instid1(VALU_DEP_1)
	v_sub_nc_u32_e32 v17, v19, v18
	v_mad_u32 v13, v17, s27, v13
	s_delay_alu instid0(VALU_DEP_4)
	v_mad_u32 v12, v17, s26, v12
	s_cbranch_scc1 .LBB23_90
; %bb.91:
	s_and_b32 s6, s1, 3
	s_mov_b32 s1, 0
	s_cmp_eq_u32 s6, 0
	s_cbranch_scc0 .LBB23_95
	s_branch .LBB23_97
.LBB23_92:
	s_mov_b32 s8, -1
                                        ; implicit-def: $vgpr13
	s_branch .LBB23_97
.LBB23_93:
	v_dual_mov_b32 v13, 0 :: v_dual_mov_b32 v12, 0
	s_branch .LBB23_97
.LBB23_94:
	v_mov_b64_e32 v[12:13], 0
	v_mov_b32_e32 v15, v1
	s_mov_b32 s0, 0
	s_and_b32 s6, s1, 3
	s_mov_b32 s1, 0
	s_cmp_eq_u32 s6, 0
	s_cbranch_scc1 .LBB23_97
.LBB23_95:
	s_lshl_b32 s4, s0, 3
	s_mov_b32 s5, s1
	s_mul_u64 s[10:11], s[0:1], 12
	s_add_nc_u64 s[4:5], s[2:3], s[4:5]
	s_delay_alu instid0(SALU_CYCLE_1)
	s_add_nc_u64 s[0:1], s[4:5], 0xc4
	s_add_nc_u64 s[4:5], s[2:3], s[10:11]
.LBB23_96:                              ; =>This Inner Loop Header: Depth=1
	s_load_b96 s[12:14], s[4:5], 0x4
	s_load_b64 s[10:11], s[0:1], 0x0
	s_add_co_i32 s6, s6, -1
	s_wait_xcnt 0x0
	s_add_nc_u64 s[4:5], s[4:5], 12
	s_cmp_lg_u32 s6, 0
	s_add_nc_u64 s[0:1], s[0:1], 8
	s_wait_kmcnt 0x0
	v_mul_hi_u32 v17, s13, v15
	s_delay_alu instid0(VALU_DEP_1) | instskip(NEXT) | instid1(VALU_DEP_1)
	v_add_nc_u32_e32 v17, v15, v17
	v_lshrrev_b32_e32 v17, s14, v17
	s_delay_alu instid0(VALU_DEP_1) | instskip(NEXT) | instid1(VALU_DEP_1)
	v_mul_lo_u32 v18, v17, s12
	v_sub_nc_u32_e32 v15, v15, v18
	s_delay_alu instid0(VALU_DEP_1)
	v_mad_u32 v13, v15, s11, v13
	v_mad_u32 v12, v15, s10, v12
	v_mov_b32_e32 v15, v17
	s_cbranch_scc1 .LBB23_96
.LBB23_97:
	s_and_not1_b32 vcc_lo, exec_lo, s8
	s_cbranch_vccnz .LBB23_100
; %bb.98:
	s_clause 0x1
	s_load_b96 s[4:6], s[2:3], 0x4
	s_load_b64 s[0:1], s[2:3], 0xc4
	s_cmp_lt_u32 s28, 2
	s_wait_kmcnt 0x0
	v_mul_hi_u32 v12, s5, v1
	s_delay_alu instid0(VALU_DEP_1) | instskip(NEXT) | instid1(VALU_DEP_1)
	v_add_nc_u32_e32 v12, v1, v12
	v_lshrrev_b32_e32 v15, s6, v12
	s_delay_alu instid0(VALU_DEP_1) | instskip(NEXT) | instid1(VALU_DEP_1)
	v_mul_lo_u32 v12, v15, s4
	v_sub_nc_u32_e32 v1, v1, v12
	s_delay_alu instid0(VALU_DEP_1)
	v_mul_lo_u32 v13, v1, s1
	v_mul_lo_u32 v12, v1, s0
	s_cbranch_scc1 .LBB23_100
; %bb.99:
	s_clause 0x1
	s_load_b96 s[4:6], s[2:3], 0x10
	s_load_b64 s[0:1], s[2:3], 0xcc
	s_wait_kmcnt 0x0
	v_mul_hi_u32 v1, s5, v15
	s_delay_alu instid0(VALU_DEP_1) | instskip(NEXT) | instid1(VALU_DEP_1)
	v_add_nc_u32_e32 v1, v15, v1
	v_lshrrev_b32_e32 v1, s6, v1
	s_delay_alu instid0(VALU_DEP_1) | instskip(NEXT) | instid1(VALU_DEP_1)
	v_mul_lo_u32 v1, v1, s4
	v_sub_nc_u32_e32 v1, v15, v1
	s_delay_alu instid0(VALU_DEP_1)
	v_mad_u32 v12, v1, s0, v12
	v_mad_u32 v13, v1, s1, v13
.LBB23_100:
	v_cmp_ne_u32_e32 vcc_lo, 1, v14
	v_add_nc_u32_e32 v15, 0x300, v0
	s_cbranch_vccnz .LBB23_106
; %bb.101:
	s_cmp_lg_u32 s28, 0
	s_mov_b32 s8, 0
	s_cbranch_scc0 .LBB23_107
; %bb.102:
	s_min_u32 s1, s29, 15
	s_delay_alu instid0(SALU_CYCLE_1)
	s_add_co_i32 s1, s1, 1
	s_cmp_eq_u32 s29, 2
	s_cbranch_scc1 .LBB23_108
; %bb.103:
	v_dual_mov_b32 v0, 0 :: v_dual_mov_b32 v1, 0
	v_mov_b32_e32 v17, v15
	s_and_b32 s0, s1, 28
	s_add_nc_u64 s[4:5], s[2:3], 0xc4
	s_mov_b32 s9, 0
	s_mov_b64 s[6:7], s[2:3]
.LBB23_104:                             ; =>This Inner Loop Header: Depth=1
	s_clause 0x1
	s_load_b256 s[12:19], s[6:7], 0x4
	s_load_b128 s[36:39], s[6:7], 0x24
	s_load_b256 s[20:27], s[4:5], 0x0
	s_add_co_i32 s9, s9, 4
	s_wait_xcnt 0x0
	s_add_nc_u64 s[6:7], s[6:7], 48
	s_cmp_lg_u32 s0, s9
	s_add_nc_u64 s[4:5], s[4:5], 32
	s_wait_kmcnt 0x0
	v_mul_hi_u32 v18, s13, v17
	s_delay_alu instid0(VALU_DEP_1) | instskip(NEXT) | instid1(VALU_DEP_1)
	v_add_nc_u32_e32 v18, v17, v18
	v_lshrrev_b32_e32 v18, s14, v18
	s_delay_alu instid0(VALU_DEP_1) | instskip(NEXT) | instid1(VALU_DEP_1)
	v_mul_hi_u32 v19, s16, v18
	v_add_nc_u32_e32 v19, v18, v19
	s_delay_alu instid0(VALU_DEP_1) | instskip(NEXT) | instid1(VALU_DEP_1)
	v_lshrrev_b32_e32 v19, s17, v19
	v_mul_hi_u32 v20, s19, v19
	s_delay_alu instid0(VALU_DEP_1) | instskip(SKIP_1) | instid1(VALU_DEP_1)
	v_add_nc_u32_e32 v20, v19, v20
	v_mul_lo_u32 v21, v18, s12
	v_sub_nc_u32_e32 v17, v17, v21
	v_mul_lo_u32 v21, v19, s15
	s_delay_alu instid0(VALU_DEP_4) | instskip(NEXT) | instid1(VALU_DEP_3)
	v_lshrrev_b32_e32 v20, s36, v20
	v_mad_u32 v1, v17, s21, v1
	v_mad_u32 v0, v17, s20, v0
	s_delay_alu instid0(VALU_DEP_4) | instskip(NEXT) | instid1(VALU_DEP_4)
	v_sub_nc_u32_e32 v17, v18, v21
	v_mul_hi_u32 v22, s38, v20
	v_mul_lo_u32 v18, v20, s18
	s_delay_alu instid0(VALU_DEP_3) | instskip(SKIP_1) | instid1(VALU_DEP_4)
	v_mad_u32 v1, v17, s23, v1
	v_mad_u32 v0, v17, s22, v0
	v_add_nc_u32_e32 v21, v20, v22
	s_delay_alu instid0(VALU_DEP_1) | instskip(NEXT) | instid1(VALU_DEP_1)
	v_dual_sub_nc_u32 v18, v19, v18 :: v_dual_lshrrev_b32 v17, s39, v21
	v_mad_u32 v1, v18, s25, v1
	s_delay_alu instid0(VALU_DEP_4) | instskip(NEXT) | instid1(VALU_DEP_3)
	v_mad_u32 v0, v18, s24, v0
	v_mul_lo_u32 v19, v17, s37
	s_delay_alu instid0(VALU_DEP_1) | instskip(NEXT) | instid1(VALU_DEP_1)
	v_sub_nc_u32_e32 v18, v20, v19
	v_mad_u32 v1, v18, s27, v1
	s_delay_alu instid0(VALU_DEP_4)
	v_mad_u32 v0, v18, s26, v0
	s_cbranch_scc1 .LBB23_104
; %bb.105:
	s_and_b32 s6, s1, 3
	s_mov_b32 s1, 0
	s_cmp_eq_u32 s6, 0
	s_cbranch_scc0 .LBB23_109
	s_branch .LBB23_111
.LBB23_106:
	s_mov_b32 s8, -1
                                        ; implicit-def: $vgpr1
	s_branch .LBB23_111
.LBB23_107:
	v_dual_mov_b32 v1, 0 :: v_dual_mov_b32 v0, 0
	s_branch .LBB23_111
.LBB23_108:
	v_mov_b64_e32 v[0:1], 0
	v_mov_b32_e32 v17, v15
	s_mov_b32 s0, 0
	s_and_b32 s6, s1, 3
	s_mov_b32 s1, 0
	s_cmp_eq_u32 s6, 0
	s_cbranch_scc1 .LBB23_111
.LBB23_109:
	s_lshl_b32 s4, s0, 3
	s_mov_b32 s5, s1
	s_mul_u64 s[10:11], s[0:1], 12
	s_add_nc_u64 s[4:5], s[2:3], s[4:5]
	s_delay_alu instid0(SALU_CYCLE_1)
	s_add_nc_u64 s[0:1], s[4:5], 0xc4
	s_add_nc_u64 s[4:5], s[2:3], s[10:11]
.LBB23_110:                             ; =>This Inner Loop Header: Depth=1
	s_load_b96 s[12:14], s[4:5], 0x4
	s_load_b64 s[10:11], s[0:1], 0x0
	s_add_co_i32 s6, s6, -1
	s_wait_xcnt 0x0
	s_add_nc_u64 s[4:5], s[4:5], 12
	s_cmp_lg_u32 s6, 0
	s_add_nc_u64 s[0:1], s[0:1], 8
	s_wait_kmcnt 0x0
	v_mul_hi_u32 v18, s13, v17
	s_delay_alu instid0(VALU_DEP_1) | instskip(NEXT) | instid1(VALU_DEP_1)
	v_add_nc_u32_e32 v18, v17, v18
	v_lshrrev_b32_e32 v18, s14, v18
	s_delay_alu instid0(VALU_DEP_1) | instskip(NEXT) | instid1(VALU_DEP_1)
	v_mul_lo_u32 v19, v18, s12
	v_sub_nc_u32_e32 v17, v17, v19
	s_delay_alu instid0(VALU_DEP_1)
	v_mad_u32 v1, v17, s11, v1
	v_mad_u32 v0, v17, s10, v0
	v_mov_b32_e32 v17, v18
	s_cbranch_scc1 .LBB23_110
.LBB23_111:
	s_and_not1_b32 vcc_lo, exec_lo, s8
	s_cbranch_vccnz .LBB23_114
; %bb.112:
	s_clause 0x1
	s_load_b96 s[4:6], s[2:3], 0x4
	s_load_b64 s[0:1], s[2:3], 0xc4
	s_cmp_lt_u32 s28, 2
	s_wait_kmcnt 0x0
	v_mul_hi_u32 v0, s5, v15
	s_delay_alu instid0(VALU_DEP_1) | instskip(NEXT) | instid1(VALU_DEP_1)
	v_add_nc_u32_e32 v0, v15, v0
	v_lshrrev_b32_e32 v17, s6, v0
	s_delay_alu instid0(VALU_DEP_1) | instskip(NEXT) | instid1(VALU_DEP_1)
	v_mul_lo_u32 v0, v17, s4
	v_sub_nc_u32_e32 v0, v15, v0
	s_delay_alu instid0(VALU_DEP_1)
	v_mul_lo_u32 v1, v0, s1
	v_mul_lo_u32 v0, v0, s0
	s_cbranch_scc1 .LBB23_114
; %bb.113:
	s_clause 0x1
	s_load_b96 s[4:6], s[2:3], 0x10
	s_load_b64 s[0:1], s[2:3], 0xcc
	s_wait_kmcnt 0x0
	v_mul_hi_u32 v15, s5, v17
	s_delay_alu instid0(VALU_DEP_1) | instskip(NEXT) | instid1(VALU_DEP_1)
	v_add_nc_u32_e32 v15, v17, v15
	v_lshrrev_b32_e32 v15, s6, v15
	s_delay_alu instid0(VALU_DEP_1) | instskip(NEXT) | instid1(VALU_DEP_1)
	v_mul_lo_u32 v15, v15, s4
	v_sub_nc_u32_e32 v15, v17, v15
	s_delay_alu instid0(VALU_DEP_1)
	v_mad_u32 v0, v15, s0, v0
	v_mad_u32 v1, v15, s1, v1
.LBB23_114:
	v_cmp_ne_u32_e32 vcc_lo, 1, v14
	s_cbranch_vccnz .LBB23_120
; %bb.115:
	s_cmp_lg_u32 s28, 0
	s_mov_b32 s8, 0
	s_cbranch_scc0 .LBB23_121
; %bb.116:
	s_min_u32 s1, s29, 15
	s_delay_alu instid0(SALU_CYCLE_1)
	s_add_co_i32 s1, s1, 1
	s_cmp_eq_u32 s29, 2
	s_cbranch_scc1 .LBB23_122
; %bb.117:
	v_dual_mov_b32 v14, 0 :: v_dual_mov_b32 v15, 0
	v_mov_b32_e32 v17, v16
	s_and_b32 s0, s1, 28
	s_add_nc_u64 s[4:5], s[2:3], 0xc4
	s_mov_b32 s9, 0
	s_mov_b64 s[6:7], s[2:3]
.LBB23_118:                             ; =>This Inner Loop Header: Depth=1
	s_clause 0x1
	s_load_b256 s[12:19], s[6:7], 0x4
	s_load_b128 s[36:39], s[6:7], 0x24
	s_load_b256 s[20:27], s[4:5], 0x0
	s_add_co_i32 s9, s9, 4
	s_wait_xcnt 0x0
	s_add_nc_u64 s[6:7], s[6:7], 48
	s_cmp_lg_u32 s0, s9
	s_add_nc_u64 s[4:5], s[4:5], 32
	s_wait_kmcnt 0x0
	v_mul_hi_u32 v18, s13, v17
	s_delay_alu instid0(VALU_DEP_1) | instskip(NEXT) | instid1(VALU_DEP_1)
	v_add_nc_u32_e32 v18, v17, v18
	v_lshrrev_b32_e32 v18, s14, v18
	s_delay_alu instid0(VALU_DEP_1) | instskip(NEXT) | instid1(VALU_DEP_1)
	v_mul_hi_u32 v19, s16, v18
	v_add_nc_u32_e32 v19, v18, v19
	s_delay_alu instid0(VALU_DEP_1) | instskip(NEXT) | instid1(VALU_DEP_1)
	v_lshrrev_b32_e32 v19, s17, v19
	v_mul_hi_u32 v20, s19, v19
	s_delay_alu instid0(VALU_DEP_1) | instskip(SKIP_1) | instid1(VALU_DEP_1)
	v_add_nc_u32_e32 v20, v19, v20
	v_mul_lo_u32 v21, v18, s12
	v_sub_nc_u32_e32 v17, v17, v21
	v_mul_lo_u32 v21, v19, s15
	s_delay_alu instid0(VALU_DEP_4) | instskip(NEXT) | instid1(VALU_DEP_3)
	v_lshrrev_b32_e32 v20, s36, v20
	v_mad_u32 v15, v17, s21, v15
	v_mad_u32 v14, v17, s20, v14
	s_delay_alu instid0(VALU_DEP_4) | instskip(NEXT) | instid1(VALU_DEP_4)
	v_sub_nc_u32_e32 v17, v18, v21
	v_mul_hi_u32 v22, s38, v20
	v_mul_lo_u32 v18, v20, s18
	s_delay_alu instid0(VALU_DEP_3) | instskip(SKIP_1) | instid1(VALU_DEP_4)
	v_mad_u32 v15, v17, s23, v15
	v_mad_u32 v14, v17, s22, v14
	v_add_nc_u32_e32 v21, v20, v22
	s_delay_alu instid0(VALU_DEP_1) | instskip(NEXT) | instid1(VALU_DEP_1)
	v_dual_sub_nc_u32 v18, v19, v18 :: v_dual_lshrrev_b32 v17, s39, v21
	v_mad_u32 v15, v18, s25, v15
	s_delay_alu instid0(VALU_DEP_4) | instskip(NEXT) | instid1(VALU_DEP_3)
	v_mad_u32 v14, v18, s24, v14
	v_mul_lo_u32 v19, v17, s37
	s_delay_alu instid0(VALU_DEP_1) | instskip(NEXT) | instid1(VALU_DEP_1)
	v_sub_nc_u32_e32 v18, v20, v19
	v_mad_u32 v15, v18, s27, v15
	s_delay_alu instid0(VALU_DEP_4)
	v_mad_u32 v14, v18, s26, v14
	s_cbranch_scc1 .LBB23_118
; %bb.119:
	s_and_b32 s6, s1, 3
	s_mov_b32 s1, 0
	s_cmp_eq_u32 s6, 0
	s_cbranch_scc0 .LBB23_123
	s_branch .LBB23_125
.LBB23_120:
	s_mov_b32 s8, -1
                                        ; implicit-def: $vgpr15
	s_branch .LBB23_125
.LBB23_121:
	v_dual_mov_b32 v15, 0 :: v_dual_mov_b32 v14, 0
	s_branch .LBB23_125
.LBB23_122:
	v_mov_b64_e32 v[14:15], 0
	v_mov_b32_e32 v17, v16
	s_mov_b32 s0, 0
	s_and_b32 s6, s1, 3
	s_mov_b32 s1, 0
	s_cmp_eq_u32 s6, 0
	s_cbranch_scc1 .LBB23_125
.LBB23_123:
	s_lshl_b32 s4, s0, 3
	s_mov_b32 s5, s1
	s_mul_u64 s[10:11], s[0:1], 12
	s_add_nc_u64 s[4:5], s[2:3], s[4:5]
	s_delay_alu instid0(SALU_CYCLE_1)
	s_add_nc_u64 s[0:1], s[4:5], 0xc4
	s_add_nc_u64 s[4:5], s[2:3], s[10:11]
.LBB23_124:                             ; =>This Inner Loop Header: Depth=1
	s_load_b96 s[12:14], s[4:5], 0x4
	s_load_b64 s[10:11], s[0:1], 0x0
	s_add_co_i32 s6, s6, -1
	s_wait_xcnt 0x0
	s_add_nc_u64 s[4:5], s[4:5], 12
	s_cmp_lg_u32 s6, 0
	s_add_nc_u64 s[0:1], s[0:1], 8
	s_wait_kmcnt 0x0
	v_mul_hi_u32 v18, s13, v17
	s_delay_alu instid0(VALU_DEP_1) | instskip(NEXT) | instid1(VALU_DEP_1)
	v_add_nc_u32_e32 v18, v17, v18
	v_lshrrev_b32_e32 v18, s14, v18
	s_delay_alu instid0(VALU_DEP_1) | instskip(NEXT) | instid1(VALU_DEP_1)
	v_mul_lo_u32 v19, v18, s12
	v_sub_nc_u32_e32 v17, v17, v19
	s_delay_alu instid0(VALU_DEP_1)
	v_mad_u32 v15, v17, s11, v15
	v_mad_u32 v14, v17, s10, v14
	v_mov_b32_e32 v17, v18
	s_cbranch_scc1 .LBB23_124
.LBB23_125:
	s_and_not1_b32 vcc_lo, exec_lo, s8
	s_cbranch_vccnz .LBB23_128
; %bb.126:
	s_clause 0x1
	s_load_b96 s[4:6], s[2:3], 0x4
	s_load_b64 s[0:1], s[2:3], 0xc4
	s_cmp_lt_u32 s28, 2
	s_wait_kmcnt 0x0
	v_mul_hi_u32 v14, s5, v16
	s_delay_alu instid0(VALU_DEP_1) | instskip(NEXT) | instid1(VALU_DEP_1)
	v_add_nc_u32_e32 v14, v16, v14
	v_lshrrev_b32_e32 v17, s6, v14
	s_delay_alu instid0(VALU_DEP_1) | instskip(NEXT) | instid1(VALU_DEP_1)
	v_mul_lo_u32 v14, v17, s4
	v_sub_nc_u32_e32 v14, v16, v14
	s_delay_alu instid0(VALU_DEP_1)
	v_mul_lo_u32 v15, v14, s1
	v_mul_lo_u32 v14, v14, s0
	s_cbranch_scc1 .LBB23_128
; %bb.127:
	s_clause 0x1
	s_load_b96 s[4:6], s[2:3], 0x10
	s_load_b64 s[0:1], s[2:3], 0xcc
	s_wait_kmcnt 0x0
	v_mul_hi_u32 v16, s5, v17
	s_delay_alu instid0(VALU_DEP_1) | instskip(NEXT) | instid1(VALU_DEP_1)
	v_add_nc_u32_e32 v16, v17, v16
	v_lshrrev_b32_e32 v16, s6, v16
	s_delay_alu instid0(VALU_DEP_1) | instskip(NEXT) | instid1(VALU_DEP_1)
	v_mul_lo_u32 v16, v16, s4
	v_sub_nc_u32_e32 v16, v17, v16
	s_delay_alu instid0(VALU_DEP_1)
	v_mad_u32 v14, v16, s0, v14
	v_mad_u32 v15, v16, s1, v15
.LBB23_128:
	s_load_b128 s[4:7], s[2:3], 0x148
                                        ; implicit-def: $vgpr18
                                        ; implicit-def: $vgpr17
	s_mov_b32 s1, exec_lo
	s_wait_kmcnt 0x0
	global_load_u16 v3, v3, s[6:7]
	s_wait_loadcnt 0x0
	v_cvt_f32_f16_e32 v3, v3
	s_delay_alu instid0(VALU_DEP_1)
	v_and_b32_e32 v16, 0x7fffffff, v3
	v_cmpx_ngt_f32_e64 0x48000000, |v3|
	s_xor_b32 s2, exec_lo, s1
	s_cbranch_execz .LBB23_130
; %bb.129:
	s_mov_b32 s0, 0x7fffff
	v_mov_b32_e32 v19, 0
	v_and_or_b32 v18, v16, s0, 0x800000
	s_mov_b64 s[0:1], 0xfe5163ab
	v_lshrrev_b32_e32 v17, 23, v16
	s_delay_alu instid0(VALU_DEP_2) | instskip(NEXT) | instid1(VALU_DEP_1)
	v_mul_u64_e32 v[20:21], s[0:1], v[18:19]
	v_dual_mov_b32 v22, v21 :: v_dual_mov_b32 v23, v19
	v_dual_mov_b32 v25, v19 :: v_dual_mov_b32 v27, v19
	;; [unrolled: 1-line block ×3, first 2 shown]
	s_delay_alu instid0(VALU_DEP_3) | instskip(NEXT) | instid1(VALU_DEP_1)
	v_mad_nc_u64_u32 v[22:23], 0x3c439041, v18, v[22:23]
	v_mov_b32_e32 v24, v23
	s_delay_alu instid0(VALU_DEP_1) | instskip(NEXT) | instid1(VALU_DEP_1)
	v_mad_nc_u64_u32 v[24:25], 0xdb629599, v18, v[24:25]
	v_mov_b32_e32 v26, v25
	s_delay_alu instid0(VALU_DEP_1) | instskip(NEXT) | instid1(VALU_DEP_1)
	;; [unrolled: 3-line block ×3, first 2 shown]
	v_mad_nc_u64_u32 v[28:29], 0xfc2757d1, v18, v[28:29]
	v_dual_mov_b32 v31, v19 :: v_dual_mov_b32 v30, v29
	s_delay_alu instid0(VALU_DEP_1) | instskip(NEXT) | instid1(VALU_DEP_1)
	v_mad_nc_u64_u32 v[30:31], 0x4e441529, v18, v[30:31]
	v_dual_mov_b32 v32, v31 :: v_dual_add_nc_u32 v17, 0xffffff88, v17
	s_delay_alu instid0(VALU_DEP_1) | instskip(NEXT) | instid1(VALU_DEP_2)
	v_cmp_lt_u32_e32 vcc_lo, 63, v17
	v_mad_nc_u64_u32 v[18:19], 0xa2f9836e, v18, v[32:33]
	v_cndmask_b32_e64 v21, 0, 0xffffffc0, vcc_lo
	v_dual_cndmask_b32 v23, v30, v26 :: v_dual_cndmask_b32 v20, v24, v20
	s_delay_alu instid0(VALU_DEP_2) | instskip(NEXT) | instid1(VALU_DEP_1)
	v_add_nc_u32_e32 v17, v21, v17
	v_cmp_lt_u32_e64 s0, 31, v17
	v_dual_cndmask_b32 v18, v18, v28 :: v_dual_cndmask_b32 v19, v19, v30
	s_delay_alu instid0(VALU_DEP_2) | instskip(NEXT) | instid1(VALU_DEP_1)
	v_cndmask_b32_e64 v21, 0, 0xffffffe0, s0
	v_add_nc_u32_e32 v17, v21, v17
	s_delay_alu instid0(VALU_DEP_1) | instskip(NEXT) | instid1(VALU_DEP_1)
	v_cmp_lt_u32_e64 s1, 31, v17
	v_cndmask_b32_e64 v21, 0, 0xffffffe0, s1
	s_delay_alu instid0(VALU_DEP_1) | instskip(SKIP_2) | instid1(VALU_DEP_3)
	v_dual_cndmask_b32 v25, v28, v24, vcc_lo :: v_dual_add_nc_u32 v17, v21, v17
	v_cndmask_b32_e32 v21, v26, v22, vcc_lo
	v_dual_cndmask_b32 v22, v18, v23, s0 :: v_dual_cndmask_b32 v18, v19, v18, s0
	v_cndmask_b32_e64 v19, v23, v25, s0
	s_delay_alu instid0(VALU_DEP_4) | instskip(NEXT) | instid1(VALU_DEP_4)
	v_sub_nc_u32_e32 v23, 32, v17
	v_cndmask_b32_e64 v25, v25, v21, s0
	v_cmp_eq_u32_e32 vcc_lo, 0, v17
	v_cndmask_b32_e64 v18, v18, v22, s1
	s_delay_alu instid0(VALU_DEP_3) | instskip(NEXT) | instid1(VALU_DEP_1)
	v_dual_cndmask_b32 v22, v22, v19, s1 :: v_dual_cndmask_b32 v19, v19, v25, s1
	v_alignbit_b32 v26, v18, v22, v23
	s_delay_alu instid0(VALU_DEP_2) | instskip(NEXT) | instid1(VALU_DEP_2)
	v_alignbit_b32 v24, v22, v19, v23
	v_dual_cndmask_b32 v17, v26, v18, vcc_lo :: v_dual_cndmask_b32 v18, v21, v20, s0
	s_delay_alu instid0(VALU_DEP_1) | instskip(NEXT) | instid1(VALU_DEP_1)
	v_bfe_u32 v21, v17, 29, 1
	v_dual_cndmask_b32 v20, v24, v22, vcc_lo :: v_dual_sub_nc_u32 v24, 0, v21
	s_delay_alu instid0(VALU_DEP_1) | instskip(NEXT) | instid1(VALU_DEP_1)
	v_alignbit_b32 v22, v17, v20, 30
	v_dual_cndmask_b32 v18, v25, v18, s1 :: v_dual_bitop2_b32 v22, v22, v24 bitop3:0x14
	s_delay_alu instid0(VALU_DEP_1) | instskip(NEXT) | instid1(VALU_DEP_1)
	v_alignbit_b32 v23, v19, v18, v23
	v_cndmask_b32_e32 v19, v23, v19, vcc_lo
	s_delay_alu instid0(VALU_DEP_3) | instskip(NEXT) | instid1(VALU_DEP_2)
	v_clz_i32_u32_e32 v23, v22
	v_alignbit_b32 v18, v19, v18, 30
	s_delay_alu instid0(VALU_DEP_2) | instskip(NEXT) | instid1(VALU_DEP_2)
	v_min_u32_e32 v23, 32, v23
	v_xor_b32_e32 v18, v18, v24
	v_alignbit_b32 v20, v20, v19, 30
	s_delay_alu instid0(VALU_DEP_1) | instskip(SKIP_1) | instid1(VALU_DEP_1)
	v_dual_lshlrev_b32 v25, 23, v23 :: v_dual_bitop2_b32 v19, v20, v24 bitop3:0x14
	v_dual_sub_nc_u32 v20, 31, v23 :: v_dual_lshrrev_b32 v24, 29, v17
	v_alignbit_b32 v22, v22, v19, v20
	v_alignbit_b32 v18, v19, v18, v20
	s_delay_alu instid0(VALU_DEP_3) | instskip(NEXT) | instid1(VALU_DEP_2)
	v_lshlrev_b32_e32 v19, 31, v24
	v_alignbit_b32 v20, v22, v18, 9
	s_delay_alu instid0(VALU_DEP_2) | instskip(NEXT) | instid1(VALU_DEP_2)
	v_dual_lshrrev_b32 v22, 9, v22 :: v_dual_bitop2_b32 v24, 0.5, v19 bitop3:0x54
	v_clz_i32_u32_e32 v26, v20
	s_delay_alu instid0(VALU_DEP_2) | instskip(SKIP_1) | instid1(VALU_DEP_3)
	v_sub_nc_u32_e32 v24, v24, v25
	v_or_b32_e32 v19, 0x33000000, v19
	v_min_u32_e32 v25, 32, v26
	s_delay_alu instid0(VALU_DEP_1) | instskip(NEXT) | instid1(VALU_DEP_4)
	v_add_lshl_u32 v23, v25, v23, 23
	v_or_b32_e32 v22, v22, v24
	v_not_b32_e32 v24, v25
	s_delay_alu instid0(VALU_DEP_2) | instskip(NEXT) | instid1(VALU_DEP_2)
	v_dual_mul_f32 v26, 0x3fc90fda, v22 :: v_dual_sub_nc_u32 v19, v19, v23
	v_alignbit_b32 v18, v20, v18, v24
	s_delay_alu instid0(VALU_DEP_2) | instskip(NEXT) | instid1(VALU_DEP_2)
	v_fma_f32 v20, 0x3fc90fda, v22, -v26
	v_lshrrev_b32_e32 v18, 9, v18
	s_delay_alu instid0(VALU_DEP_2) | instskip(NEXT) | instid1(VALU_DEP_2)
	v_fmamk_f32 v20, v22, 0x33a22168, v20
	v_or_b32_e32 v18, v19, v18
	s_delay_alu instid0(VALU_DEP_1) | instskip(NEXT) | instid1(VALU_DEP_1)
	v_fmac_f32_e32 v20, 0x3fc90fda, v18
	v_dual_add_f32 v17, v26, v20 :: v_dual_lshrrev_b32 v18, 30, v17
	s_delay_alu instid0(VALU_DEP_1)
	v_add_nc_u32_e32 v18, v21, v18
.LBB23_130:
	s_and_not1_saveexec_b32 s0, s2
; %bb.131:
	v_mul_f32_e64 v17, 0x3f22f983, |v3|
	s_delay_alu instid0(VALU_DEP_1) | instskip(NEXT) | instid1(VALU_DEP_1)
	v_rndne_f32_e32 v18, v17
	v_fma_f32 v17, 0xbfc90fda, v18, |v3|
	s_delay_alu instid0(VALU_DEP_1) | instskip(NEXT) | instid1(VALU_DEP_1)
	v_fmamk_f32 v17, v18, 0xb3a22168, v17
	v_fmamk_f32 v17, v18, 0xa7c234c4, v17
	v_cvt_i32_f32_e32 v18, v18
; %bb.132:
	s_or_b32 exec_lo, exec_lo, s0
	global_load_u16 v5, v5, s[6:7]
                                        ; implicit-def: $vgpr21
                                        ; implicit-def: $vgpr20
	s_mov_b32 s1, exec_lo
	s_wait_loadcnt 0x0
	v_cvt_f32_f16_e32 v5, v5
	s_delay_alu instid0(VALU_DEP_1)
	v_and_b32_e32 v19, 0x7fffffff, v5
	v_cmpx_ngt_f32_e64 0x48000000, |v5|
	s_xor_b32 s2, exec_lo, s1
	s_cbranch_execz .LBB23_134
; %bb.133:
	s_mov_b32 s0, 0x7fffff
	v_mov_b32_e32 v21, 0
	v_and_or_b32 v20, v19, s0, 0x800000
	s_mov_b64 s[0:1], 0xfe5163ab
	s_delay_alu instid0(VALU_DEP_1) | instid1(SALU_CYCLE_1)
	v_mul_u64_e32 v[22:23], s[0:1], v[20:21]
	s_delay_alu instid0(VALU_DEP_1) | instskip(SKIP_2) | instid1(VALU_DEP_3)
	v_dual_mov_b32 v24, v23 :: v_dual_mov_b32 v25, v21
	v_dual_mov_b32 v27, v21 :: v_dual_mov_b32 v29, v21
	v_dual_mov_b32 v31, v21 :: v_dual_lshrrev_b32 v23, 23, v19
	v_mad_nc_u64_u32 v[24:25], 0x3c439041, v20, v[24:25]
	s_delay_alu instid0(VALU_DEP_1) | instskip(NEXT) | instid1(VALU_DEP_1)
	v_mov_b32_e32 v26, v25
	v_mad_nc_u64_u32 v[26:27], 0xdb629599, v20, v[26:27]
	s_delay_alu instid0(VALU_DEP_1) | instskip(NEXT) | instid1(VALU_DEP_1)
	v_mov_b32_e32 v28, v27
	v_mad_nc_u64_u32 v[28:29], 0xf534ddc0, v20, v[28:29]
	s_delay_alu instid0(VALU_DEP_1) | instskip(NEXT) | instid1(VALU_DEP_1)
	v_mov_b32_e32 v30, v29
	v_mad_nc_u64_u32 v[30:31], 0xfc2757d1, v20, v[30:31]
	s_delay_alu instid0(VALU_DEP_1) | instskip(NEXT) | instid1(VALU_DEP_1)
	v_dual_mov_b32 v33, v21 :: v_dual_mov_b32 v32, v31
	v_mad_nc_u64_u32 v[32:33], 0x4e441529, v20, v[32:33]
	s_delay_alu instid0(VALU_DEP_1) | instskip(NEXT) | instid1(VALU_DEP_1)
	v_dual_mov_b32 v34, v33 :: v_dual_add_nc_u32 v23, 0xffffff88, v23
	v_cmp_lt_u32_e32 vcc_lo, 63, v23
	v_mov_b32_e32 v35, v21
	v_cndmask_b32_e64 v25, 0, 0xffffffc0, vcc_lo
	s_delay_alu instid0(VALU_DEP_2) | instskip(SKIP_1) | instid1(VALU_DEP_3)
	v_mad_nc_u64_u32 v[20:21], 0xa2f9836e, v20, v[34:35]
	v_dual_cndmask_b32 v27, v32, v28, vcc_lo :: v_dual_cndmask_b32 v29, v30, v26, vcc_lo
	v_dual_cndmask_b32 v24, v28, v24 :: v_dual_add_nc_u32 v23, v25, v23
	v_cndmask_b32_e32 v22, v26, v22, vcc_lo
	s_delay_alu instid0(VALU_DEP_2) | instskip(SKIP_1) | instid1(VALU_DEP_2)
	v_cmp_lt_u32_e64 s0, 31, v23
	v_dual_cndmask_b32 v20, v20, v30 :: v_dual_cndmask_b32 v21, v21, v32
	v_cndmask_b32_e64 v25, 0, 0xffffffe0, s0
	s_delay_alu instid0(VALU_DEP_4) | instskip(NEXT) | instid1(VALU_DEP_2)
	v_dual_cndmask_b32 v28, v29, v24, s0 :: v_dual_cndmask_b32 v22, v24, v22, s0
	v_add_nc_u32_e32 v23, v25, v23
	s_delay_alu instid0(VALU_DEP_1) | instskip(NEXT) | instid1(VALU_DEP_1)
	v_cmp_lt_u32_e64 s1, 31, v23
	v_cndmask_b32_e64 v25, 0, 0xffffffe0, s1
	s_delay_alu instid0(VALU_DEP_1) | instskip(SKIP_1) | instid1(VALU_DEP_2)
	v_dual_cndmask_b32 v22, v28, v22, s1 :: v_dual_add_nc_u32 v23, v25, v23
	v_dual_cndmask_b32 v25, v20, v27, s0 :: v_dual_cndmask_b32 v20, v21, v20, s0
	v_dual_cndmask_b32 v21, v27, v29, s0 :: v_dual_sub_nc_u32 v27, 32, v23
	v_cmp_eq_u32_e32 vcc_lo, 0, v23
	s_delay_alu instid0(VALU_DEP_3) | instskip(NEXT) | instid1(VALU_DEP_3)
	v_cndmask_b32_e64 v20, v20, v25, s1
	v_cndmask_b32_e64 v25, v25, v21, s1
	;; [unrolled: 1-line block ×3, first 2 shown]
	s_delay_alu instid0(VALU_DEP_2) | instskip(NEXT) | instid1(VALU_DEP_2)
	v_alignbit_b32 v29, v20, v25, v27
	v_alignbit_b32 v26, v25, v21, v27
	;; [unrolled: 1-line block ×3, first 2 shown]
	s_delay_alu instid0(VALU_DEP_2) | instskip(NEXT) | instid1(VALU_DEP_2)
	v_dual_cndmask_b32 v20, v29, v20 :: v_dual_cndmask_b32 v23, v26, v25
	v_cndmask_b32_e32 v21, v27, v21, vcc_lo
	s_delay_alu instid0(VALU_DEP_2) | instskip(NEXT) | instid1(VALU_DEP_3)
	v_bfe_u32 v24, v20, 29, 1
	v_alignbit_b32 v25, v20, v23, 30
	s_delay_alu instid0(VALU_DEP_3) | instskip(SKIP_1) | instid1(VALU_DEP_4)
	v_alignbit_b32 v23, v23, v21, 30
	v_alignbit_b32 v21, v21, v22, 30
	v_sub_nc_u32_e32 v26, 0, v24
	s_delay_alu instid0(VALU_DEP_1) | instskip(NEXT) | instid1(VALU_DEP_4)
	v_xor_b32_e32 v25, v25, v26
	v_xor_b32_e32 v22, v23, v26
	s_delay_alu instid0(VALU_DEP_4) | instskip(NEXT) | instid1(VALU_DEP_3)
	v_dual_lshrrev_b32 v26, 29, v20 :: v_dual_bitop2_b32 v21, v21, v26 bitop3:0x14
	v_clz_i32_u32_e32 v27, v25
	s_delay_alu instid0(VALU_DEP_1) | instskip(NEXT) | instid1(VALU_DEP_1)
	v_min_u32_e32 v27, 32, v27
	v_dual_sub_nc_u32 v23, 31, v27 :: v_dual_lshlrev_b32 v28, 23, v27
	s_delay_alu instid0(VALU_DEP_1) | instskip(SKIP_2) | instid1(VALU_DEP_2)
	v_alignbit_b32 v25, v25, v22, v23
	v_alignbit_b32 v21, v22, v21, v23
	v_lshlrev_b32_e32 v22, 31, v26
	v_alignbit_b32 v23, v25, v21, 9
	s_delay_alu instid0(VALU_DEP_2) | instskip(SKIP_1) | instid1(VALU_DEP_3)
	v_dual_lshrrev_b32 v25, 9, v25 :: v_dual_bitop2_b32 v26, 0.5, v22 bitop3:0x54
	v_or_b32_e32 v22, 0x33000000, v22
	v_clz_i32_u32_e32 v29, v23
	s_delay_alu instid0(VALU_DEP_3) | instskip(NEXT) | instid1(VALU_DEP_2)
	v_sub_nc_u32_e32 v26, v26, v28
	v_min_u32_e32 v28, 32, v29
	s_delay_alu instid0(VALU_DEP_1) | instskip(NEXT) | instid1(VALU_DEP_3)
	v_add_lshl_u32 v27, v28, v27, 23
	v_or_b32_e32 v25, v25, v26
	v_not_b32_e32 v26, v28
	s_delay_alu instid0(VALU_DEP_2) | instskip(NEXT) | instid1(VALU_DEP_2)
	v_dual_mul_f32 v29, 0x3fc90fda, v25 :: v_dual_sub_nc_u32 v22, v22, v27
	v_alignbit_b32 v21, v23, v21, v26
	s_delay_alu instid0(VALU_DEP_2) | instskip(NEXT) | instid1(VALU_DEP_2)
	v_fma_f32 v23, 0x3fc90fda, v25, -v29
	v_lshrrev_b32_e32 v21, 9, v21
	s_delay_alu instid0(VALU_DEP_2) | instskip(NEXT) | instid1(VALU_DEP_2)
	v_fmamk_f32 v23, v25, 0x33a22168, v23
	v_or_b32_e32 v21, v22, v21
	s_delay_alu instid0(VALU_DEP_1) | instskip(NEXT) | instid1(VALU_DEP_1)
	v_fmac_f32_e32 v23, 0x3fc90fda, v21
	v_dual_add_f32 v20, v29, v23 :: v_dual_lshrrev_b32 v21, 30, v20
	s_delay_alu instid0(VALU_DEP_1)
	v_add_nc_u32_e32 v21, v24, v21
.LBB23_134:
	s_and_not1_saveexec_b32 s0, s2
; %bb.135:
	v_mul_f32_e64 v20, 0x3f22f983, |v5|
	s_delay_alu instid0(VALU_DEP_1) | instskip(NEXT) | instid1(VALU_DEP_1)
	v_rndne_f32_e32 v21, v20
	v_fma_f32 v20, 0xbfc90fda, v21, |v5|
	s_delay_alu instid0(VALU_DEP_1) | instskip(NEXT) | instid1(VALU_DEP_1)
	v_fmamk_f32 v20, v21, 0xb3a22168, v20
	v_fmamk_f32 v20, v21, 0xa7c234c4, v20
	v_cvt_i32_f32_e32 v21, v21
; %bb.136:
	s_or_b32 exec_lo, exec_lo, s0
	global_load_u16 v7, v7, s[6:7]
                                        ; implicit-def: $vgpr24
                                        ; implicit-def: $vgpr23
	s_mov_b32 s1, exec_lo
	s_wait_loadcnt 0x0
	v_cvt_f32_f16_e32 v7, v7
	s_delay_alu instid0(VALU_DEP_1)
	v_and_b32_e32 v22, 0x7fffffff, v7
	v_cmpx_ngt_f32_e64 0x48000000, |v7|
	s_xor_b32 s2, exec_lo, s1
	s_cbranch_execz .LBB23_138
; %bb.137:
	s_mov_b32 s0, 0x7fffff
	v_mov_b32_e32 v25, 0
	v_and_or_b32 v24, v22, s0, 0x800000
	s_mov_b64 s[0:1], 0xfe5163ab
	v_lshrrev_b32_e32 v23, 23, v22
	s_delay_alu instid0(VALU_DEP_2) | instskip(NEXT) | instid1(VALU_DEP_1)
	v_mul_u64_e32 v[26:27], s[0:1], v[24:25]
	v_dual_mov_b32 v28, v27 :: v_dual_mov_b32 v29, v25
	v_dual_mov_b32 v31, v25 :: v_dual_mov_b32 v33, v25
	;; [unrolled: 1-line block ×3, first 2 shown]
	s_delay_alu instid0(VALU_DEP_3) | instskip(NEXT) | instid1(VALU_DEP_1)
	v_mad_nc_u64_u32 v[28:29], 0x3c439041, v24, v[28:29]
	v_mov_b32_e32 v30, v29
	s_delay_alu instid0(VALU_DEP_1) | instskip(NEXT) | instid1(VALU_DEP_1)
	v_mad_nc_u64_u32 v[30:31], 0xdb629599, v24, v[30:31]
	v_mov_b32_e32 v32, v31
	s_delay_alu instid0(VALU_DEP_1) | instskip(NEXT) | instid1(VALU_DEP_1)
	;; [unrolled: 3-line block ×3, first 2 shown]
	v_mad_nc_u64_u32 v[34:35], 0xfc2757d1, v24, v[34:35]
	v_dual_mov_b32 v37, v25 :: v_dual_mov_b32 v36, v35
	s_delay_alu instid0(VALU_DEP_1) | instskip(NEXT) | instid1(VALU_DEP_1)
	v_mad_nc_u64_u32 v[36:37], 0x4e441529, v24, v[36:37]
	v_dual_mov_b32 v38, v37 :: v_dual_add_nc_u32 v23, 0xffffff88, v23
	s_delay_alu instid0(VALU_DEP_1) | instskip(NEXT) | instid1(VALU_DEP_2)
	v_cmp_lt_u32_e32 vcc_lo, 63, v23
	v_mad_nc_u64_u32 v[24:25], 0xa2f9836e, v24, v[38:39]
	v_cndmask_b32_e64 v27, 0, 0xffffffc0, vcc_lo
	v_dual_cndmask_b32 v29, v36, v32 :: v_dual_cndmask_b32 v26, v30, v26
	s_delay_alu instid0(VALU_DEP_2) | instskip(NEXT) | instid1(VALU_DEP_1)
	v_add_nc_u32_e32 v23, v27, v23
	v_cmp_lt_u32_e64 s0, 31, v23
	v_dual_cndmask_b32 v24, v24, v34 :: v_dual_cndmask_b32 v25, v25, v36
	s_delay_alu instid0(VALU_DEP_2) | instskip(NEXT) | instid1(VALU_DEP_1)
	v_cndmask_b32_e64 v27, 0, 0xffffffe0, s0
	v_add_nc_u32_e32 v23, v27, v23
	s_delay_alu instid0(VALU_DEP_1) | instskip(NEXT) | instid1(VALU_DEP_1)
	v_cmp_lt_u32_e64 s1, 31, v23
	v_cndmask_b32_e64 v27, 0, 0xffffffe0, s1
	s_delay_alu instid0(VALU_DEP_1) | instskip(SKIP_2) | instid1(VALU_DEP_3)
	v_dual_cndmask_b32 v31, v34, v30, vcc_lo :: v_dual_add_nc_u32 v23, v27, v23
	v_cndmask_b32_e32 v27, v32, v28, vcc_lo
	v_dual_cndmask_b32 v28, v24, v29, s0 :: v_dual_cndmask_b32 v24, v25, v24, s0
	v_cndmask_b32_e64 v25, v29, v31, s0
	s_delay_alu instid0(VALU_DEP_4) | instskip(NEXT) | instid1(VALU_DEP_4)
	v_sub_nc_u32_e32 v29, 32, v23
	v_cndmask_b32_e64 v31, v31, v27, s0
	v_cmp_eq_u32_e32 vcc_lo, 0, v23
	v_cndmask_b32_e64 v24, v24, v28, s1
	s_delay_alu instid0(VALU_DEP_3) | instskip(NEXT) | instid1(VALU_DEP_1)
	v_dual_cndmask_b32 v28, v28, v25, s1 :: v_dual_cndmask_b32 v25, v25, v31, s1
	v_alignbit_b32 v32, v24, v28, v29
	s_delay_alu instid0(VALU_DEP_2) | instskip(NEXT) | instid1(VALU_DEP_2)
	v_alignbit_b32 v30, v28, v25, v29
	v_dual_cndmask_b32 v23, v32, v24, vcc_lo :: v_dual_cndmask_b32 v24, v27, v26, s0
	s_delay_alu instid0(VALU_DEP_1) | instskip(NEXT) | instid1(VALU_DEP_1)
	v_bfe_u32 v27, v23, 29, 1
	v_dual_cndmask_b32 v26, v30, v28, vcc_lo :: v_dual_sub_nc_u32 v30, 0, v27
	s_delay_alu instid0(VALU_DEP_1) | instskip(NEXT) | instid1(VALU_DEP_1)
	v_alignbit_b32 v28, v23, v26, 30
	v_dual_cndmask_b32 v24, v31, v24, s1 :: v_dual_bitop2_b32 v28, v28, v30 bitop3:0x14
	s_delay_alu instid0(VALU_DEP_1) | instskip(NEXT) | instid1(VALU_DEP_1)
	v_alignbit_b32 v29, v25, v24, v29
	v_cndmask_b32_e32 v25, v29, v25, vcc_lo
	s_delay_alu instid0(VALU_DEP_3) | instskip(NEXT) | instid1(VALU_DEP_2)
	v_clz_i32_u32_e32 v29, v28
	v_alignbit_b32 v24, v25, v24, 30
	s_delay_alu instid0(VALU_DEP_2) | instskip(NEXT) | instid1(VALU_DEP_2)
	v_min_u32_e32 v29, 32, v29
	v_xor_b32_e32 v24, v24, v30
	v_alignbit_b32 v26, v26, v25, 30
	s_delay_alu instid0(VALU_DEP_1) | instskip(SKIP_1) | instid1(VALU_DEP_1)
	v_dual_lshlrev_b32 v31, 23, v29 :: v_dual_bitop2_b32 v25, v26, v30 bitop3:0x14
	v_dual_sub_nc_u32 v26, 31, v29 :: v_dual_lshrrev_b32 v30, 29, v23
	v_alignbit_b32 v28, v28, v25, v26
	v_alignbit_b32 v24, v25, v24, v26
	s_delay_alu instid0(VALU_DEP_3) | instskip(NEXT) | instid1(VALU_DEP_2)
	v_lshlrev_b32_e32 v25, 31, v30
	v_alignbit_b32 v26, v28, v24, 9
	s_delay_alu instid0(VALU_DEP_2) | instskip(NEXT) | instid1(VALU_DEP_2)
	v_dual_lshrrev_b32 v28, 9, v28 :: v_dual_bitop2_b32 v30, 0.5, v25 bitop3:0x54
	v_clz_i32_u32_e32 v32, v26
	s_delay_alu instid0(VALU_DEP_2) | instskip(SKIP_1) | instid1(VALU_DEP_3)
	v_sub_nc_u32_e32 v30, v30, v31
	v_or_b32_e32 v25, 0x33000000, v25
	v_min_u32_e32 v31, 32, v32
	s_delay_alu instid0(VALU_DEP_1) | instskip(NEXT) | instid1(VALU_DEP_4)
	v_add_lshl_u32 v29, v31, v29, 23
	v_or_b32_e32 v28, v28, v30
	v_not_b32_e32 v30, v31
	s_delay_alu instid0(VALU_DEP_2) | instskip(NEXT) | instid1(VALU_DEP_2)
	v_dual_mul_f32 v32, 0x3fc90fda, v28 :: v_dual_sub_nc_u32 v25, v25, v29
	v_alignbit_b32 v24, v26, v24, v30
	s_delay_alu instid0(VALU_DEP_2) | instskip(NEXT) | instid1(VALU_DEP_2)
	v_fma_f32 v26, 0x3fc90fda, v28, -v32
	v_lshrrev_b32_e32 v24, 9, v24
	s_delay_alu instid0(VALU_DEP_2) | instskip(NEXT) | instid1(VALU_DEP_2)
	v_fmamk_f32 v26, v28, 0x33a22168, v26
	v_or_b32_e32 v24, v25, v24
	s_delay_alu instid0(VALU_DEP_1) | instskip(NEXT) | instid1(VALU_DEP_1)
	v_fmac_f32_e32 v26, 0x3fc90fda, v24
	v_dual_add_f32 v23, v32, v26 :: v_dual_lshrrev_b32 v24, 30, v23
	s_delay_alu instid0(VALU_DEP_1)
	v_add_nc_u32_e32 v24, v27, v24
.LBB23_138:
	s_and_not1_saveexec_b32 s0, s2
; %bb.139:
	v_mul_f32_e64 v23, 0x3f22f983, |v7|
	s_delay_alu instid0(VALU_DEP_1) | instskip(NEXT) | instid1(VALU_DEP_1)
	v_rndne_f32_e32 v24, v23
	v_fma_f32 v23, 0xbfc90fda, v24, |v7|
	s_delay_alu instid0(VALU_DEP_1) | instskip(NEXT) | instid1(VALU_DEP_1)
	v_fmamk_f32 v23, v24, 0xb3a22168, v23
	v_fmamk_f32 v23, v24, 0xa7c234c4, v23
	v_cvt_i32_f32_e32 v24, v24
; %bb.140:
	s_or_b32 exec_lo, exec_lo, s0
	global_load_u16 v9, v9, s[6:7]
                                        ; implicit-def: $vgpr27
                                        ; implicit-def: $vgpr26
	s_mov_b32 s1, exec_lo
	s_wait_loadcnt 0x0
	v_cvt_f32_f16_e32 v9, v9
	s_delay_alu instid0(VALU_DEP_1)
	v_and_b32_e32 v25, 0x7fffffff, v9
	v_cmpx_ngt_f32_e64 0x48000000, |v9|
	s_xor_b32 s2, exec_lo, s1
	s_cbranch_execz .LBB23_142
; %bb.141:
	s_mov_b32 s0, 0x7fffff
	v_mov_b32_e32 v27, 0
	v_and_or_b32 v26, v25, s0, 0x800000
	s_mov_b64 s[0:1], 0xfe5163ab
	s_delay_alu instid0(VALU_DEP_1) | instid1(SALU_CYCLE_1)
	v_mul_u64_e32 v[28:29], s[0:1], v[26:27]
	s_delay_alu instid0(VALU_DEP_1) | instskip(SKIP_2) | instid1(VALU_DEP_3)
	v_dual_mov_b32 v30, v29 :: v_dual_mov_b32 v31, v27
	v_dual_mov_b32 v33, v27 :: v_dual_mov_b32 v35, v27
	v_dual_mov_b32 v37, v27 :: v_dual_lshrrev_b32 v29, 23, v25
	v_mad_nc_u64_u32 v[30:31], 0x3c439041, v26, v[30:31]
	s_delay_alu instid0(VALU_DEP_1) | instskip(NEXT) | instid1(VALU_DEP_1)
	v_mov_b32_e32 v32, v31
	v_mad_nc_u64_u32 v[32:33], 0xdb629599, v26, v[32:33]
	s_delay_alu instid0(VALU_DEP_1) | instskip(NEXT) | instid1(VALU_DEP_1)
	v_mov_b32_e32 v34, v33
	;; [unrolled: 3-line block ×3, first 2 shown]
	v_mad_nc_u64_u32 v[36:37], 0xfc2757d1, v26, v[36:37]
	s_delay_alu instid0(VALU_DEP_1) | instskip(NEXT) | instid1(VALU_DEP_1)
	v_dual_mov_b32 v39, v27 :: v_dual_mov_b32 v38, v37
	v_mad_nc_u64_u32 v[38:39], 0x4e441529, v26, v[38:39]
	s_delay_alu instid0(VALU_DEP_1) | instskip(NEXT) | instid1(VALU_DEP_1)
	v_dual_mov_b32 v40, v39 :: v_dual_add_nc_u32 v29, 0xffffff88, v29
	v_cmp_lt_u32_e32 vcc_lo, 63, v29
	v_mov_b32_e32 v41, v27
	v_cndmask_b32_e64 v31, 0, 0xffffffc0, vcc_lo
	s_delay_alu instid0(VALU_DEP_2) | instskip(SKIP_1) | instid1(VALU_DEP_3)
	v_mad_nc_u64_u32 v[26:27], 0xa2f9836e, v26, v[40:41]
	v_dual_cndmask_b32 v33, v38, v34, vcc_lo :: v_dual_cndmask_b32 v35, v36, v32, vcc_lo
	v_dual_cndmask_b32 v30, v34, v30 :: v_dual_add_nc_u32 v29, v31, v29
	v_cndmask_b32_e32 v28, v32, v28, vcc_lo
	s_delay_alu instid0(VALU_DEP_2) | instskip(SKIP_1) | instid1(VALU_DEP_2)
	v_cmp_lt_u32_e64 s0, 31, v29
	v_dual_cndmask_b32 v26, v26, v36 :: v_dual_cndmask_b32 v27, v27, v38
	v_cndmask_b32_e64 v31, 0, 0xffffffe0, s0
	s_delay_alu instid0(VALU_DEP_4) | instskip(NEXT) | instid1(VALU_DEP_2)
	v_dual_cndmask_b32 v34, v35, v30, s0 :: v_dual_cndmask_b32 v28, v30, v28, s0
	v_add_nc_u32_e32 v29, v31, v29
	s_delay_alu instid0(VALU_DEP_1) | instskip(NEXT) | instid1(VALU_DEP_1)
	v_cmp_lt_u32_e64 s1, 31, v29
	v_cndmask_b32_e64 v31, 0, 0xffffffe0, s1
	s_delay_alu instid0(VALU_DEP_1) | instskip(SKIP_1) | instid1(VALU_DEP_2)
	v_dual_cndmask_b32 v28, v34, v28, s1 :: v_dual_add_nc_u32 v29, v31, v29
	v_dual_cndmask_b32 v31, v26, v33, s0 :: v_dual_cndmask_b32 v26, v27, v26, s0
	v_dual_cndmask_b32 v27, v33, v35, s0 :: v_dual_sub_nc_u32 v33, 32, v29
	v_cmp_eq_u32_e32 vcc_lo, 0, v29
	s_delay_alu instid0(VALU_DEP_3) | instskip(NEXT) | instid1(VALU_DEP_3)
	v_cndmask_b32_e64 v26, v26, v31, s1
	v_cndmask_b32_e64 v31, v31, v27, s1
	;; [unrolled: 1-line block ×3, first 2 shown]
	s_delay_alu instid0(VALU_DEP_2) | instskip(NEXT) | instid1(VALU_DEP_2)
	v_alignbit_b32 v35, v26, v31, v33
	v_alignbit_b32 v32, v31, v27, v33
	;; [unrolled: 1-line block ×3, first 2 shown]
	s_delay_alu instid0(VALU_DEP_2) | instskip(NEXT) | instid1(VALU_DEP_2)
	v_dual_cndmask_b32 v26, v35, v26 :: v_dual_cndmask_b32 v29, v32, v31
	v_cndmask_b32_e32 v27, v33, v27, vcc_lo
	s_delay_alu instid0(VALU_DEP_2) | instskip(NEXT) | instid1(VALU_DEP_3)
	v_bfe_u32 v30, v26, 29, 1
	v_alignbit_b32 v31, v26, v29, 30
	s_delay_alu instid0(VALU_DEP_3) | instskip(SKIP_1) | instid1(VALU_DEP_4)
	v_alignbit_b32 v29, v29, v27, 30
	v_alignbit_b32 v27, v27, v28, 30
	v_sub_nc_u32_e32 v32, 0, v30
	s_delay_alu instid0(VALU_DEP_1) | instskip(NEXT) | instid1(VALU_DEP_4)
	v_xor_b32_e32 v31, v31, v32
	v_xor_b32_e32 v28, v29, v32
	s_delay_alu instid0(VALU_DEP_4) | instskip(NEXT) | instid1(VALU_DEP_3)
	v_dual_lshrrev_b32 v32, 29, v26 :: v_dual_bitop2_b32 v27, v27, v32 bitop3:0x14
	v_clz_i32_u32_e32 v33, v31
	s_delay_alu instid0(VALU_DEP_1) | instskip(NEXT) | instid1(VALU_DEP_1)
	v_min_u32_e32 v33, 32, v33
	v_dual_sub_nc_u32 v29, 31, v33 :: v_dual_lshlrev_b32 v34, 23, v33
	s_delay_alu instid0(VALU_DEP_1) | instskip(SKIP_2) | instid1(VALU_DEP_2)
	v_alignbit_b32 v31, v31, v28, v29
	v_alignbit_b32 v27, v28, v27, v29
	v_lshlrev_b32_e32 v28, 31, v32
	v_alignbit_b32 v29, v31, v27, 9
	s_delay_alu instid0(VALU_DEP_2) | instskip(SKIP_1) | instid1(VALU_DEP_3)
	v_dual_lshrrev_b32 v31, 9, v31 :: v_dual_bitop2_b32 v32, 0.5, v28 bitop3:0x54
	v_or_b32_e32 v28, 0x33000000, v28
	v_clz_i32_u32_e32 v35, v29
	s_delay_alu instid0(VALU_DEP_3) | instskip(NEXT) | instid1(VALU_DEP_2)
	v_sub_nc_u32_e32 v32, v32, v34
	v_min_u32_e32 v34, 32, v35
	s_delay_alu instid0(VALU_DEP_1) | instskip(NEXT) | instid1(VALU_DEP_3)
	v_add_lshl_u32 v33, v34, v33, 23
	v_or_b32_e32 v31, v31, v32
	v_not_b32_e32 v32, v34
	s_delay_alu instid0(VALU_DEP_2) | instskip(NEXT) | instid1(VALU_DEP_2)
	v_dual_mul_f32 v35, 0x3fc90fda, v31 :: v_dual_sub_nc_u32 v28, v28, v33
	v_alignbit_b32 v27, v29, v27, v32
	s_delay_alu instid0(VALU_DEP_2) | instskip(NEXT) | instid1(VALU_DEP_2)
	v_fma_f32 v29, 0x3fc90fda, v31, -v35
	v_lshrrev_b32_e32 v27, 9, v27
	s_delay_alu instid0(VALU_DEP_2) | instskip(NEXT) | instid1(VALU_DEP_2)
	v_fmamk_f32 v29, v31, 0x33a22168, v29
	v_or_b32_e32 v27, v28, v27
	s_delay_alu instid0(VALU_DEP_1) | instskip(NEXT) | instid1(VALU_DEP_1)
	v_fmac_f32_e32 v29, 0x3fc90fda, v27
	v_dual_add_f32 v26, v35, v29 :: v_dual_lshrrev_b32 v27, 30, v26
	s_delay_alu instid0(VALU_DEP_1)
	v_add_nc_u32_e32 v27, v30, v27
.LBB23_142:
	s_and_not1_saveexec_b32 s0, s2
; %bb.143:
	v_mul_f32_e64 v26, 0x3f22f983, |v9|
	s_delay_alu instid0(VALU_DEP_1) | instskip(NEXT) | instid1(VALU_DEP_1)
	v_rndne_f32_e32 v27, v26
	v_fma_f32 v26, 0xbfc90fda, v27, |v9|
	s_delay_alu instid0(VALU_DEP_1) | instskip(NEXT) | instid1(VALU_DEP_1)
	v_fmamk_f32 v26, v27, 0xb3a22168, v26
	v_fmamk_f32 v26, v27, 0xa7c234c4, v26
	v_cvt_i32_f32_e32 v27, v27
; %bb.144:
	s_or_b32 exec_lo, exec_lo, s0
	global_load_u16 v11, v11, s[6:7]
                                        ; implicit-def: $vgpr30
                                        ; implicit-def: $vgpr29
	s_mov_b32 s1, exec_lo
	s_wait_loadcnt 0x0
	v_cvt_f32_f16_e32 v11, v11
	s_delay_alu instid0(VALU_DEP_1)
	v_and_b32_e32 v28, 0x7fffffff, v11
	v_cmpx_ngt_f32_e64 0x48000000, |v11|
	s_xor_b32 s2, exec_lo, s1
	s_cbranch_execz .LBB23_146
; %bb.145:
	s_mov_b32 s0, 0x7fffff
	v_mov_b32_e32 v31, 0
	v_and_or_b32 v30, v28, s0, 0x800000
	s_mov_b64 s[0:1], 0xfe5163ab
	v_lshrrev_b32_e32 v29, 23, v28
	s_delay_alu instid0(VALU_DEP_2) | instskip(NEXT) | instid1(VALU_DEP_1)
	v_mul_u64_e32 v[32:33], s[0:1], v[30:31]
	v_dual_mov_b32 v34, v33 :: v_dual_mov_b32 v35, v31
	v_dual_mov_b32 v37, v31 :: v_dual_mov_b32 v39, v31
	;; [unrolled: 1-line block ×3, first 2 shown]
	s_delay_alu instid0(VALU_DEP_3) | instskip(NEXT) | instid1(VALU_DEP_1)
	v_mad_nc_u64_u32 v[34:35], 0x3c439041, v30, v[34:35]
	v_mov_b32_e32 v36, v35
	s_delay_alu instid0(VALU_DEP_1) | instskip(NEXT) | instid1(VALU_DEP_1)
	v_mad_nc_u64_u32 v[36:37], 0xdb629599, v30, v[36:37]
	v_mov_b32_e32 v38, v37
	s_delay_alu instid0(VALU_DEP_1) | instskip(NEXT) | instid1(VALU_DEP_1)
	;; [unrolled: 3-line block ×3, first 2 shown]
	v_mad_nc_u64_u32 v[40:41], 0xfc2757d1, v30, v[40:41]
	v_dual_mov_b32 v43, v31 :: v_dual_mov_b32 v42, v41
	s_delay_alu instid0(VALU_DEP_1) | instskip(NEXT) | instid1(VALU_DEP_1)
	v_mad_nc_u64_u32 v[42:43], 0x4e441529, v30, v[42:43]
	v_dual_mov_b32 v44, v43 :: v_dual_add_nc_u32 v29, 0xffffff88, v29
	s_delay_alu instid0(VALU_DEP_1) | instskip(NEXT) | instid1(VALU_DEP_2)
	v_cmp_lt_u32_e32 vcc_lo, 63, v29
	v_mad_nc_u64_u32 v[30:31], 0xa2f9836e, v30, v[44:45]
	v_cndmask_b32_e64 v33, 0, 0xffffffc0, vcc_lo
	v_dual_cndmask_b32 v35, v42, v38 :: v_dual_cndmask_b32 v32, v36, v32
	s_delay_alu instid0(VALU_DEP_2) | instskip(NEXT) | instid1(VALU_DEP_1)
	v_add_nc_u32_e32 v29, v33, v29
	v_cmp_lt_u32_e64 s0, 31, v29
	v_dual_cndmask_b32 v30, v30, v40 :: v_dual_cndmask_b32 v31, v31, v42
	s_delay_alu instid0(VALU_DEP_2) | instskip(NEXT) | instid1(VALU_DEP_1)
	v_cndmask_b32_e64 v33, 0, 0xffffffe0, s0
	v_add_nc_u32_e32 v29, v33, v29
	s_delay_alu instid0(VALU_DEP_1) | instskip(NEXT) | instid1(VALU_DEP_1)
	v_cmp_lt_u32_e64 s1, 31, v29
	v_cndmask_b32_e64 v33, 0, 0xffffffe0, s1
	s_delay_alu instid0(VALU_DEP_1) | instskip(SKIP_2) | instid1(VALU_DEP_3)
	v_dual_cndmask_b32 v37, v40, v36, vcc_lo :: v_dual_add_nc_u32 v29, v33, v29
	v_cndmask_b32_e32 v33, v38, v34, vcc_lo
	v_dual_cndmask_b32 v34, v30, v35, s0 :: v_dual_cndmask_b32 v30, v31, v30, s0
	v_cndmask_b32_e64 v31, v35, v37, s0
	s_delay_alu instid0(VALU_DEP_4) | instskip(NEXT) | instid1(VALU_DEP_4)
	v_sub_nc_u32_e32 v35, 32, v29
	v_cndmask_b32_e64 v37, v37, v33, s0
	v_cmp_eq_u32_e32 vcc_lo, 0, v29
	v_cndmask_b32_e64 v30, v30, v34, s1
	s_delay_alu instid0(VALU_DEP_3) | instskip(NEXT) | instid1(VALU_DEP_1)
	v_dual_cndmask_b32 v34, v34, v31, s1 :: v_dual_cndmask_b32 v31, v31, v37, s1
	v_alignbit_b32 v38, v30, v34, v35
	s_delay_alu instid0(VALU_DEP_2) | instskip(NEXT) | instid1(VALU_DEP_2)
	v_alignbit_b32 v36, v34, v31, v35
	v_dual_cndmask_b32 v29, v38, v30, vcc_lo :: v_dual_cndmask_b32 v30, v33, v32, s0
	s_delay_alu instid0(VALU_DEP_1) | instskip(NEXT) | instid1(VALU_DEP_1)
	v_bfe_u32 v33, v29, 29, 1
	v_dual_cndmask_b32 v32, v36, v34, vcc_lo :: v_dual_sub_nc_u32 v36, 0, v33
	s_delay_alu instid0(VALU_DEP_1) | instskip(NEXT) | instid1(VALU_DEP_1)
	v_alignbit_b32 v34, v29, v32, 30
	v_dual_cndmask_b32 v30, v37, v30, s1 :: v_dual_bitop2_b32 v34, v34, v36 bitop3:0x14
	s_delay_alu instid0(VALU_DEP_1) | instskip(NEXT) | instid1(VALU_DEP_1)
	v_alignbit_b32 v35, v31, v30, v35
	v_cndmask_b32_e32 v31, v35, v31, vcc_lo
	s_delay_alu instid0(VALU_DEP_3) | instskip(NEXT) | instid1(VALU_DEP_2)
	v_clz_i32_u32_e32 v35, v34
	v_alignbit_b32 v30, v31, v30, 30
	s_delay_alu instid0(VALU_DEP_2) | instskip(NEXT) | instid1(VALU_DEP_2)
	v_min_u32_e32 v35, 32, v35
	v_xor_b32_e32 v30, v30, v36
	v_alignbit_b32 v32, v32, v31, 30
	s_delay_alu instid0(VALU_DEP_1) | instskip(SKIP_1) | instid1(VALU_DEP_1)
	v_dual_lshlrev_b32 v37, 23, v35 :: v_dual_bitop2_b32 v31, v32, v36 bitop3:0x14
	v_dual_sub_nc_u32 v32, 31, v35 :: v_dual_lshrrev_b32 v36, 29, v29
	v_alignbit_b32 v34, v34, v31, v32
	v_alignbit_b32 v30, v31, v30, v32
	s_delay_alu instid0(VALU_DEP_3) | instskip(NEXT) | instid1(VALU_DEP_2)
	v_lshlrev_b32_e32 v31, 31, v36
	v_alignbit_b32 v32, v34, v30, 9
	s_delay_alu instid0(VALU_DEP_2) | instskip(NEXT) | instid1(VALU_DEP_2)
	v_dual_lshrrev_b32 v34, 9, v34 :: v_dual_bitop2_b32 v36, 0.5, v31 bitop3:0x54
	v_clz_i32_u32_e32 v38, v32
	s_delay_alu instid0(VALU_DEP_2) | instskip(SKIP_1) | instid1(VALU_DEP_3)
	v_sub_nc_u32_e32 v36, v36, v37
	v_or_b32_e32 v31, 0x33000000, v31
	v_min_u32_e32 v37, 32, v38
	s_delay_alu instid0(VALU_DEP_1) | instskip(NEXT) | instid1(VALU_DEP_4)
	v_add_lshl_u32 v35, v37, v35, 23
	v_or_b32_e32 v34, v34, v36
	v_not_b32_e32 v36, v37
	s_delay_alu instid0(VALU_DEP_2) | instskip(NEXT) | instid1(VALU_DEP_2)
	v_dual_mul_f32 v38, 0x3fc90fda, v34 :: v_dual_sub_nc_u32 v31, v31, v35
	v_alignbit_b32 v30, v32, v30, v36
	s_delay_alu instid0(VALU_DEP_2) | instskip(NEXT) | instid1(VALU_DEP_2)
	v_fma_f32 v32, 0x3fc90fda, v34, -v38
	v_lshrrev_b32_e32 v30, 9, v30
	s_delay_alu instid0(VALU_DEP_2) | instskip(NEXT) | instid1(VALU_DEP_2)
	v_fmamk_f32 v32, v34, 0x33a22168, v32
	v_or_b32_e32 v30, v31, v30
	s_delay_alu instid0(VALU_DEP_1) | instskip(NEXT) | instid1(VALU_DEP_1)
	v_fmac_f32_e32 v32, 0x3fc90fda, v30
	v_dual_add_f32 v29, v38, v32 :: v_dual_lshrrev_b32 v30, 30, v29
	s_delay_alu instid0(VALU_DEP_1)
	v_add_nc_u32_e32 v30, v33, v30
.LBB23_146:
	s_and_not1_saveexec_b32 s0, s2
; %bb.147:
	v_mul_f32_e64 v29, 0x3f22f983, |v11|
	s_delay_alu instid0(VALU_DEP_1) | instskip(NEXT) | instid1(VALU_DEP_1)
	v_rndne_f32_e32 v30, v29
	v_fma_f32 v29, 0xbfc90fda, v30, |v11|
	s_delay_alu instid0(VALU_DEP_1) | instskip(NEXT) | instid1(VALU_DEP_1)
	v_fmamk_f32 v29, v30, 0xb3a22168, v29
	v_fmamk_f32 v29, v30, 0xa7c234c4, v29
	v_cvt_i32_f32_e32 v30, v30
; %bb.148:
	s_or_b32 exec_lo, exec_lo, s0
	global_load_u16 v13, v13, s[6:7]
                                        ; implicit-def: $vgpr33
                                        ; implicit-def: $vgpr32
	s_mov_b32 s1, exec_lo
	s_wait_loadcnt 0x0
	v_cvt_f32_f16_e32 v13, v13
	s_delay_alu instid0(VALU_DEP_1)
	v_and_b32_e32 v31, 0x7fffffff, v13
	v_cmpx_ngt_f32_e64 0x48000000, |v13|
	s_xor_b32 s2, exec_lo, s1
	s_cbranch_execz .LBB23_150
; %bb.149:
	s_mov_b32 s0, 0x7fffff
	v_mov_b32_e32 v33, 0
	v_and_or_b32 v32, v31, s0, 0x800000
	s_mov_b64 s[0:1], 0xfe5163ab
	s_delay_alu instid0(VALU_DEP_1) | instid1(SALU_CYCLE_1)
	v_mul_u64_e32 v[34:35], s[0:1], v[32:33]
	s_delay_alu instid0(VALU_DEP_1) | instskip(SKIP_2) | instid1(VALU_DEP_3)
	v_dual_mov_b32 v36, v35 :: v_dual_mov_b32 v37, v33
	v_dual_mov_b32 v39, v33 :: v_dual_mov_b32 v41, v33
	v_dual_mov_b32 v43, v33 :: v_dual_lshrrev_b32 v35, 23, v31
	v_mad_nc_u64_u32 v[36:37], 0x3c439041, v32, v[36:37]
	s_delay_alu instid0(VALU_DEP_1) | instskip(NEXT) | instid1(VALU_DEP_1)
	v_mov_b32_e32 v38, v37
	v_mad_nc_u64_u32 v[38:39], 0xdb629599, v32, v[38:39]
	s_delay_alu instid0(VALU_DEP_1) | instskip(NEXT) | instid1(VALU_DEP_1)
	v_mov_b32_e32 v40, v39
	;; [unrolled: 3-line block ×3, first 2 shown]
	v_mad_nc_u64_u32 v[42:43], 0xfc2757d1, v32, v[42:43]
	s_delay_alu instid0(VALU_DEP_1) | instskip(NEXT) | instid1(VALU_DEP_1)
	v_dual_mov_b32 v45, v33 :: v_dual_mov_b32 v44, v43
	v_mad_nc_u64_u32 v[44:45], 0x4e441529, v32, v[44:45]
	s_delay_alu instid0(VALU_DEP_1) | instskip(NEXT) | instid1(VALU_DEP_1)
	v_dual_mov_b32 v46, v45 :: v_dual_add_nc_u32 v35, 0xffffff88, v35
	v_cmp_lt_u32_e32 vcc_lo, 63, v35
	v_mov_b32_e32 v47, v33
	v_cndmask_b32_e64 v37, 0, 0xffffffc0, vcc_lo
	s_delay_alu instid0(VALU_DEP_2) | instskip(SKIP_1) | instid1(VALU_DEP_3)
	v_mad_nc_u64_u32 v[32:33], 0xa2f9836e, v32, v[46:47]
	v_dual_cndmask_b32 v39, v44, v40, vcc_lo :: v_dual_cndmask_b32 v41, v42, v38, vcc_lo
	v_dual_cndmask_b32 v36, v40, v36 :: v_dual_add_nc_u32 v35, v37, v35
	v_cndmask_b32_e32 v34, v38, v34, vcc_lo
	s_delay_alu instid0(VALU_DEP_2) | instskip(SKIP_1) | instid1(VALU_DEP_2)
	v_cmp_lt_u32_e64 s0, 31, v35
	v_dual_cndmask_b32 v32, v32, v42 :: v_dual_cndmask_b32 v33, v33, v44
	v_cndmask_b32_e64 v37, 0, 0xffffffe0, s0
	s_delay_alu instid0(VALU_DEP_4) | instskip(NEXT) | instid1(VALU_DEP_2)
	v_dual_cndmask_b32 v40, v41, v36, s0 :: v_dual_cndmask_b32 v34, v36, v34, s0
	v_add_nc_u32_e32 v35, v37, v35
	s_delay_alu instid0(VALU_DEP_1) | instskip(NEXT) | instid1(VALU_DEP_1)
	v_cmp_lt_u32_e64 s1, 31, v35
	v_cndmask_b32_e64 v37, 0, 0xffffffe0, s1
	s_delay_alu instid0(VALU_DEP_1) | instskip(SKIP_1) | instid1(VALU_DEP_2)
	v_dual_cndmask_b32 v34, v40, v34, s1 :: v_dual_add_nc_u32 v35, v37, v35
	v_dual_cndmask_b32 v37, v32, v39, s0 :: v_dual_cndmask_b32 v32, v33, v32, s0
	v_dual_cndmask_b32 v33, v39, v41, s0 :: v_dual_sub_nc_u32 v39, 32, v35
	v_cmp_eq_u32_e32 vcc_lo, 0, v35
	s_delay_alu instid0(VALU_DEP_3) | instskip(NEXT) | instid1(VALU_DEP_3)
	v_cndmask_b32_e64 v32, v32, v37, s1
	v_cndmask_b32_e64 v37, v37, v33, s1
	;; [unrolled: 1-line block ×3, first 2 shown]
	s_delay_alu instid0(VALU_DEP_2) | instskip(NEXT) | instid1(VALU_DEP_2)
	v_alignbit_b32 v41, v32, v37, v39
	v_alignbit_b32 v38, v37, v33, v39
	;; [unrolled: 1-line block ×3, first 2 shown]
	s_delay_alu instid0(VALU_DEP_2) | instskip(NEXT) | instid1(VALU_DEP_2)
	v_dual_cndmask_b32 v32, v41, v32 :: v_dual_cndmask_b32 v35, v38, v37
	v_cndmask_b32_e32 v33, v39, v33, vcc_lo
	s_delay_alu instid0(VALU_DEP_2) | instskip(NEXT) | instid1(VALU_DEP_3)
	v_bfe_u32 v36, v32, 29, 1
	v_alignbit_b32 v37, v32, v35, 30
	s_delay_alu instid0(VALU_DEP_3) | instskip(SKIP_1) | instid1(VALU_DEP_4)
	v_alignbit_b32 v35, v35, v33, 30
	v_alignbit_b32 v33, v33, v34, 30
	v_sub_nc_u32_e32 v38, 0, v36
	s_delay_alu instid0(VALU_DEP_1) | instskip(NEXT) | instid1(VALU_DEP_4)
	v_xor_b32_e32 v37, v37, v38
	v_xor_b32_e32 v34, v35, v38
	s_delay_alu instid0(VALU_DEP_4) | instskip(NEXT) | instid1(VALU_DEP_3)
	v_dual_lshrrev_b32 v38, 29, v32 :: v_dual_bitop2_b32 v33, v33, v38 bitop3:0x14
	v_clz_i32_u32_e32 v39, v37
	s_delay_alu instid0(VALU_DEP_1) | instskip(NEXT) | instid1(VALU_DEP_1)
	v_min_u32_e32 v39, 32, v39
	v_dual_sub_nc_u32 v35, 31, v39 :: v_dual_lshlrev_b32 v40, 23, v39
	s_delay_alu instid0(VALU_DEP_1) | instskip(SKIP_2) | instid1(VALU_DEP_2)
	v_alignbit_b32 v37, v37, v34, v35
	v_alignbit_b32 v33, v34, v33, v35
	v_lshlrev_b32_e32 v34, 31, v38
	v_alignbit_b32 v35, v37, v33, 9
	s_delay_alu instid0(VALU_DEP_2) | instskip(SKIP_1) | instid1(VALU_DEP_3)
	v_dual_lshrrev_b32 v37, 9, v37 :: v_dual_bitop2_b32 v38, 0.5, v34 bitop3:0x54
	v_or_b32_e32 v34, 0x33000000, v34
	v_clz_i32_u32_e32 v41, v35
	s_delay_alu instid0(VALU_DEP_3) | instskip(NEXT) | instid1(VALU_DEP_2)
	v_sub_nc_u32_e32 v38, v38, v40
	v_min_u32_e32 v40, 32, v41
	s_delay_alu instid0(VALU_DEP_1) | instskip(NEXT) | instid1(VALU_DEP_3)
	v_add_lshl_u32 v39, v40, v39, 23
	v_or_b32_e32 v37, v37, v38
	v_not_b32_e32 v38, v40
	s_delay_alu instid0(VALU_DEP_2) | instskip(NEXT) | instid1(VALU_DEP_2)
	v_dual_mul_f32 v41, 0x3fc90fda, v37 :: v_dual_sub_nc_u32 v34, v34, v39
	v_alignbit_b32 v33, v35, v33, v38
	s_delay_alu instid0(VALU_DEP_2) | instskip(NEXT) | instid1(VALU_DEP_2)
	v_fma_f32 v35, 0x3fc90fda, v37, -v41
	v_lshrrev_b32_e32 v33, 9, v33
	s_delay_alu instid0(VALU_DEP_2) | instskip(NEXT) | instid1(VALU_DEP_2)
	v_fmamk_f32 v35, v37, 0x33a22168, v35
	v_or_b32_e32 v33, v34, v33
	s_delay_alu instid0(VALU_DEP_1) | instskip(NEXT) | instid1(VALU_DEP_1)
	v_fmac_f32_e32 v35, 0x3fc90fda, v33
	v_dual_add_f32 v32, v41, v35 :: v_dual_lshrrev_b32 v33, 30, v32
	s_delay_alu instid0(VALU_DEP_1)
	v_add_nc_u32_e32 v33, v36, v33
.LBB23_150:
	s_and_not1_saveexec_b32 s0, s2
; %bb.151:
	v_mul_f32_e64 v32, 0x3f22f983, |v13|
	s_delay_alu instid0(VALU_DEP_1) | instskip(NEXT) | instid1(VALU_DEP_1)
	v_rndne_f32_e32 v33, v32
	v_fma_f32 v32, 0xbfc90fda, v33, |v13|
	s_delay_alu instid0(VALU_DEP_1) | instskip(NEXT) | instid1(VALU_DEP_1)
	v_fmamk_f32 v32, v33, 0xb3a22168, v32
	v_fmamk_f32 v32, v33, 0xa7c234c4, v32
	v_cvt_i32_f32_e32 v33, v33
; %bb.152:
	s_or_b32 exec_lo, exec_lo, s0
	global_load_u16 v1, v1, s[6:7]
                                        ; implicit-def: $vgpr39
                                        ; implicit-def: $vgpr36
	s_mov_b32 s1, exec_lo
	s_wait_loadcnt 0x0
	v_cvt_f32_f16_e32 v1, v1
	s_delay_alu instid0(VALU_DEP_1)
	v_and_b32_e32 v35, 0x7fffffff, v1
	v_cmpx_ngt_f32_e64 0x48000000, |v1|
	s_xor_b32 s2, exec_lo, s1
	s_cbranch_execz .LBB23_154
; %bb.153:
	s_mov_b32 s0, 0x7fffff
	v_mov_b32_e32 v37, 0
	v_and_or_b32 v36, v35, s0, 0x800000
	s_mov_b64 s[0:1], 0xfe5163ab
	v_lshrrev_b32_e32 v34, 23, v35
	s_delay_alu instid0(VALU_DEP_2) | instskip(NEXT) | instid1(VALU_DEP_1)
	v_mul_u64_e32 v[38:39], s[0:1], v[36:37]
	v_dual_mov_b32 v40, v39 :: v_dual_mov_b32 v41, v37
	v_dual_mov_b32 v43, v37 :: v_dual_mov_b32 v45, v37
	s_delay_alu instid0(VALU_DEP_4) | instskip(SKIP_1) | instid1(VALU_DEP_4)
	v_dual_mov_b32 v47, v37 :: v_dual_add_nc_u32 v34, 0xffffff88, v34
	v_mov_b32_e32 v51, v37
	v_mad_nc_u64_u32 v[40:41], 0x3c439041, v36, v[40:41]
	s_delay_alu instid0(VALU_DEP_3) | instskip(SKIP_1) | instid1(VALU_DEP_3)
	v_cmp_lt_u32_e32 vcc_lo, 63, v34
	v_cndmask_b32_e64 v39, 0, 0xffffffc0, vcc_lo
	v_mov_b32_e32 v42, v41
	s_delay_alu instid0(VALU_DEP_1) | instskip(NEXT) | instid1(VALU_DEP_1)
	v_mad_nc_u64_u32 v[42:43], 0xdb629599, v36, v[42:43]
	v_dual_mov_b32 v44, v43 :: v_dual_cndmask_b32 v38, v42, v38, vcc_lo
	s_delay_alu instid0(VALU_DEP_1) | instskip(NEXT) | instid1(VALU_DEP_1)
	v_mad_nc_u64_u32 v[44:45], 0xf534ddc0, v36, v[44:45]
	v_mov_b32_e32 v46, v45
	s_delay_alu instid0(VALU_DEP_1) | instskip(NEXT) | instid1(VALU_DEP_1)
	v_mad_nc_u64_u32 v[46:47], 0xfc2757d1, v36, v[46:47]
	v_dual_mov_b32 v49, v37 :: v_dual_mov_b32 v48, v47
	s_delay_alu instid0(VALU_DEP_2) | instskip(NEXT) | instid1(VALU_DEP_2)
	v_cndmask_b32_e32 v43, v46, v42, vcc_lo
	v_mad_nc_u64_u32 v[48:49], 0x4e441529, v36, v[48:49]
	s_delay_alu instid0(VALU_DEP_1) | instskip(NEXT) | instid1(VALU_DEP_1)
	v_dual_add_nc_u32 v34, v39, v34 :: v_dual_mov_b32 v50, v49
	v_cmp_lt_u32_e64 s0, 31, v34
	s_delay_alu instid0(VALU_DEP_3) | instskip(NEXT) | instid1(VALU_DEP_3)
	v_cndmask_b32_e32 v41, v48, v44, vcc_lo
	v_mad_nc_u64_u32 v[36:37], 0xa2f9836e, v36, v[50:51]
	s_delay_alu instid0(VALU_DEP_3) | instskip(NEXT) | instid1(VALU_DEP_1)
	v_cndmask_b32_e64 v39, 0, 0xffffffe0, s0
	v_add_nc_u32_e32 v34, v39, v34
	s_delay_alu instid0(VALU_DEP_1) | instskip(NEXT) | instid1(VALU_DEP_4)
	v_cmp_lt_u32_e64 s1, 31, v34
	v_dual_cndmask_b32 v36, v36, v46 :: v_dual_cndmask_b32 v37, v37, v48
	s_delay_alu instid0(VALU_DEP_2) | instskip(NEXT) | instid1(VALU_DEP_1)
	v_cndmask_b32_e64 v39, 0, 0xffffffe0, s1
	v_dual_cndmask_b32 v39, v44, v40 :: v_dual_add_nc_u32 v34, v39, v34
	s_delay_alu instid0(VALU_DEP_3) | instskip(NEXT) | instid1(VALU_DEP_2)
	v_dual_cndmask_b32 v40, v36, v41, s0 :: v_dual_cndmask_b32 v36, v37, v36, s0
	v_dual_cndmask_b32 v37, v41, v43, s0 :: v_dual_sub_nc_u32 v41, 32, v34
	s_delay_alu instid0(VALU_DEP_3) | instskip(SKIP_1) | instid1(VALU_DEP_4)
	v_cndmask_b32_e64 v43, v43, v39, s0
	v_cmp_eq_u32_e32 vcc_lo, 0, v34
	v_cndmask_b32_e64 v36, v36, v40, s1
	s_delay_alu instid0(VALU_DEP_3) | instskip(NEXT) | instid1(VALU_DEP_1)
	v_dual_cndmask_b32 v40, v40, v37, s1 :: v_dual_cndmask_b32 v37, v37, v43, s1
	v_alignbit_b32 v44, v36, v40, v41
	s_delay_alu instid0(VALU_DEP_2) | instskip(NEXT) | instid1(VALU_DEP_2)
	v_alignbit_b32 v42, v40, v37, v41
	v_dual_cndmask_b32 v34, v44, v36, vcc_lo :: v_dual_cndmask_b32 v36, v39, v38, s0
	s_delay_alu instid0(VALU_DEP_1) | instskip(NEXT) | instid1(VALU_DEP_1)
	v_bfe_u32 v39, v34, 29, 1
	v_dual_cndmask_b32 v38, v42, v40, vcc_lo :: v_dual_sub_nc_u32 v42, 0, v39
	s_delay_alu instid0(VALU_DEP_1) | instskip(NEXT) | instid1(VALU_DEP_1)
	v_alignbit_b32 v40, v34, v38, 30
	v_dual_cndmask_b32 v36, v43, v36, s1 :: v_dual_bitop2_b32 v40, v40, v42 bitop3:0x14
	s_delay_alu instid0(VALU_DEP_1) | instskip(NEXT) | instid1(VALU_DEP_1)
	v_alignbit_b32 v41, v37, v36, v41
	v_cndmask_b32_e32 v37, v41, v37, vcc_lo
	s_delay_alu instid0(VALU_DEP_3) | instskip(NEXT) | instid1(VALU_DEP_2)
	v_clz_i32_u32_e32 v41, v40
	v_alignbit_b32 v36, v37, v36, 30
	s_delay_alu instid0(VALU_DEP_2) | instskip(NEXT) | instid1(VALU_DEP_2)
	v_min_u32_e32 v41, 32, v41
	v_xor_b32_e32 v36, v36, v42
	v_alignbit_b32 v38, v38, v37, 30
	s_delay_alu instid0(VALU_DEP_1) | instskip(SKIP_2) | instid1(VALU_DEP_2)
	v_dual_lshlrev_b32 v43, 23, v41 :: v_dual_bitop2_b32 v37, v38, v42 bitop3:0x14
	v_dual_sub_nc_u32 v38, 31, v41 :: v_dual_lshrrev_b32 v42, 29, v34
	v_lshrrev_b32_e32 v34, 30, v34
	v_alignbit_b32 v40, v40, v37, v38
	v_alignbit_b32 v36, v37, v36, v38
	s_delay_alu instid0(VALU_DEP_4) | instskip(NEXT) | instid1(VALU_DEP_4)
	v_lshlrev_b32_e32 v37, 31, v42
	v_add_nc_u32_e32 v39, v39, v34
	s_delay_alu instid0(VALU_DEP_3) | instskip(NEXT) | instid1(VALU_DEP_3)
	v_alignbit_b32 v38, v40, v36, 9
	v_dual_lshrrev_b32 v40, 9, v40 :: v_dual_bitop2_b32 v42, 0.5, v37 bitop3:0x54
	s_delay_alu instid0(VALU_DEP_2) | instskip(NEXT) | instid1(VALU_DEP_2)
	v_clz_i32_u32_e32 v44, v38
	v_sub_nc_u32_e32 v42, v42, v43
	v_or_b32_e32 v37, 0x33000000, v37
	s_delay_alu instid0(VALU_DEP_3) | instskip(NEXT) | instid1(VALU_DEP_1)
	v_min_u32_e32 v43, 32, v44
	v_add_lshl_u32 v41, v43, v41, 23
	s_delay_alu instid0(VALU_DEP_4) | instskip(SKIP_1) | instid1(VALU_DEP_2)
	v_or_b32_e32 v40, v40, v42
	v_not_b32_e32 v42, v43
	v_dual_mul_f32 v44, 0x3fc90fda, v40 :: v_dual_sub_nc_u32 v37, v37, v41
	s_delay_alu instid0(VALU_DEP_2) | instskip(NEXT) | instid1(VALU_DEP_2)
	v_alignbit_b32 v36, v38, v36, v42
	v_fma_f32 v38, 0x3fc90fda, v40, -v44
	s_delay_alu instid0(VALU_DEP_2) | instskip(NEXT) | instid1(VALU_DEP_2)
	v_lshrrev_b32_e32 v36, 9, v36
	v_fmamk_f32 v38, v40, 0x33a22168, v38
	s_delay_alu instid0(VALU_DEP_2) | instskip(NEXT) | instid1(VALU_DEP_1)
	v_or_b32_e32 v36, v37, v36
	v_fmac_f32_e32 v38, 0x3fc90fda, v36
	s_delay_alu instid0(VALU_DEP_1)
	v_add_f32_e32 v36, v44, v38
.LBB23_154:
	s_and_not1_saveexec_b32 s0, s2
; %bb.155:
	v_mul_f32_e64 v34, 0x3f22f983, |v1|
	s_delay_alu instid0(VALU_DEP_1) | instskip(NEXT) | instid1(VALU_DEP_1)
	v_rndne_f32_e32 v34, v34
	v_fma_f32 v36, 0xbfc90fda, v34, |v1|
	v_cvt_i32_f32_e32 v39, v34
	s_delay_alu instid0(VALU_DEP_2) | instskip(NEXT) | instid1(VALU_DEP_1)
	v_fmamk_f32 v36, v34, 0xb3a22168, v36
	v_fmamk_f32 v36, v34, 0xa7c234c4, v36
; %bb.156:
	s_or_b32 exec_lo, exec_lo, s0
	global_load_u16 v15, v15, s[6:7]
                                        ; implicit-def: $vgpr38
                                        ; implicit-def: $vgpr37
	s_mov_b32 s1, exec_lo
	s_wait_loadcnt 0x0
	v_cvt_f32_f16_e32 v15, v15
	s_delay_alu instid0(VALU_DEP_1)
	v_and_b32_e32 v34, 0x7fffffff, v15
	v_cmpx_ngt_f32_e64 0x48000000, |v15|
	s_xor_b32 s2, exec_lo, s1
	s_cbranch_execz .LBB23_158
; %bb.157:
	s_mov_b32 s0, 0x7fffff
	v_mov_b32_e32 v41, 0
	v_and_or_b32 v40, v34, s0, 0x800000
	s_mov_b64 s[0:1], 0xfe5163ab
	v_lshrrev_b32_e32 v37, 23, v34
	s_delay_alu instid0(VALU_DEP_2) | instskip(NEXT) | instid1(VALU_DEP_1)
	v_mul_u64_e32 v[42:43], s[0:1], v[40:41]
	v_dual_mov_b32 v44, v43 :: v_dual_mov_b32 v45, v41
	v_dual_mov_b32 v47, v41 :: v_dual_mov_b32 v49, v41
	;; [unrolled: 1-line block ×3, first 2 shown]
	s_delay_alu instid0(VALU_DEP_3) | instskip(NEXT) | instid1(VALU_DEP_1)
	v_mad_nc_u64_u32 v[44:45], 0x3c439041, v40, v[44:45]
	v_mov_b32_e32 v46, v45
	s_delay_alu instid0(VALU_DEP_1) | instskip(NEXT) | instid1(VALU_DEP_1)
	v_mad_nc_u64_u32 v[46:47], 0xdb629599, v40, v[46:47]
	v_mov_b32_e32 v48, v47
	s_delay_alu instid0(VALU_DEP_1) | instskip(NEXT) | instid1(VALU_DEP_1)
	;; [unrolled: 3-line block ×3, first 2 shown]
	v_mad_nc_u64_u32 v[50:51], 0xfc2757d1, v40, v[50:51]
	v_dual_mov_b32 v53, v41 :: v_dual_mov_b32 v52, v51
	s_delay_alu instid0(VALU_DEP_1) | instskip(NEXT) | instid1(VALU_DEP_1)
	v_mad_nc_u64_u32 v[52:53], 0x4e441529, v40, v[52:53]
	v_dual_mov_b32 v54, v53 :: v_dual_add_nc_u32 v37, 0xffffff88, v37
	s_delay_alu instid0(VALU_DEP_1) | instskip(NEXT) | instid1(VALU_DEP_2)
	v_cmp_lt_u32_e32 vcc_lo, 63, v37
	v_mad_nc_u64_u32 v[40:41], 0xa2f9836e, v40, v[54:55]
	v_cndmask_b32_e64 v38, 0, 0xffffffc0, vcc_lo
	v_dual_cndmask_b32 v45, v50, v46, vcc_lo :: v_dual_cndmask_b32 v43, v52, v48, vcc_lo
	v_cndmask_b32_e32 v42, v46, v42, vcc_lo
	s_delay_alu instid0(VALU_DEP_3) | instskip(NEXT) | instid1(VALU_DEP_1)
	v_add_nc_u32_e32 v37, v38, v37
	v_cmp_lt_u32_e64 s0, 31, v37
	v_dual_cndmask_b32 v40, v40, v50 :: v_dual_cndmask_b32 v41, v41, v52
	s_delay_alu instid0(VALU_DEP_2) | instskip(NEXT) | instid1(VALU_DEP_1)
	v_cndmask_b32_e64 v38, 0, 0xffffffe0, s0
	v_add_nc_u32_e32 v37, v38, v37
	s_delay_alu instid0(VALU_DEP_1) | instskip(NEXT) | instid1(VALU_DEP_1)
	v_cmp_lt_u32_e64 s1, 31, v37
	v_cndmask_b32_e64 v38, 0, 0xffffffe0, s1
	s_delay_alu instid0(VALU_DEP_1) | instskip(SKIP_2) | instid1(VALU_DEP_3)
	v_dual_cndmask_b32 v38, v48, v44 :: v_dual_add_nc_u32 v37, v38, v37
	v_dual_cndmask_b32 v44, v40, v43, s0 :: v_dual_cndmask_b32 v40, v41, v40, s0
	v_cndmask_b32_e64 v41, v43, v45, s0
	v_dual_sub_nc_u32 v43, 32, v37 :: v_dual_cndmask_b32 v45, v45, v38, s0
	v_cmp_eq_u32_e32 vcc_lo, 0, v37
	s_delay_alu instid0(VALU_DEP_4) | instskip(NEXT) | instid1(VALU_DEP_4)
	v_cndmask_b32_e64 v40, v40, v44, s1
	v_dual_cndmask_b32 v44, v44, v41, s1 :: v_dual_cndmask_b32 v38, v38, v42, s0
	s_delay_alu instid0(VALU_DEP_4) | instskip(NEXT) | instid1(VALU_DEP_2)
	v_cndmask_b32_e64 v41, v41, v45, s1
	v_alignbit_b32 v47, v40, v44, v43
	s_delay_alu instid0(VALU_DEP_3) | instskip(NEXT) | instid1(VALU_DEP_3)
	v_cndmask_b32_e64 v38, v45, v38, s1
	v_alignbit_b32 v46, v44, v41, v43
	s_delay_alu instid0(VALU_DEP_3) | instskip(NEXT) | instid1(VALU_DEP_3)
	v_cndmask_b32_e32 v37, v47, v40, vcc_lo
	v_alignbit_b32 v43, v41, v38, v43
	s_delay_alu instid0(VALU_DEP_3) | instskip(NEXT) | instid1(VALU_DEP_3)
	v_cndmask_b32_e32 v40, v46, v44, vcc_lo
	v_bfe_u32 v42, v37, 29, 1
	s_delay_alu instid0(VALU_DEP_3) | instskip(NEXT) | instid1(VALU_DEP_3)
	v_cndmask_b32_e32 v41, v43, v41, vcc_lo
	v_alignbit_b32 v44, v37, v40, 30
	s_delay_alu instid0(VALU_DEP_3) | instskip(NEXT) | instid1(VALU_DEP_3)
	v_sub_nc_u32_e32 v45, 0, v42
	v_alignbit_b32 v40, v40, v41, 30
	v_alignbit_b32 v38, v41, v38, 30
	s_delay_alu instid0(VALU_DEP_3) | instskip(NEXT) | instid1(VALU_DEP_2)
	v_xor_b32_e32 v44, v44, v45
	v_xor_b32_e32 v38, v38, v45
	s_delay_alu instid0(VALU_DEP_2) | instskip(NEXT) | instid1(VALU_DEP_1)
	v_clz_i32_u32_e32 v43, v44
	v_min_u32_e32 v43, 32, v43
	s_delay_alu instid0(VALU_DEP_1) | instskip(SKIP_1) | instid1(VALU_DEP_1)
	v_dual_lshlrev_b32 v46, 23, v43 :: v_dual_bitop2_b32 v40, v40, v45 bitop3:0x14
	v_sub_nc_u32_e32 v41, 31, v43
	v_alignbit_b32 v44, v44, v40, v41
	v_lshrrev_b32_e32 v45, 29, v37
	v_alignbit_b32 v38, v40, v38, v41
	s_delay_alu instid0(VALU_DEP_1) | instskip(NEXT) | instid1(VALU_DEP_3)
	v_alignbit_b32 v41, v44, v38, 9
	v_dual_lshrrev_b32 v44, 9, v44 :: v_dual_lshlrev_b32 v40, 31, v45
	s_delay_alu instid0(VALU_DEP_2) | instskip(NEXT) | instid1(VALU_DEP_2)
	v_clz_i32_u32_e32 v47, v41
	v_or_b32_e32 v45, 0.5, v40
	v_or_b32_e32 v40, 0x33000000, v40
	s_delay_alu instid0(VALU_DEP_2) | instskip(NEXT) | instid1(VALU_DEP_4)
	v_sub_nc_u32_e32 v45, v45, v46
	v_min_u32_e32 v46, 32, v47
	s_delay_alu instid0(VALU_DEP_2) | instskip(NEXT) | instid1(VALU_DEP_2)
	v_or_b32_e32 v44, v44, v45
	v_not_b32_e32 v45, v46
	v_add_lshl_u32 v43, v46, v43, 23
	s_delay_alu instid0(VALU_DEP_2) | instskip(NEXT) | instid1(VALU_DEP_1)
	v_alignbit_b32 v38, v41, v38, v45
	v_dual_sub_nc_u32 v40, v40, v43 :: v_dual_lshrrev_b32 v38, 9, v38
	v_mul_f32_e32 v47, 0x3fc90fda, v44
	s_delay_alu instid0(VALU_DEP_2) | instskip(NEXT) | instid1(VALU_DEP_2)
	v_or_b32_e32 v38, v40, v38
	v_fma_f32 v41, 0x3fc90fda, v44, -v47
	s_delay_alu instid0(VALU_DEP_1) | instskip(NEXT) | instid1(VALU_DEP_1)
	v_fmamk_f32 v41, v44, 0x33a22168, v41
	v_dual_fmac_f32 v41, 0x3fc90fda, v38 :: v_dual_lshrrev_b32 v38, 30, v37
	s_delay_alu instid0(VALU_DEP_1)
	v_dual_add_f32 v37, v47, v41 :: v_dual_add_nc_u32 v38, v42, v38
.LBB23_158:
	s_and_not1_saveexec_b32 s0, s2
; %bb.159:
	v_mul_f32_e64 v37, 0x3f22f983, |v15|
	s_delay_alu instid0(VALU_DEP_1) | instskip(NEXT) | instid1(VALU_DEP_1)
	v_rndne_f32_e32 v38, v37
	v_fma_f32 v37, 0xbfc90fda, v38, |v15|
	s_delay_alu instid0(VALU_DEP_1) | instskip(NEXT) | instid1(VALU_DEP_1)
	v_fmamk_f32 v37, v38, 0xb3a22168, v37
	v_fmamk_f32 v37, v38, 0xa7c234c4, v37
	v_cvt_i32_f32_e32 v38, v38
; %bb.160:
	s_or_b32 exec_lo, exec_lo, s0
	v_dual_mul_f32 v40, v36, v36 :: v_dual_bitop2_b32 v43, 1, v39 bitop3:0x40
	s_mov_b32 s0, 0xb94c1982
	s_mov_b32 s1, 0x37d75334
	v_dual_mul_f32 v44, v32, v32 :: v_dual_bitop2_b32 v35, v35, v1 bitop3:0x14
	s_delay_alu instid0(VALU_DEP_2) | instskip(SKIP_2) | instid1(VALU_DEP_3)
	v_dual_fmaak_f32 v41, s0, v40, 0x3c0881c4 :: v_dual_mul_f32 v48, v29, v29
	v_dual_fmaak_f32 v42, s1, v40, 0xbab64f3b :: v_dual_lshlrev_b32 v39, 30, v39
	v_cmp_eq_u32_e32 vcc_lo, 0, v43
	v_fmaak_f32 v41, v40, v41, 0xbe2aaa9d
	v_and_b32_e32 v45, 1, v33
	s_delay_alu instid0(VALU_DEP_4) | instskip(NEXT) | instid1(VALU_DEP_3)
	v_dual_fmaak_f32 v42, v40, v42, 0x3d2aabf7 :: v_dual_lshlrev_b32 v33, 30, v33
	v_dual_fmaak_f32 v46, s0, v44, 0x3c0881c4 :: v_dual_mul_f32 v41, v40, v41
	v_and_b32_e32 v39, 0x80000000, v39
	s_delay_alu instid0(VALU_DEP_3)
	v_fmaak_f32 v42, v40, v42, 0xbf000004
	v_fmaak_f32 v47, s1, v44, 0xbab64f3b
	v_and_b32_e32 v33, 0x80000000, v33
	v_fmac_f32_e32 v36, v36, v41
	v_fmaak_f32 v41, v44, v46, 0xbe2aaa9d
	v_fma_f32 v40, v40, v42, 1.0
	v_fmaak_f32 v42, v44, v47, 0x3d2aabf7
	v_xor_b32_e32 v28, v28, v11
	v_xor_b32_e32 v16, v16, v3
	s_delay_alu instid0(VALU_DEP_4) | instskip(NEXT) | instid1(VALU_DEP_4)
	v_dual_cndmask_b32 v36, v40, v36, vcc_lo :: v_dual_bitop2_b32 v31, v31, v13 bitop3:0x14
	v_dual_mul_f32 v40, v44, v41 :: v_dual_fmaak_f32 v41, v44, v42, 0xbf000004
	v_fmaak_f32 v42, s0, v48, 0x3c0881c4
	v_cmp_class_f32_e64 vcc_lo, v1, 0x1f8
	s_delay_alu instid0(VALU_DEP_4) | instskip(NEXT) | instid1(VALU_DEP_4)
	v_xor3_b32 v35, v35, v39, v36
	v_fmac_f32_e32 v32, v32, v40
	v_fma_f32 v36, v44, v41, 1.0
	v_fmaak_f32 v39, v48, v42, 0xbe2aaa9d
	v_fmaak_f32 v43, s1, v48, 0xbab64f3b
	v_cndmask_b32_e32 v1, 0x7fc00000, v35, vcc_lo
	v_cmp_eq_u32_e32 vcc_lo, 0, v45
	v_cndmask_b32_e32 v32, v36, v32, vcc_lo
	v_mul_f32_e32 v36, v48, v39
	v_fmaak_f32 v35, v48, v43, 0x3d2aabf7
	v_mul_f32_e32 v39, v26, v26
	s_delay_alu instid0(VALU_DEP_4) | instskip(NEXT) | instid1(VALU_DEP_3)
	v_xor3_b32 v31, v31, v33, v32
	v_dual_fmac_f32 v29, v29, v36 :: v_dual_fmaak_f32 v32, v48, v35, 0xbf000004
	s_delay_alu instid0(VALU_DEP_3) | instskip(SKIP_1) | instid1(VALU_DEP_3)
	v_fmaak_f32 v33, s0, v39, 0x3c0881c4
	v_fmaak_f32 v35, s1, v39, 0xbab64f3b
	v_fma_f32 v32, v48, v32, 1.0
	v_dual_lshlrev_b32 v30, 30, v30 :: v_dual_bitop2_b32 v36, 1, v30 bitop3:0x40
	v_cvt_f16_f32_e32 v1, v1
	s_delay_alu instid0(VALU_DEP_2) | instskip(NEXT) | instid1(VALU_DEP_3)
	v_cmp_eq_u32_e32 vcc_lo, 0, v36
	v_and_b32_e32 v30, 0x80000000, v30
	v_cndmask_b32_e32 v29, v32, v29, vcc_lo
	v_cmp_class_f32_e64 vcc_lo, v13, 0x1f8
	s_delay_alu instid0(VALU_DEP_2)
	v_xor3_b32 v28, v28, v30, v29
	v_cndmask_b32_e32 v13, 0x7fc00000, v31, vcc_lo
	v_cmp_class_f32_e64 vcc_lo, v11, 0x1f8
	v_mul_f32_e32 v30, v23, v23
	v_dual_lshlrev_b32 v27, 30, v27 :: v_dual_bitop2_b32 v31, 1, v27 bitop3:0x40
	v_cndmask_b32_e32 v11, 0x7fc00000, v28, vcc_lo
	v_fmaak_f32 v35, v39, v35, 0x3d2aabf7
	s_delay_alu instid0(VALU_DEP_4)
	v_fmaak_f32 v28, s0, v30, 0x3c0881c4
	v_fmaak_f32 v33, v39, v33, 0xbe2aaa9d
	v_cmp_eq_u32_e32 vcc_lo, 0, v31
	v_and_b32_e32 v27, 0x80000000, v27
	v_cvt_f16_f32_e32 v11, v11
	v_fmaak_f32 v28, v30, v28, 0xbe2aaa9d
	v_dual_mul_f32 v32, v39, v33 :: v_dual_fmaak_f32 v33, v39, v35, 0xbf000004
	s_delay_alu instid0(VALU_DEP_1) | instskip(NEXT) | instid1(VALU_DEP_2)
	v_dual_fmac_f32 v26, v26, v32 :: v_dual_bitop2_b32 v25, v25, v9 bitop3:0x14
	v_fma_f32 v29, v39, v33, 1.0
	s_delay_alu instid0(VALU_DEP_1) | instskip(SKIP_2) | instid1(VALU_DEP_3)
	v_cndmask_b32_e32 v26, v29, v26, vcc_lo
	v_fmaak_f32 v29, s1, v30, 0xbab64f3b
	v_cmp_class_f32_e64 vcc_lo, v9, 0x1f8
	v_xor3_b32 v25, v25, v27, v26
	s_delay_alu instid0(VALU_DEP_3) | instskip(NEXT) | instid1(VALU_DEP_2)
	v_dual_fmaak_f32 v26, v30, v29, 0x3d2aabf7 :: v_dual_mul_f32 v27, v30, v28
	v_dual_mul_f32 v28, v20, v20 :: v_dual_cndmask_b32 v9, 0x7fc00000, v25
	s_delay_alu instid0(VALU_DEP_2) | instskip(NEXT) | instid1(VALU_DEP_2)
	v_fmaak_f32 v25, v30, v26, 0xbf000004
	v_dual_fmac_f32 v23, v23, v27 :: v_dual_fmaak_f32 v26, s0, v28, 0x3c0881c4
	v_fmaak_f32 v27, s1, v28, 0xbab64f3b
	s_delay_alu instid0(VALU_DEP_3) | instskip(SKIP_2) | instid1(VALU_DEP_2)
	v_fma_f32 v25, v30, v25, 1.0
	v_dual_mul_f32 v30, v37, v37 :: v_dual_bitop2_b32 v29, 1, v24 bitop3:0x40
	v_lshlrev_b32_e32 v24, 30, v24
	v_cmp_eq_u32_e32 vcc_lo, 0, v29
	s_delay_alu instid0(VALU_DEP_2) | instskip(SKIP_2) | instid1(VALU_DEP_1)
	v_and_b32_e32 v24, 0x80000000, v24
	v_cndmask_b32_e32 v23, v25, v23, vcc_lo
	v_dual_mul_f32 v25, v17, v17 :: v_dual_fmaak_f32 v26, v28, v26, 0xbe2aaa9d
	v_dual_fmaak_f32 v29, s0, v25, 0x3c0881c4 :: v_dual_mul_f32 v26, v28, v26
	v_cvt_f16_f32_e32 v13, v13
	s_delay_alu instid0(VALU_DEP_2) | instskip(SKIP_2) | instid1(VALU_DEP_2)
	v_fmac_f32_e32 v20, v20, v26
	v_fmaak_f32 v27, v28, v27, 0x3d2aabf7
	v_cvt_f16_f32_e32 v9, v9
	v_fmaak_f32 v27, v28, v27, 0xbf000004
	s_delay_alu instid0(VALU_DEP_1) | instskip(SKIP_4) | instid1(VALU_DEP_4)
	v_fma_f32 v26, v28, v27, 1.0
	v_and_b32_e32 v27, 1, v21
	v_fmaak_f32 v28, v25, v29, 0xbe2aaa9d
	v_fmaak_f32 v29, s1, v25, 0xbab64f3b
	v_dual_lshlrev_b32 v21, 30, v21 :: v_dual_bitop2_b32 v22, v22, v7 bitop3:0x14
	v_cmp_eq_u32_e32 vcc_lo, 0, v27
	s_delay_alu instid0(VALU_DEP_4) | instskip(SKIP_1) | instid1(VALU_DEP_4)
	v_dual_mul_f32 v27, v25, v28 :: v_dual_fmaak_f32 v28, s0, v30, 0x3c0881c4
	v_xor_b32_e32 v19, v19, v5
	v_and_b32_e32 v21, 0x80000000, v21
	v_cndmask_b32_e32 v20, v26, v20, vcc_lo
	v_fmaak_f32 v26, v25, v29, 0x3d2aabf7
	v_fmaak_f32 v29, s1, v30, 0xbab64f3b
	v_fmac_f32_e32 v17, v17, v27
	v_fmaak_f32 v27, v30, v28, 0xbe2aaa9d
	v_xor3_b32 v19, v19, v21, v20
	v_fmaak_f32 v26, v25, v26, 0xbf000004
	v_fmaak_f32 v28, v30, v29, 0x3d2aabf7
	v_xor3_b32 v22, v22, v24, v23
	v_mul_f32_e32 v20, v30, v27
	s_delay_alu instid0(VALU_DEP_4) | instskip(SKIP_2) | instid1(VALU_DEP_4)
	v_fma_f32 v25, v25, v26, 1.0
	v_and_b32_e32 v29, 1, v18
	v_fmaak_f32 v21, v30, v28, 0xbf000004
	v_dual_fmac_f32 v37, v37, v20 :: v_dual_bitop2_b32 v20, 1, v38 bitop3:0x40
	v_lshlrev_b32_e32 v18, 30, v18
	s_delay_alu instid0(VALU_DEP_4) | instskip(NEXT) | instid1(VALU_DEP_4)
	v_cmp_eq_u32_e32 vcc_lo, 0, v29
	v_fma_f32 v21, v30, v21, 1.0
	s_delay_alu instid0(VALU_DEP_3) | instskip(SKIP_3) | instid1(VALU_DEP_3)
	v_and_b32_e32 v18, 0x80000000, v18
	v_cndmask_b32_e32 v17, v25, v17, vcc_lo
	v_cmp_eq_u32_e32 vcc_lo, 0, v20
	v_lshlrev_b32_e32 v25, 30, v38
	v_xor3_b32 v16, v16, v18, v17
	v_cndmask_b32_e32 v20, v21, v37, vcc_lo
	v_cmp_class_f32_e64 vcc_lo, v5, 0x1f8
	s_delay_alu instid0(VALU_DEP_4) | instskip(SKIP_3) | instid1(VALU_DEP_3)
	v_and_b32_e32 v21, 0x80000000, v25
	v_xor_b32_e32 v25, v34, v15
	v_cndmask_b32_e32 v5, 0x7fc00000, v19, vcc_lo
	v_cmp_class_f32_e64 vcc_lo, v3, 0x1f8
	v_xor3_b32 v17, v25, v21, v20
	s_delay_alu instid0(VALU_DEP_3) | instskip(SKIP_2) | instid1(VALU_DEP_2)
	v_cvt_f16_f32_e32 v5, v5
	v_cndmask_b32_e32 v3, 0x7fc00000, v16, vcc_lo
	v_cmp_class_f32_e64 vcc_lo, v7, 0x1f8
	v_cvt_f16_f32_e32 v3, v3
	v_cndmask_b32_e32 v7, 0x7fc00000, v22, vcc_lo
	v_cmp_class_f32_e64 vcc_lo, v15, 0x1f8
	s_delay_alu instid0(VALU_DEP_2) | instskip(SKIP_1) | instid1(VALU_DEP_1)
	v_cvt_f16_f32_e32 v7, v7
	v_cndmask_b32_e32 v15, 0x7fc00000, v17, vcc_lo
	v_cvt_f16_f32_e32 v15, v15
	s_clause 0x7
	global_store_b16 v2, v3, s[4:5]
	global_store_b16 v4, v5, s[4:5]
	;; [unrolled: 1-line block ×8, first 2 shown]
	s_endpgm
.LBB23_161:
	v_dual_mov_b32 v3, 0 :: v_dual_mov_b32 v2, 0
	s_branch .LBB23_167
.LBB23_162:
	v_dual_mov_b32 v3, 0 :: v_dual_mov_b32 v2, 0
	s_branch .LBB23_187
.LBB23_163:
	v_mov_b64_e32 v[2:3], 0
	v_mov_b32_e32 v1, v0
	s_mov_b32 s0, 0
.LBB23_164:
	s_and_b32 s16, s1, 3
	s_mov_b32 s1, 0
	s_cmp_eq_u32 s16, 0
	s_cbranch_scc1 .LBB23_167
; %bb.165:
	s_lshl_b32 s24, s0, 3
	s_mov_b32 s25, s1
	s_mul_u64 s[26:27], s[0:1], 12
	s_add_nc_u64 s[24:25], s[2:3], s[24:25]
	s_delay_alu instid0(SALU_CYCLE_1)
	s_add_nc_u64 s[0:1], s[24:25], 0xc4
	s_add_nc_u64 s[24:25], s[2:3], s[26:27]
.LBB23_166:                             ; =>This Inner Loop Header: Depth=1
	s_load_b96 s[40:42], s[24:25], 0x4
	s_load_b64 s[26:27], s[0:1], 0x0
	s_add_co_i32 s16, s16, -1
	s_wait_xcnt 0x0
	s_add_nc_u64 s[24:25], s[24:25], 12
	s_cmp_lg_u32 s16, 0
	s_add_nc_u64 s[0:1], s[0:1], 8
	s_wait_kmcnt 0x0
	v_mul_hi_u32 v4, s41, v1
	s_delay_alu instid0(VALU_DEP_1) | instskip(NEXT) | instid1(VALU_DEP_1)
	v_add_nc_u32_e32 v4, v1, v4
	v_lshrrev_b32_e32 v4, s42, v4
	s_delay_alu instid0(VALU_DEP_1) | instskip(NEXT) | instid1(VALU_DEP_1)
	v_mul_lo_u32 v5, v4, s40
	v_sub_nc_u32_e32 v1, v1, v5
	s_delay_alu instid0(VALU_DEP_1)
	v_mad_u32 v3, v1, s27, v3
	v_mad_u32 v2, v1, s26, v2
	v_mov_b32_e32 v1, v4
	s_cbranch_scc1 .LBB23_166
.LBB23_167:
	s_cbranch_execnz .LBB23_170
.LBB23_168:
	v_mov_b32_e32 v1, 0
	s_and_not1_b32 vcc_lo, exec_lo, s33
	s_delay_alu instid0(VALU_DEP_1) | instskip(NEXT) | instid1(VALU_DEP_1)
	v_mul_u64_e32 v[2:3], s[18:19], v[0:1]
	v_add_nc_u32_e32 v2, v0, v3
	s_delay_alu instid0(VALU_DEP_1) | instskip(NEXT) | instid1(VALU_DEP_1)
	v_lshrrev_b32_e32 v4, s10, v2
	v_mul_lo_u32 v2, v4, s8
	s_delay_alu instid0(VALU_DEP_1) | instskip(NEXT) | instid1(VALU_DEP_1)
	v_sub_nc_u32_e32 v2, v0, v2
	v_mul_lo_u32 v3, v2, s13
	v_mul_lo_u32 v2, v2, s12
	s_cbranch_vccnz .LBB23_170
; %bb.169:
	v_mov_b32_e32 v5, v1
	s_delay_alu instid0(VALU_DEP_1) | instskip(NEXT) | instid1(VALU_DEP_1)
	v_mul_u64_e32 v[6:7], s[20:21], v[4:5]
	v_add_nc_u32_e32 v1, v4, v7
	s_delay_alu instid0(VALU_DEP_1) | instskip(NEXT) | instid1(VALU_DEP_1)
	v_lshrrev_b32_e32 v1, s17, v1
	v_mul_lo_u32 v1, v1, s11
	s_delay_alu instid0(VALU_DEP_1) | instskip(NEXT) | instid1(VALU_DEP_1)
	v_sub_nc_u32_e32 v1, v4, v1
	v_mad_u32 v2, v1, s14, v2
	v_mad_u32 v3, v1, s15, v3
.LBB23_170:
	global_load_u16 v1, v3, s[6:7]
                                        ; implicit-def: $vgpr5
                                        ; implicit-def: $vgpr4
	s_mov_b32 s1, exec_lo
	s_wait_loadcnt 0x0
	v_cvt_f32_f16_e32 v1, v1
	s_delay_alu instid0(VALU_DEP_1)
	v_and_b32_e32 v3, 0x7fffffff, v1
	v_cmpx_ngt_f32_e64 0x48000000, |v1|
	s_xor_b32 s16, exec_lo, s1
	s_cbranch_execz .LBB23_172
; %bb.171:
	s_mov_b32 s0, 0x7fffff
	v_mov_b32_e32 v5, 0
	v_and_or_b32 v4, v3, s0, 0x800000
	s_mov_b64 s[0:1], 0xfe5163ab
	s_delay_alu instid0(VALU_DEP_1) | instid1(SALU_CYCLE_1)
	v_mul_u64_e32 v[6:7], s[0:1], v[4:5]
	s_delay_alu instid0(VALU_DEP_1) | instskip(SKIP_2) | instid1(VALU_DEP_3)
	v_dual_mov_b32 v8, v7 :: v_dual_mov_b32 v9, v5
	v_dual_mov_b32 v11, v5 :: v_dual_mov_b32 v13, v5
	v_dual_mov_b32 v15, v5 :: v_dual_lshrrev_b32 v7, 23, v3
	v_mad_nc_u64_u32 v[8:9], 0x3c439041, v4, v[8:9]
	s_delay_alu instid0(VALU_DEP_1) | instskip(NEXT) | instid1(VALU_DEP_1)
	v_mov_b32_e32 v10, v9
	v_mad_nc_u64_u32 v[10:11], 0xdb629599, v4, v[10:11]
	s_delay_alu instid0(VALU_DEP_1) | instskip(NEXT) | instid1(VALU_DEP_1)
	v_mov_b32_e32 v12, v11
	v_mad_nc_u64_u32 v[12:13], 0xf534ddc0, v4, v[12:13]
	s_delay_alu instid0(VALU_DEP_1) | instskip(NEXT) | instid1(VALU_DEP_1)
	v_mov_b32_e32 v14, v13
	v_mad_nc_u64_u32 v[14:15], 0xfc2757d1, v4, v[14:15]
	s_delay_alu instid0(VALU_DEP_1) | instskip(NEXT) | instid1(VALU_DEP_1)
	v_dual_mov_b32 v17, v5 :: v_dual_mov_b32 v16, v15
	v_mad_nc_u64_u32 v[16:17], 0x4e441529, v4, v[16:17]
	s_delay_alu instid0(VALU_DEP_1) | instskip(NEXT) | instid1(VALU_DEP_1)
	v_dual_mov_b32 v18, v17 :: v_dual_add_nc_u32 v7, 0xffffff88, v7
	v_cmp_lt_u32_e32 vcc_lo, 63, v7
	v_mov_b32_e32 v19, v5
	v_cndmask_b32_e64 v9, 0, 0xffffffc0, vcc_lo
	s_delay_alu instid0(VALU_DEP_2) | instskip(SKIP_1) | instid1(VALU_DEP_3)
	v_mad_nc_u64_u32 v[4:5], 0xa2f9836e, v4, v[18:19]
	v_dual_cndmask_b32 v11, v16, v12, vcc_lo :: v_dual_cndmask_b32 v13, v14, v10, vcc_lo
	v_dual_cndmask_b32 v8, v12, v8 :: v_dual_add_nc_u32 v7, v9, v7
	v_cndmask_b32_e32 v6, v10, v6, vcc_lo
	s_delay_alu instid0(VALU_DEP_2) | instskip(SKIP_1) | instid1(VALU_DEP_2)
	v_cmp_lt_u32_e64 s0, 31, v7
	v_dual_cndmask_b32 v4, v4, v14 :: v_dual_cndmask_b32 v5, v5, v16
	v_cndmask_b32_e64 v9, 0, 0xffffffe0, s0
	s_delay_alu instid0(VALU_DEP_4) | instskip(NEXT) | instid1(VALU_DEP_2)
	v_dual_cndmask_b32 v12, v13, v8, s0 :: v_dual_cndmask_b32 v6, v8, v6, s0
	v_add_nc_u32_e32 v7, v9, v7
	s_delay_alu instid0(VALU_DEP_1) | instskip(NEXT) | instid1(VALU_DEP_1)
	v_cmp_lt_u32_e64 s1, 31, v7
	v_cndmask_b32_e64 v9, 0, 0xffffffe0, s1
	s_delay_alu instid0(VALU_DEP_1) | instskip(SKIP_1) | instid1(VALU_DEP_2)
	v_dual_cndmask_b32 v6, v12, v6, s1 :: v_dual_add_nc_u32 v7, v9, v7
	v_dual_cndmask_b32 v9, v4, v11, s0 :: v_dual_cndmask_b32 v4, v5, v4, s0
	v_dual_cndmask_b32 v5, v11, v13, s0 :: v_dual_sub_nc_u32 v11, 32, v7
	v_cmp_eq_u32_e32 vcc_lo, 0, v7
	s_delay_alu instid0(VALU_DEP_3) | instskip(NEXT) | instid1(VALU_DEP_3)
	v_cndmask_b32_e64 v4, v4, v9, s1
	v_cndmask_b32_e64 v9, v9, v5, s1
	;; [unrolled: 1-line block ×3, first 2 shown]
	s_delay_alu instid0(VALU_DEP_2) | instskip(NEXT) | instid1(VALU_DEP_2)
	v_alignbit_b32 v13, v4, v9, v11
	v_alignbit_b32 v10, v9, v5, v11
	;; [unrolled: 1-line block ×3, first 2 shown]
	s_delay_alu instid0(VALU_DEP_2) | instskip(NEXT) | instid1(VALU_DEP_2)
	v_dual_cndmask_b32 v4, v13, v4 :: v_dual_cndmask_b32 v7, v10, v9
	v_cndmask_b32_e32 v5, v11, v5, vcc_lo
	s_delay_alu instid0(VALU_DEP_2) | instskip(NEXT) | instid1(VALU_DEP_3)
	v_bfe_u32 v8, v4, 29, 1
	v_alignbit_b32 v9, v4, v7, 30
	s_delay_alu instid0(VALU_DEP_3) | instskip(SKIP_1) | instid1(VALU_DEP_4)
	v_alignbit_b32 v7, v7, v5, 30
	v_alignbit_b32 v5, v5, v6, 30
	v_sub_nc_u32_e32 v10, 0, v8
	s_delay_alu instid0(VALU_DEP_1) | instskip(NEXT) | instid1(VALU_DEP_4)
	v_xor_b32_e32 v9, v9, v10
	v_xor_b32_e32 v6, v7, v10
	s_delay_alu instid0(VALU_DEP_4) | instskip(NEXT) | instid1(VALU_DEP_3)
	v_dual_lshrrev_b32 v10, 29, v4 :: v_dual_bitop2_b32 v5, v5, v10 bitop3:0x14
	v_clz_i32_u32_e32 v11, v9
	s_delay_alu instid0(VALU_DEP_1) | instskip(NEXT) | instid1(VALU_DEP_1)
	v_min_u32_e32 v11, 32, v11
	v_dual_sub_nc_u32 v7, 31, v11 :: v_dual_lshlrev_b32 v12, 23, v11
	s_delay_alu instid0(VALU_DEP_1) | instskip(SKIP_2) | instid1(VALU_DEP_2)
	v_alignbit_b32 v9, v9, v6, v7
	v_alignbit_b32 v5, v6, v5, v7
	v_lshlrev_b32_e32 v6, 31, v10
	v_alignbit_b32 v7, v9, v5, 9
	s_delay_alu instid0(VALU_DEP_2) | instskip(SKIP_1) | instid1(VALU_DEP_3)
	v_dual_lshrrev_b32 v9, 9, v9 :: v_dual_bitop2_b32 v10, 0.5, v6 bitop3:0x54
	v_or_b32_e32 v6, 0x33000000, v6
	v_clz_i32_u32_e32 v13, v7
	s_delay_alu instid0(VALU_DEP_3) | instskip(NEXT) | instid1(VALU_DEP_2)
	v_sub_nc_u32_e32 v10, v10, v12
	v_min_u32_e32 v12, 32, v13
	s_delay_alu instid0(VALU_DEP_1) | instskip(NEXT) | instid1(VALU_DEP_3)
	v_add_lshl_u32 v11, v12, v11, 23
	v_or_b32_e32 v9, v9, v10
	v_not_b32_e32 v10, v12
	s_delay_alu instid0(VALU_DEP_2) | instskip(NEXT) | instid1(VALU_DEP_2)
	v_dual_mul_f32 v13, 0x3fc90fda, v9 :: v_dual_sub_nc_u32 v6, v6, v11
	v_alignbit_b32 v5, v7, v5, v10
	s_delay_alu instid0(VALU_DEP_2) | instskip(NEXT) | instid1(VALU_DEP_2)
	v_fma_f32 v7, 0x3fc90fda, v9, -v13
	v_lshrrev_b32_e32 v5, 9, v5
	s_delay_alu instid0(VALU_DEP_2) | instskip(NEXT) | instid1(VALU_DEP_2)
	v_fmamk_f32 v7, v9, 0x33a22168, v7
	v_or_b32_e32 v5, v6, v5
	s_delay_alu instid0(VALU_DEP_1) | instskip(NEXT) | instid1(VALU_DEP_1)
	v_fmac_f32_e32 v7, 0x3fc90fda, v5
	v_dual_add_f32 v4, v13, v7 :: v_dual_lshrrev_b32 v5, 30, v4
	s_delay_alu instid0(VALU_DEP_1)
	v_add_nc_u32_e32 v5, v8, v5
.LBB23_172:
	s_and_not1_saveexec_b32 s0, s16
; %bb.173:
	v_mul_f32_e64 v4, 0x3f22f983, |v1|
	s_delay_alu instid0(VALU_DEP_1) | instskip(NEXT) | instid1(VALU_DEP_1)
	v_rndne_f32_e32 v5, v4
	v_fma_f32 v4, 0xbfc90fda, v5, |v1|
	s_delay_alu instid0(VALU_DEP_1) | instskip(NEXT) | instid1(VALU_DEP_1)
	v_fmamk_f32 v4, v5, 0xb3a22168, v4
	v_fmamk_f32 v4, v5, 0xa7c234c4, v4
	v_cvt_i32_f32_e32 v5, v5
; %bb.174:
	s_or_b32 exec_lo, exec_lo, s0
	s_delay_alu instid0(VALU_DEP_1) | instskip(SKIP_3) | instid1(VALU_DEP_2)
	v_dual_mul_f32 v6, v4, v4 :: v_dual_bitop2_b32 v9, 1, v5 bitop3:0x40
	s_mov_b32 s0, 0xb94c1982
	s_mov_b32 s1, 0x37d75334
	v_add_nc_u32_e32 v0, 0x80, v0
	v_fmaak_f32 v7, s0, v6, 0x3c0881c4
	v_cmp_eq_u32_e32 vcc_lo, 0, v9
	v_lshlrev_b32_e32 v5, 30, v5
	v_xor_b32_e32 v3, v3, v1
	s_delay_alu instid0(VALU_DEP_4) | instskip(SKIP_1) | instid1(VALU_DEP_4)
	v_fmaak_f32 v7, v6, v7, 0xbe2aaa9d
	v_fmaak_f32 v8, s1, v6, 0xbab64f3b
	v_and_b32_e32 v5, 0x80000000, v5
	s_delay_alu instid0(VALU_DEP_2) | instskip(NEXT) | instid1(VALU_DEP_1)
	v_dual_mul_f32 v7, v6, v7 :: v_dual_fmaak_f32 v8, v6, v8, 0x3d2aabf7
	v_fmac_f32_e32 v4, v4, v7
	s_delay_alu instid0(VALU_DEP_2) | instskip(NEXT) | instid1(VALU_DEP_1)
	v_fmaak_f32 v8, v6, v8, 0xbf000004
	v_fma_f32 v6, v6, v8, 1.0
	s_delay_alu instid0(VALU_DEP_1) | instskip(SKIP_1) | instid1(VALU_DEP_2)
	v_cndmask_b32_e32 v4, v6, v4, vcc_lo
	v_cmp_class_f32_e64 vcc_lo, v1, 0x1f8
	v_xor3_b32 v3, v3, v5, v4
	s_delay_alu instid0(VALU_DEP_1) | instskip(NEXT) | instid1(VALU_DEP_1)
	v_cndmask_b32_e32 v1, 0x7fc00000, v3, vcc_lo
	v_cvt_f16_f32_e32 v1, v1
	global_store_b16 v2, v1, s[4:5]
	s_wait_xcnt 0x0
	s_or_b32 exec_lo, exec_lo, s9
	s_delay_alu instid0(SALU_CYCLE_1)
	s_mov_b32 s9, exec_lo
	v_cmpx_gt_i32_e64 s34, v0
	s_cbranch_execnz .LBB23_15
.LBB23_175:
	s_or_b32 exec_lo, exec_lo, s9
	s_delay_alu instid0(SALU_CYCLE_1)
	s_mov_b32 s9, exec_lo
	v_cmpx_gt_i32_e64 s34, v0
	s_cbranch_execz .LBB23_195
.LBB23_176:
	s_and_not1_b32 vcc_lo, exec_lo, s30
	s_cbranch_vccnz .LBB23_181
; %bb.177:
	s_and_not1_b32 vcc_lo, exec_lo, s36
	s_cbranch_vccnz .LBB23_182
; %bb.178:
	s_add_co_i32 s1, s35, 1
	s_cmp_eq_u32 s29, 2
	s_cbranch_scc1 .LBB23_203
; %bb.179:
	v_dual_mov_b32 v2, 0 :: v_dual_mov_b32 v3, 0
	v_mov_b32_e32 v1, v0
	s_and_b32 s0, s1, 28
	s_mov_b32 s16, 0
	s_mov_b64 s[24:25], s[2:3]
	s_mov_b64 s[26:27], s[22:23]
.LBB23_180:                             ; =>This Inner Loop Header: Depth=1
	s_clause 0x1
	s_load_b256 s[40:47], s[24:25], 0x4
	s_load_b128 s[56:59], s[24:25], 0x24
	s_load_b256 s[48:55], s[26:27], 0x0
	s_add_co_i32 s16, s16, 4
	s_wait_xcnt 0x0
	s_add_nc_u64 s[24:25], s[24:25], 48
	s_cmp_eq_u32 s0, s16
	s_add_nc_u64 s[26:27], s[26:27], 32
	s_wait_kmcnt 0x0
	v_mul_hi_u32 v4, s41, v1
	s_delay_alu instid0(VALU_DEP_1) | instskip(NEXT) | instid1(VALU_DEP_1)
	v_add_nc_u32_e32 v4, v1, v4
	v_lshrrev_b32_e32 v4, s42, v4
	s_delay_alu instid0(VALU_DEP_1) | instskip(NEXT) | instid1(VALU_DEP_1)
	v_mul_hi_u32 v5, s44, v4
	v_add_nc_u32_e32 v5, v4, v5
	s_delay_alu instid0(VALU_DEP_1) | instskip(NEXT) | instid1(VALU_DEP_1)
	v_lshrrev_b32_e32 v5, s45, v5
	v_mul_hi_u32 v6, s47, v5
	s_delay_alu instid0(VALU_DEP_1) | instskip(SKIP_1) | instid1(VALU_DEP_1)
	v_add_nc_u32_e32 v6, v5, v6
	v_mul_lo_u32 v7, v4, s40
	v_sub_nc_u32_e32 v1, v1, v7
	v_mul_lo_u32 v7, v5, s43
	s_delay_alu instid0(VALU_DEP_4) | instskip(NEXT) | instid1(VALU_DEP_3)
	v_lshrrev_b32_e32 v6, s56, v6
	v_mad_u32 v3, v1, s49, v3
	v_mad_u32 v1, v1, s48, v2
	s_delay_alu instid0(VALU_DEP_4) | instskip(NEXT) | instid1(VALU_DEP_4)
	v_sub_nc_u32_e32 v2, v4, v7
	v_mul_hi_u32 v8, s58, v6
	v_mul_lo_u32 v4, v6, s46
	s_delay_alu instid0(VALU_DEP_3) | instskip(SKIP_1) | instid1(VALU_DEP_4)
	v_mad_u32 v3, v2, s51, v3
	v_mad_u32 v2, v2, s50, v1
	v_add_nc_u32_e32 v7, v6, v8
	s_delay_alu instid0(VALU_DEP_1) | instskip(NEXT) | instid1(VALU_DEP_1)
	v_dual_sub_nc_u32 v4, v5, v4 :: v_dual_lshrrev_b32 v1, s59, v7
	v_mad_u32 v3, v4, s53, v3
	s_delay_alu instid0(VALU_DEP_4) | instskip(NEXT) | instid1(VALU_DEP_3)
	v_mad_u32 v2, v4, s52, v2
	v_mul_lo_u32 v5, v1, s57
	s_delay_alu instid0(VALU_DEP_1) | instskip(NEXT) | instid1(VALU_DEP_1)
	v_sub_nc_u32_e32 v4, v6, v5
	v_mad_u32 v3, v4, s55, v3
	s_delay_alu instid0(VALU_DEP_4)
	v_mad_u32 v2, v4, s54, v2
	s_cbranch_scc0 .LBB23_180
	s_branch .LBB23_204
.LBB23_181:
                                        ; implicit-def: $vgpr3
	s_branch .LBB23_208
.LBB23_182:
	v_dual_mov_b32 v3, 0 :: v_dual_mov_b32 v2, 0
	s_branch .LBB23_207
.LBB23_183:
	v_mov_b64_e32 v[2:3], 0
	v_mov_b32_e32 v1, v0
	s_mov_b32 s0, 0
.LBB23_184:
	s_and_b32 s16, s1, 3
	s_mov_b32 s1, 0
	s_cmp_eq_u32 s16, 0
	s_cbranch_scc1 .LBB23_187
; %bb.185:
	s_lshl_b32 s24, s0, 3
	s_mov_b32 s25, s1
	s_mul_u64 s[26:27], s[0:1], 12
	s_add_nc_u64 s[24:25], s[2:3], s[24:25]
	s_delay_alu instid0(SALU_CYCLE_1)
	s_add_nc_u64 s[0:1], s[24:25], 0xc4
	s_add_nc_u64 s[24:25], s[2:3], s[26:27]
.LBB23_186:                             ; =>This Inner Loop Header: Depth=1
	s_load_b96 s[40:42], s[24:25], 0x4
	s_load_b64 s[26:27], s[0:1], 0x0
	s_add_co_i32 s16, s16, -1
	s_wait_xcnt 0x0
	s_add_nc_u64 s[24:25], s[24:25], 12
	s_cmp_lg_u32 s16, 0
	s_add_nc_u64 s[0:1], s[0:1], 8
	s_wait_kmcnt 0x0
	v_mul_hi_u32 v4, s41, v1
	s_delay_alu instid0(VALU_DEP_1) | instskip(NEXT) | instid1(VALU_DEP_1)
	v_add_nc_u32_e32 v4, v1, v4
	v_lshrrev_b32_e32 v4, s42, v4
	s_delay_alu instid0(VALU_DEP_1) | instskip(NEXT) | instid1(VALU_DEP_1)
	v_mul_lo_u32 v5, v4, s40
	v_sub_nc_u32_e32 v1, v1, v5
	s_delay_alu instid0(VALU_DEP_1)
	v_mad_u32 v3, v1, s27, v3
	v_mad_u32 v2, v1, s26, v2
	v_mov_b32_e32 v1, v4
	s_cbranch_scc1 .LBB23_186
.LBB23_187:
	s_cbranch_execnz .LBB23_190
.LBB23_188:
	v_mov_b32_e32 v1, 0
	s_and_not1_b32 vcc_lo, exec_lo, s33
	s_delay_alu instid0(VALU_DEP_1) | instskip(NEXT) | instid1(VALU_DEP_1)
	v_mul_u64_e32 v[2:3], s[18:19], v[0:1]
	v_add_nc_u32_e32 v2, v0, v3
	s_delay_alu instid0(VALU_DEP_1) | instskip(NEXT) | instid1(VALU_DEP_1)
	v_lshrrev_b32_e32 v4, s10, v2
	v_mul_lo_u32 v2, v4, s8
	s_delay_alu instid0(VALU_DEP_1) | instskip(NEXT) | instid1(VALU_DEP_1)
	v_sub_nc_u32_e32 v2, v0, v2
	v_mul_lo_u32 v3, v2, s13
	v_mul_lo_u32 v2, v2, s12
	s_cbranch_vccnz .LBB23_190
; %bb.189:
	v_mov_b32_e32 v5, v1
	s_delay_alu instid0(VALU_DEP_1) | instskip(NEXT) | instid1(VALU_DEP_1)
	v_mul_u64_e32 v[6:7], s[20:21], v[4:5]
	v_add_nc_u32_e32 v1, v4, v7
	s_delay_alu instid0(VALU_DEP_1) | instskip(NEXT) | instid1(VALU_DEP_1)
	v_lshrrev_b32_e32 v1, s17, v1
	v_mul_lo_u32 v1, v1, s11
	s_delay_alu instid0(VALU_DEP_1) | instskip(NEXT) | instid1(VALU_DEP_1)
	v_sub_nc_u32_e32 v1, v4, v1
	v_mad_u32 v2, v1, s14, v2
	v_mad_u32 v3, v1, s15, v3
.LBB23_190:
	global_load_u16 v1, v3, s[6:7]
                                        ; implicit-def: $vgpr5
                                        ; implicit-def: $vgpr4
	s_mov_b32 s1, exec_lo
	s_wait_loadcnt 0x0
	v_cvt_f32_f16_e32 v1, v1
	s_wait_xcnt 0x0
	s_delay_alu instid0(VALU_DEP_1)
	v_and_b32_e32 v3, 0x7fffffff, v1
	v_cmpx_ngt_f32_e64 0x48000000, |v1|
	s_xor_b32 s16, exec_lo, s1
	s_cbranch_execz .LBB23_192
; %bb.191:
	s_mov_b32 s0, 0x7fffff
	v_mov_b32_e32 v5, 0
	v_and_or_b32 v4, v3, s0, 0x800000
	s_mov_b64 s[0:1], 0xfe5163ab
	s_delay_alu instid0(VALU_DEP_1) | instid1(SALU_CYCLE_1)
	v_mul_u64_e32 v[6:7], s[0:1], v[4:5]
	s_delay_alu instid0(VALU_DEP_1) | instskip(SKIP_2) | instid1(VALU_DEP_3)
	v_dual_mov_b32 v8, v7 :: v_dual_mov_b32 v9, v5
	v_dual_mov_b32 v11, v5 :: v_dual_mov_b32 v13, v5
	v_dual_mov_b32 v15, v5 :: v_dual_lshrrev_b32 v7, 23, v3
	v_mad_nc_u64_u32 v[8:9], 0x3c439041, v4, v[8:9]
	s_delay_alu instid0(VALU_DEP_1) | instskip(NEXT) | instid1(VALU_DEP_1)
	v_mov_b32_e32 v10, v9
	v_mad_nc_u64_u32 v[10:11], 0xdb629599, v4, v[10:11]
	s_delay_alu instid0(VALU_DEP_1) | instskip(NEXT) | instid1(VALU_DEP_1)
	v_mov_b32_e32 v12, v11
	;; [unrolled: 3-line block ×3, first 2 shown]
	v_mad_nc_u64_u32 v[14:15], 0xfc2757d1, v4, v[14:15]
	s_delay_alu instid0(VALU_DEP_1) | instskip(NEXT) | instid1(VALU_DEP_1)
	v_dual_mov_b32 v17, v5 :: v_dual_mov_b32 v16, v15
	v_mad_nc_u64_u32 v[16:17], 0x4e441529, v4, v[16:17]
	s_delay_alu instid0(VALU_DEP_1) | instskip(NEXT) | instid1(VALU_DEP_1)
	v_dual_mov_b32 v18, v17 :: v_dual_add_nc_u32 v7, 0xffffff88, v7
	v_cmp_lt_u32_e32 vcc_lo, 63, v7
	v_mov_b32_e32 v19, v5
	v_cndmask_b32_e64 v9, 0, 0xffffffc0, vcc_lo
	s_delay_alu instid0(VALU_DEP_2) | instskip(SKIP_1) | instid1(VALU_DEP_3)
	v_mad_nc_u64_u32 v[4:5], 0xa2f9836e, v4, v[18:19]
	v_dual_cndmask_b32 v11, v16, v12, vcc_lo :: v_dual_cndmask_b32 v13, v14, v10, vcc_lo
	v_dual_cndmask_b32 v8, v12, v8 :: v_dual_add_nc_u32 v7, v9, v7
	v_cndmask_b32_e32 v6, v10, v6, vcc_lo
	s_delay_alu instid0(VALU_DEP_2) | instskip(SKIP_1) | instid1(VALU_DEP_2)
	v_cmp_lt_u32_e64 s0, 31, v7
	v_dual_cndmask_b32 v4, v4, v14 :: v_dual_cndmask_b32 v5, v5, v16
	v_cndmask_b32_e64 v9, 0, 0xffffffe0, s0
	s_delay_alu instid0(VALU_DEP_4) | instskip(NEXT) | instid1(VALU_DEP_2)
	v_dual_cndmask_b32 v12, v13, v8, s0 :: v_dual_cndmask_b32 v6, v8, v6, s0
	v_add_nc_u32_e32 v7, v9, v7
	s_delay_alu instid0(VALU_DEP_1) | instskip(NEXT) | instid1(VALU_DEP_1)
	v_cmp_lt_u32_e64 s1, 31, v7
	v_cndmask_b32_e64 v9, 0, 0xffffffe0, s1
	s_delay_alu instid0(VALU_DEP_1) | instskip(SKIP_1) | instid1(VALU_DEP_2)
	v_dual_cndmask_b32 v6, v12, v6, s1 :: v_dual_add_nc_u32 v7, v9, v7
	v_dual_cndmask_b32 v9, v4, v11, s0 :: v_dual_cndmask_b32 v4, v5, v4, s0
	v_dual_cndmask_b32 v5, v11, v13, s0 :: v_dual_sub_nc_u32 v11, 32, v7
	v_cmp_eq_u32_e32 vcc_lo, 0, v7
	s_delay_alu instid0(VALU_DEP_3) | instskip(NEXT) | instid1(VALU_DEP_3)
	v_cndmask_b32_e64 v4, v4, v9, s1
	v_cndmask_b32_e64 v9, v9, v5, s1
	;; [unrolled: 1-line block ×3, first 2 shown]
	s_delay_alu instid0(VALU_DEP_2) | instskip(NEXT) | instid1(VALU_DEP_2)
	v_alignbit_b32 v13, v4, v9, v11
	v_alignbit_b32 v10, v9, v5, v11
	;; [unrolled: 1-line block ×3, first 2 shown]
	s_delay_alu instid0(VALU_DEP_2) | instskip(NEXT) | instid1(VALU_DEP_2)
	v_dual_cndmask_b32 v4, v13, v4 :: v_dual_cndmask_b32 v7, v10, v9
	v_cndmask_b32_e32 v5, v11, v5, vcc_lo
	s_delay_alu instid0(VALU_DEP_2) | instskip(NEXT) | instid1(VALU_DEP_3)
	v_bfe_u32 v8, v4, 29, 1
	v_alignbit_b32 v9, v4, v7, 30
	s_delay_alu instid0(VALU_DEP_3) | instskip(SKIP_1) | instid1(VALU_DEP_4)
	v_alignbit_b32 v7, v7, v5, 30
	v_alignbit_b32 v5, v5, v6, 30
	v_sub_nc_u32_e32 v10, 0, v8
	s_delay_alu instid0(VALU_DEP_1) | instskip(NEXT) | instid1(VALU_DEP_4)
	v_xor_b32_e32 v9, v9, v10
	v_xor_b32_e32 v6, v7, v10
	s_delay_alu instid0(VALU_DEP_4) | instskip(NEXT) | instid1(VALU_DEP_3)
	v_dual_lshrrev_b32 v10, 29, v4 :: v_dual_bitop2_b32 v5, v5, v10 bitop3:0x14
	v_clz_i32_u32_e32 v11, v9
	s_delay_alu instid0(VALU_DEP_1) | instskip(NEXT) | instid1(VALU_DEP_1)
	v_min_u32_e32 v11, 32, v11
	v_dual_sub_nc_u32 v7, 31, v11 :: v_dual_lshlrev_b32 v12, 23, v11
	s_delay_alu instid0(VALU_DEP_1) | instskip(SKIP_2) | instid1(VALU_DEP_2)
	v_alignbit_b32 v9, v9, v6, v7
	v_alignbit_b32 v5, v6, v5, v7
	v_lshlrev_b32_e32 v6, 31, v10
	v_alignbit_b32 v7, v9, v5, 9
	s_delay_alu instid0(VALU_DEP_2) | instskip(SKIP_1) | instid1(VALU_DEP_3)
	v_dual_lshrrev_b32 v9, 9, v9 :: v_dual_bitop2_b32 v10, 0.5, v6 bitop3:0x54
	v_or_b32_e32 v6, 0x33000000, v6
	v_clz_i32_u32_e32 v13, v7
	s_delay_alu instid0(VALU_DEP_3) | instskip(NEXT) | instid1(VALU_DEP_2)
	v_sub_nc_u32_e32 v10, v10, v12
	v_min_u32_e32 v12, 32, v13
	s_delay_alu instid0(VALU_DEP_1) | instskip(NEXT) | instid1(VALU_DEP_3)
	v_add_lshl_u32 v11, v12, v11, 23
	v_or_b32_e32 v9, v9, v10
	v_not_b32_e32 v10, v12
	s_delay_alu instid0(VALU_DEP_2) | instskip(NEXT) | instid1(VALU_DEP_2)
	v_dual_mul_f32 v13, 0x3fc90fda, v9 :: v_dual_sub_nc_u32 v6, v6, v11
	v_alignbit_b32 v5, v7, v5, v10
	s_delay_alu instid0(VALU_DEP_2) | instskip(NEXT) | instid1(VALU_DEP_2)
	v_fma_f32 v7, 0x3fc90fda, v9, -v13
	v_lshrrev_b32_e32 v5, 9, v5
	s_delay_alu instid0(VALU_DEP_2) | instskip(NEXT) | instid1(VALU_DEP_2)
	v_fmamk_f32 v7, v9, 0x33a22168, v7
	v_or_b32_e32 v5, v6, v5
	s_delay_alu instid0(VALU_DEP_1) | instskip(NEXT) | instid1(VALU_DEP_1)
	v_fmac_f32_e32 v7, 0x3fc90fda, v5
	v_dual_add_f32 v4, v13, v7 :: v_dual_lshrrev_b32 v5, 30, v4
	s_delay_alu instid0(VALU_DEP_1)
	v_add_nc_u32_e32 v5, v8, v5
.LBB23_192:
	s_and_not1_saveexec_b32 s0, s16
; %bb.193:
	v_mul_f32_e64 v4, 0x3f22f983, |v1|
	s_delay_alu instid0(VALU_DEP_1) | instskip(NEXT) | instid1(VALU_DEP_1)
	v_rndne_f32_e32 v5, v4
	v_fma_f32 v4, 0xbfc90fda, v5, |v1|
	s_delay_alu instid0(VALU_DEP_1) | instskip(NEXT) | instid1(VALU_DEP_1)
	v_fmamk_f32 v4, v5, 0xb3a22168, v4
	v_fmamk_f32 v4, v5, 0xa7c234c4, v4
	v_cvt_i32_f32_e32 v5, v5
; %bb.194:
	s_or_b32 exec_lo, exec_lo, s0
	s_delay_alu instid0(VALU_DEP_1) | instskip(SKIP_3) | instid1(VALU_DEP_2)
	v_dual_mul_f32 v6, v4, v4 :: v_dual_bitop2_b32 v9, 1, v5 bitop3:0x40
	s_mov_b32 s0, 0xb94c1982
	s_mov_b32 s1, 0x37d75334
	v_add_nc_u32_e32 v0, 0x80, v0
	v_fmaak_f32 v7, s0, v6, 0x3c0881c4
	v_cmp_eq_u32_e32 vcc_lo, 0, v9
	v_lshlrev_b32_e32 v5, 30, v5
	v_xor_b32_e32 v3, v3, v1
	s_delay_alu instid0(VALU_DEP_4) | instskip(SKIP_1) | instid1(VALU_DEP_4)
	v_fmaak_f32 v7, v6, v7, 0xbe2aaa9d
	v_fmaak_f32 v8, s1, v6, 0xbab64f3b
	v_and_b32_e32 v5, 0x80000000, v5
	s_delay_alu instid0(VALU_DEP_2) | instskip(NEXT) | instid1(VALU_DEP_1)
	v_dual_mul_f32 v7, v6, v7 :: v_dual_fmaak_f32 v8, v6, v8, 0x3d2aabf7
	v_fmac_f32_e32 v4, v4, v7
	s_delay_alu instid0(VALU_DEP_2) | instskip(NEXT) | instid1(VALU_DEP_1)
	v_fmaak_f32 v8, v6, v8, 0xbf000004
	v_fma_f32 v6, v6, v8, 1.0
	s_delay_alu instid0(VALU_DEP_1) | instskip(SKIP_1) | instid1(VALU_DEP_2)
	v_cndmask_b32_e32 v4, v6, v4, vcc_lo
	v_cmp_class_f32_e64 vcc_lo, v1, 0x1f8
	v_xor3_b32 v3, v3, v5, v4
	s_delay_alu instid0(VALU_DEP_1) | instskip(NEXT) | instid1(VALU_DEP_1)
	v_cndmask_b32_e32 v1, 0x7fc00000, v3, vcc_lo
	v_cvt_f16_f32_e32 v1, v1
	global_store_b16 v2, v1, s[4:5]
	s_wait_xcnt 0x0
	s_or_b32 exec_lo, exec_lo, s9
	s_delay_alu instid0(SALU_CYCLE_1)
	s_mov_b32 s9, exec_lo
	v_cmpx_gt_i32_e64 s34, v0
	s_cbranch_execnz .LBB23_176
.LBB23_195:
	s_or_b32 exec_lo, exec_lo, s9
	s_delay_alu instid0(SALU_CYCLE_1)
	s_mov_b32 s9, exec_lo
	v_cmpx_gt_i32_e64 s34, v0
	s_cbranch_execz .LBB23_215
.LBB23_196:
	s_and_not1_b32 vcc_lo, exec_lo, s30
	s_cbranch_vccnz .LBB23_201
; %bb.197:
	s_and_not1_b32 vcc_lo, exec_lo, s36
	s_cbranch_vccnz .LBB23_202
; %bb.198:
	s_add_co_i32 s1, s35, 1
	s_cmp_eq_u32 s29, 2
	s_cbranch_scc1 .LBB23_223
; %bb.199:
	v_dual_mov_b32 v2, 0 :: v_dual_mov_b32 v3, 0
	v_mov_b32_e32 v1, v0
	s_and_b32 s0, s1, 28
	s_mov_b32 s16, 0
	s_mov_b64 s[24:25], s[2:3]
	s_mov_b64 s[26:27], s[22:23]
.LBB23_200:                             ; =>This Inner Loop Header: Depth=1
	s_clause 0x1
	s_load_b256 s[40:47], s[24:25], 0x4
	s_load_b128 s[56:59], s[24:25], 0x24
	s_load_b256 s[48:55], s[26:27], 0x0
	s_add_co_i32 s16, s16, 4
	s_wait_xcnt 0x0
	s_add_nc_u64 s[24:25], s[24:25], 48
	s_cmp_eq_u32 s0, s16
	s_add_nc_u64 s[26:27], s[26:27], 32
	s_wait_kmcnt 0x0
	v_mul_hi_u32 v4, s41, v1
	s_delay_alu instid0(VALU_DEP_1) | instskip(NEXT) | instid1(VALU_DEP_1)
	v_add_nc_u32_e32 v4, v1, v4
	v_lshrrev_b32_e32 v4, s42, v4
	s_delay_alu instid0(VALU_DEP_1) | instskip(NEXT) | instid1(VALU_DEP_1)
	v_mul_hi_u32 v5, s44, v4
	v_add_nc_u32_e32 v5, v4, v5
	s_delay_alu instid0(VALU_DEP_1) | instskip(NEXT) | instid1(VALU_DEP_1)
	v_lshrrev_b32_e32 v5, s45, v5
	v_mul_hi_u32 v6, s47, v5
	s_delay_alu instid0(VALU_DEP_1) | instskip(SKIP_1) | instid1(VALU_DEP_1)
	v_add_nc_u32_e32 v6, v5, v6
	v_mul_lo_u32 v7, v4, s40
	v_sub_nc_u32_e32 v1, v1, v7
	v_mul_lo_u32 v7, v5, s43
	s_delay_alu instid0(VALU_DEP_4) | instskip(NEXT) | instid1(VALU_DEP_3)
	v_lshrrev_b32_e32 v6, s56, v6
	v_mad_u32 v3, v1, s49, v3
	v_mad_u32 v1, v1, s48, v2
	s_delay_alu instid0(VALU_DEP_4) | instskip(NEXT) | instid1(VALU_DEP_4)
	v_sub_nc_u32_e32 v2, v4, v7
	v_mul_hi_u32 v8, s58, v6
	v_mul_lo_u32 v4, v6, s46
	s_delay_alu instid0(VALU_DEP_3) | instskip(SKIP_1) | instid1(VALU_DEP_4)
	v_mad_u32 v3, v2, s51, v3
	v_mad_u32 v2, v2, s50, v1
	v_add_nc_u32_e32 v7, v6, v8
	s_delay_alu instid0(VALU_DEP_1) | instskip(NEXT) | instid1(VALU_DEP_1)
	v_dual_sub_nc_u32 v4, v5, v4 :: v_dual_lshrrev_b32 v1, s59, v7
	v_mad_u32 v3, v4, s53, v3
	s_delay_alu instid0(VALU_DEP_4) | instskip(NEXT) | instid1(VALU_DEP_3)
	v_mad_u32 v2, v4, s52, v2
	v_mul_lo_u32 v5, v1, s57
	s_delay_alu instid0(VALU_DEP_1) | instskip(NEXT) | instid1(VALU_DEP_1)
	v_sub_nc_u32_e32 v4, v6, v5
	v_mad_u32 v3, v4, s55, v3
	s_delay_alu instid0(VALU_DEP_4)
	v_mad_u32 v2, v4, s54, v2
	s_cbranch_scc0 .LBB23_200
	s_branch .LBB23_224
.LBB23_201:
                                        ; implicit-def: $vgpr3
	s_branch .LBB23_228
.LBB23_202:
	v_dual_mov_b32 v3, 0 :: v_dual_mov_b32 v2, 0
	s_branch .LBB23_227
.LBB23_203:
	v_mov_b64_e32 v[2:3], 0
	v_mov_b32_e32 v1, v0
	s_mov_b32 s0, 0
.LBB23_204:
	s_and_b32 s16, s1, 3
	s_mov_b32 s1, 0
	s_cmp_eq_u32 s16, 0
	s_cbranch_scc1 .LBB23_207
; %bb.205:
	s_lshl_b32 s24, s0, 3
	s_mov_b32 s25, s1
	s_mul_u64 s[26:27], s[0:1], 12
	s_add_nc_u64 s[24:25], s[2:3], s[24:25]
	s_delay_alu instid0(SALU_CYCLE_1)
	s_add_nc_u64 s[0:1], s[24:25], 0xc4
	s_add_nc_u64 s[24:25], s[2:3], s[26:27]
.LBB23_206:                             ; =>This Inner Loop Header: Depth=1
	s_load_b96 s[40:42], s[24:25], 0x4
	s_load_b64 s[26:27], s[0:1], 0x0
	s_add_co_i32 s16, s16, -1
	s_wait_xcnt 0x0
	s_add_nc_u64 s[24:25], s[24:25], 12
	s_cmp_lg_u32 s16, 0
	s_add_nc_u64 s[0:1], s[0:1], 8
	s_wait_kmcnt 0x0
	v_mul_hi_u32 v4, s41, v1
	s_delay_alu instid0(VALU_DEP_1) | instskip(NEXT) | instid1(VALU_DEP_1)
	v_add_nc_u32_e32 v4, v1, v4
	v_lshrrev_b32_e32 v4, s42, v4
	s_delay_alu instid0(VALU_DEP_1) | instskip(NEXT) | instid1(VALU_DEP_1)
	v_mul_lo_u32 v5, v4, s40
	v_sub_nc_u32_e32 v1, v1, v5
	s_delay_alu instid0(VALU_DEP_1)
	v_mad_u32 v3, v1, s27, v3
	v_mad_u32 v2, v1, s26, v2
	v_mov_b32_e32 v1, v4
	s_cbranch_scc1 .LBB23_206
.LBB23_207:
	s_cbranch_execnz .LBB23_210
.LBB23_208:
	v_mov_b32_e32 v1, 0
	s_and_not1_b32 vcc_lo, exec_lo, s33
	s_delay_alu instid0(VALU_DEP_1) | instskip(NEXT) | instid1(VALU_DEP_1)
	v_mul_u64_e32 v[2:3], s[18:19], v[0:1]
	v_add_nc_u32_e32 v2, v0, v3
	s_delay_alu instid0(VALU_DEP_1) | instskip(NEXT) | instid1(VALU_DEP_1)
	v_lshrrev_b32_e32 v4, s10, v2
	v_mul_lo_u32 v2, v4, s8
	s_delay_alu instid0(VALU_DEP_1) | instskip(NEXT) | instid1(VALU_DEP_1)
	v_sub_nc_u32_e32 v2, v0, v2
	v_mul_lo_u32 v3, v2, s13
	v_mul_lo_u32 v2, v2, s12
	s_cbranch_vccnz .LBB23_210
; %bb.209:
	v_mov_b32_e32 v5, v1
	s_delay_alu instid0(VALU_DEP_1) | instskip(NEXT) | instid1(VALU_DEP_1)
	v_mul_u64_e32 v[6:7], s[20:21], v[4:5]
	v_add_nc_u32_e32 v1, v4, v7
	s_delay_alu instid0(VALU_DEP_1) | instskip(NEXT) | instid1(VALU_DEP_1)
	v_lshrrev_b32_e32 v1, s17, v1
	v_mul_lo_u32 v1, v1, s11
	s_delay_alu instid0(VALU_DEP_1) | instskip(NEXT) | instid1(VALU_DEP_1)
	v_sub_nc_u32_e32 v1, v4, v1
	v_mad_u32 v2, v1, s14, v2
	v_mad_u32 v3, v1, s15, v3
.LBB23_210:
	global_load_u16 v1, v3, s[6:7]
                                        ; implicit-def: $vgpr5
                                        ; implicit-def: $vgpr4
	s_mov_b32 s1, exec_lo
	s_wait_loadcnt 0x0
	v_cvt_f32_f16_e32 v1, v1
	s_wait_xcnt 0x0
	s_delay_alu instid0(VALU_DEP_1)
	v_and_b32_e32 v3, 0x7fffffff, v1
	v_cmpx_ngt_f32_e64 0x48000000, |v1|
	s_xor_b32 s16, exec_lo, s1
	s_cbranch_execz .LBB23_212
; %bb.211:
	s_mov_b32 s0, 0x7fffff
	v_mov_b32_e32 v5, 0
	v_and_or_b32 v4, v3, s0, 0x800000
	s_mov_b64 s[0:1], 0xfe5163ab
	s_delay_alu instid0(VALU_DEP_1) | instid1(SALU_CYCLE_1)
	v_mul_u64_e32 v[6:7], s[0:1], v[4:5]
	s_delay_alu instid0(VALU_DEP_1) | instskip(SKIP_2) | instid1(VALU_DEP_3)
	v_dual_mov_b32 v8, v7 :: v_dual_mov_b32 v9, v5
	v_dual_mov_b32 v11, v5 :: v_dual_mov_b32 v13, v5
	v_dual_mov_b32 v15, v5 :: v_dual_lshrrev_b32 v7, 23, v3
	v_mad_nc_u64_u32 v[8:9], 0x3c439041, v4, v[8:9]
	s_delay_alu instid0(VALU_DEP_1) | instskip(NEXT) | instid1(VALU_DEP_1)
	v_mov_b32_e32 v10, v9
	v_mad_nc_u64_u32 v[10:11], 0xdb629599, v4, v[10:11]
	s_delay_alu instid0(VALU_DEP_1) | instskip(NEXT) | instid1(VALU_DEP_1)
	v_mov_b32_e32 v12, v11
	;; [unrolled: 3-line block ×3, first 2 shown]
	v_mad_nc_u64_u32 v[14:15], 0xfc2757d1, v4, v[14:15]
	s_delay_alu instid0(VALU_DEP_1) | instskip(NEXT) | instid1(VALU_DEP_1)
	v_dual_mov_b32 v17, v5 :: v_dual_mov_b32 v16, v15
	v_mad_nc_u64_u32 v[16:17], 0x4e441529, v4, v[16:17]
	s_delay_alu instid0(VALU_DEP_1) | instskip(NEXT) | instid1(VALU_DEP_1)
	v_dual_mov_b32 v18, v17 :: v_dual_add_nc_u32 v7, 0xffffff88, v7
	v_cmp_lt_u32_e32 vcc_lo, 63, v7
	v_mov_b32_e32 v19, v5
	v_cndmask_b32_e64 v9, 0, 0xffffffc0, vcc_lo
	s_delay_alu instid0(VALU_DEP_2) | instskip(SKIP_1) | instid1(VALU_DEP_3)
	v_mad_nc_u64_u32 v[4:5], 0xa2f9836e, v4, v[18:19]
	v_dual_cndmask_b32 v11, v16, v12, vcc_lo :: v_dual_cndmask_b32 v13, v14, v10, vcc_lo
	v_dual_cndmask_b32 v8, v12, v8 :: v_dual_add_nc_u32 v7, v9, v7
	v_cndmask_b32_e32 v6, v10, v6, vcc_lo
	s_delay_alu instid0(VALU_DEP_2) | instskip(SKIP_1) | instid1(VALU_DEP_2)
	v_cmp_lt_u32_e64 s0, 31, v7
	v_dual_cndmask_b32 v4, v4, v14 :: v_dual_cndmask_b32 v5, v5, v16
	v_cndmask_b32_e64 v9, 0, 0xffffffe0, s0
	s_delay_alu instid0(VALU_DEP_4) | instskip(NEXT) | instid1(VALU_DEP_2)
	v_dual_cndmask_b32 v12, v13, v8, s0 :: v_dual_cndmask_b32 v6, v8, v6, s0
	v_add_nc_u32_e32 v7, v9, v7
	s_delay_alu instid0(VALU_DEP_1) | instskip(NEXT) | instid1(VALU_DEP_1)
	v_cmp_lt_u32_e64 s1, 31, v7
	v_cndmask_b32_e64 v9, 0, 0xffffffe0, s1
	s_delay_alu instid0(VALU_DEP_1) | instskip(SKIP_1) | instid1(VALU_DEP_2)
	v_dual_cndmask_b32 v6, v12, v6, s1 :: v_dual_add_nc_u32 v7, v9, v7
	v_dual_cndmask_b32 v9, v4, v11, s0 :: v_dual_cndmask_b32 v4, v5, v4, s0
	v_dual_cndmask_b32 v5, v11, v13, s0 :: v_dual_sub_nc_u32 v11, 32, v7
	v_cmp_eq_u32_e32 vcc_lo, 0, v7
	s_delay_alu instid0(VALU_DEP_3) | instskip(NEXT) | instid1(VALU_DEP_3)
	v_cndmask_b32_e64 v4, v4, v9, s1
	v_cndmask_b32_e64 v9, v9, v5, s1
	;; [unrolled: 1-line block ×3, first 2 shown]
	s_delay_alu instid0(VALU_DEP_2) | instskip(NEXT) | instid1(VALU_DEP_2)
	v_alignbit_b32 v13, v4, v9, v11
	v_alignbit_b32 v10, v9, v5, v11
	;; [unrolled: 1-line block ×3, first 2 shown]
	s_delay_alu instid0(VALU_DEP_2) | instskip(NEXT) | instid1(VALU_DEP_2)
	v_dual_cndmask_b32 v4, v13, v4 :: v_dual_cndmask_b32 v7, v10, v9
	v_cndmask_b32_e32 v5, v11, v5, vcc_lo
	s_delay_alu instid0(VALU_DEP_2) | instskip(NEXT) | instid1(VALU_DEP_3)
	v_bfe_u32 v8, v4, 29, 1
	v_alignbit_b32 v9, v4, v7, 30
	s_delay_alu instid0(VALU_DEP_3) | instskip(SKIP_1) | instid1(VALU_DEP_4)
	v_alignbit_b32 v7, v7, v5, 30
	v_alignbit_b32 v5, v5, v6, 30
	v_sub_nc_u32_e32 v10, 0, v8
	s_delay_alu instid0(VALU_DEP_1) | instskip(NEXT) | instid1(VALU_DEP_4)
	v_xor_b32_e32 v9, v9, v10
	v_xor_b32_e32 v6, v7, v10
	s_delay_alu instid0(VALU_DEP_4) | instskip(NEXT) | instid1(VALU_DEP_3)
	v_dual_lshrrev_b32 v10, 29, v4 :: v_dual_bitop2_b32 v5, v5, v10 bitop3:0x14
	v_clz_i32_u32_e32 v11, v9
	s_delay_alu instid0(VALU_DEP_1) | instskip(NEXT) | instid1(VALU_DEP_1)
	v_min_u32_e32 v11, 32, v11
	v_dual_sub_nc_u32 v7, 31, v11 :: v_dual_lshlrev_b32 v12, 23, v11
	s_delay_alu instid0(VALU_DEP_1) | instskip(SKIP_2) | instid1(VALU_DEP_2)
	v_alignbit_b32 v9, v9, v6, v7
	v_alignbit_b32 v5, v6, v5, v7
	v_lshlrev_b32_e32 v6, 31, v10
	v_alignbit_b32 v7, v9, v5, 9
	s_delay_alu instid0(VALU_DEP_2) | instskip(SKIP_1) | instid1(VALU_DEP_3)
	v_dual_lshrrev_b32 v9, 9, v9 :: v_dual_bitop2_b32 v10, 0.5, v6 bitop3:0x54
	v_or_b32_e32 v6, 0x33000000, v6
	v_clz_i32_u32_e32 v13, v7
	s_delay_alu instid0(VALU_DEP_3) | instskip(NEXT) | instid1(VALU_DEP_2)
	v_sub_nc_u32_e32 v10, v10, v12
	v_min_u32_e32 v12, 32, v13
	s_delay_alu instid0(VALU_DEP_1) | instskip(NEXT) | instid1(VALU_DEP_3)
	v_add_lshl_u32 v11, v12, v11, 23
	v_or_b32_e32 v9, v9, v10
	v_not_b32_e32 v10, v12
	s_delay_alu instid0(VALU_DEP_2) | instskip(NEXT) | instid1(VALU_DEP_2)
	v_dual_mul_f32 v13, 0x3fc90fda, v9 :: v_dual_sub_nc_u32 v6, v6, v11
	v_alignbit_b32 v5, v7, v5, v10
	s_delay_alu instid0(VALU_DEP_2) | instskip(NEXT) | instid1(VALU_DEP_2)
	v_fma_f32 v7, 0x3fc90fda, v9, -v13
	v_lshrrev_b32_e32 v5, 9, v5
	s_delay_alu instid0(VALU_DEP_2) | instskip(NEXT) | instid1(VALU_DEP_2)
	v_fmamk_f32 v7, v9, 0x33a22168, v7
	v_or_b32_e32 v5, v6, v5
	s_delay_alu instid0(VALU_DEP_1) | instskip(NEXT) | instid1(VALU_DEP_1)
	v_fmac_f32_e32 v7, 0x3fc90fda, v5
	v_dual_add_f32 v4, v13, v7 :: v_dual_lshrrev_b32 v5, 30, v4
	s_delay_alu instid0(VALU_DEP_1)
	v_add_nc_u32_e32 v5, v8, v5
.LBB23_212:
	s_and_not1_saveexec_b32 s0, s16
; %bb.213:
	v_mul_f32_e64 v4, 0x3f22f983, |v1|
	s_delay_alu instid0(VALU_DEP_1) | instskip(NEXT) | instid1(VALU_DEP_1)
	v_rndne_f32_e32 v5, v4
	v_fma_f32 v4, 0xbfc90fda, v5, |v1|
	s_delay_alu instid0(VALU_DEP_1) | instskip(NEXT) | instid1(VALU_DEP_1)
	v_fmamk_f32 v4, v5, 0xb3a22168, v4
	v_fmamk_f32 v4, v5, 0xa7c234c4, v4
	v_cvt_i32_f32_e32 v5, v5
; %bb.214:
	s_or_b32 exec_lo, exec_lo, s0
	s_delay_alu instid0(VALU_DEP_1) | instskip(SKIP_3) | instid1(VALU_DEP_2)
	v_dual_mul_f32 v6, v4, v4 :: v_dual_bitop2_b32 v9, 1, v5 bitop3:0x40
	s_mov_b32 s0, 0xb94c1982
	s_mov_b32 s1, 0x37d75334
	v_add_nc_u32_e32 v0, 0x80, v0
	v_fmaak_f32 v7, s0, v6, 0x3c0881c4
	v_cmp_eq_u32_e32 vcc_lo, 0, v9
	v_lshlrev_b32_e32 v5, 30, v5
	v_xor_b32_e32 v3, v3, v1
	s_delay_alu instid0(VALU_DEP_4) | instskip(SKIP_1) | instid1(VALU_DEP_4)
	v_fmaak_f32 v7, v6, v7, 0xbe2aaa9d
	v_fmaak_f32 v8, s1, v6, 0xbab64f3b
	v_and_b32_e32 v5, 0x80000000, v5
	s_delay_alu instid0(VALU_DEP_2) | instskip(NEXT) | instid1(VALU_DEP_1)
	v_dual_mul_f32 v7, v6, v7 :: v_dual_fmaak_f32 v8, v6, v8, 0x3d2aabf7
	v_fmac_f32_e32 v4, v4, v7
	s_delay_alu instid0(VALU_DEP_2) | instskip(NEXT) | instid1(VALU_DEP_1)
	v_fmaak_f32 v8, v6, v8, 0xbf000004
	v_fma_f32 v6, v6, v8, 1.0
	s_delay_alu instid0(VALU_DEP_1) | instskip(SKIP_1) | instid1(VALU_DEP_2)
	v_cndmask_b32_e32 v4, v6, v4, vcc_lo
	v_cmp_class_f32_e64 vcc_lo, v1, 0x1f8
	v_xor3_b32 v3, v3, v5, v4
	s_delay_alu instid0(VALU_DEP_1) | instskip(NEXT) | instid1(VALU_DEP_1)
	v_cndmask_b32_e32 v1, 0x7fc00000, v3, vcc_lo
	v_cvt_f16_f32_e32 v1, v1
	global_store_b16 v2, v1, s[4:5]
	s_wait_xcnt 0x0
	s_or_b32 exec_lo, exec_lo, s9
	s_delay_alu instid0(SALU_CYCLE_1)
	s_mov_b32 s9, exec_lo
	v_cmpx_gt_i32_e64 s34, v0
	s_cbranch_execnz .LBB23_196
.LBB23_215:
	s_or_b32 exec_lo, exec_lo, s9
	s_delay_alu instid0(SALU_CYCLE_1)
	s_mov_b32 s9, exec_lo
	v_cmpx_gt_i32_e64 s34, v0
	s_cbranch_execz .LBB23_235
.LBB23_216:
	s_and_not1_b32 vcc_lo, exec_lo, s30
	s_cbranch_vccnz .LBB23_221
; %bb.217:
	s_and_not1_b32 vcc_lo, exec_lo, s36
	s_cbranch_vccnz .LBB23_222
; %bb.218:
	s_add_co_i32 s1, s35, 1
	s_cmp_eq_u32 s29, 2
	s_cbranch_scc1 .LBB23_243
; %bb.219:
	v_dual_mov_b32 v2, 0 :: v_dual_mov_b32 v3, 0
	v_mov_b32_e32 v1, v0
	s_and_b32 s0, s1, 28
	s_mov_b32 s16, 0
	s_mov_b64 s[24:25], s[2:3]
	s_mov_b64 s[26:27], s[22:23]
.LBB23_220:                             ; =>This Inner Loop Header: Depth=1
	s_clause 0x1
	s_load_b256 s[40:47], s[24:25], 0x4
	s_load_b128 s[56:59], s[24:25], 0x24
	s_load_b256 s[48:55], s[26:27], 0x0
	s_add_co_i32 s16, s16, 4
	s_wait_xcnt 0x0
	s_add_nc_u64 s[24:25], s[24:25], 48
	s_cmp_eq_u32 s0, s16
	s_add_nc_u64 s[26:27], s[26:27], 32
	s_wait_kmcnt 0x0
	v_mul_hi_u32 v4, s41, v1
	s_delay_alu instid0(VALU_DEP_1) | instskip(NEXT) | instid1(VALU_DEP_1)
	v_add_nc_u32_e32 v4, v1, v4
	v_lshrrev_b32_e32 v4, s42, v4
	s_delay_alu instid0(VALU_DEP_1) | instskip(NEXT) | instid1(VALU_DEP_1)
	v_mul_hi_u32 v5, s44, v4
	v_add_nc_u32_e32 v5, v4, v5
	s_delay_alu instid0(VALU_DEP_1) | instskip(NEXT) | instid1(VALU_DEP_1)
	v_lshrrev_b32_e32 v5, s45, v5
	v_mul_hi_u32 v6, s47, v5
	s_delay_alu instid0(VALU_DEP_1) | instskip(SKIP_1) | instid1(VALU_DEP_1)
	v_add_nc_u32_e32 v6, v5, v6
	v_mul_lo_u32 v7, v4, s40
	v_sub_nc_u32_e32 v1, v1, v7
	v_mul_lo_u32 v7, v5, s43
	s_delay_alu instid0(VALU_DEP_4) | instskip(NEXT) | instid1(VALU_DEP_3)
	v_lshrrev_b32_e32 v6, s56, v6
	v_mad_u32 v3, v1, s49, v3
	v_mad_u32 v1, v1, s48, v2
	s_delay_alu instid0(VALU_DEP_4) | instskip(NEXT) | instid1(VALU_DEP_4)
	v_sub_nc_u32_e32 v2, v4, v7
	v_mul_hi_u32 v8, s58, v6
	v_mul_lo_u32 v4, v6, s46
	s_delay_alu instid0(VALU_DEP_3) | instskip(SKIP_1) | instid1(VALU_DEP_4)
	v_mad_u32 v3, v2, s51, v3
	v_mad_u32 v2, v2, s50, v1
	v_add_nc_u32_e32 v7, v6, v8
	s_delay_alu instid0(VALU_DEP_1) | instskip(NEXT) | instid1(VALU_DEP_1)
	v_dual_sub_nc_u32 v4, v5, v4 :: v_dual_lshrrev_b32 v1, s59, v7
	v_mad_u32 v3, v4, s53, v3
	s_delay_alu instid0(VALU_DEP_4) | instskip(NEXT) | instid1(VALU_DEP_3)
	v_mad_u32 v2, v4, s52, v2
	v_mul_lo_u32 v5, v1, s57
	s_delay_alu instid0(VALU_DEP_1) | instskip(NEXT) | instid1(VALU_DEP_1)
	v_sub_nc_u32_e32 v4, v6, v5
	v_mad_u32 v3, v4, s55, v3
	s_delay_alu instid0(VALU_DEP_4)
	v_mad_u32 v2, v4, s54, v2
	s_cbranch_scc0 .LBB23_220
	s_branch .LBB23_244
.LBB23_221:
                                        ; implicit-def: $vgpr3
	s_branch .LBB23_248
.LBB23_222:
	v_dual_mov_b32 v3, 0 :: v_dual_mov_b32 v2, 0
	s_branch .LBB23_247
.LBB23_223:
	v_mov_b64_e32 v[2:3], 0
	v_mov_b32_e32 v1, v0
	s_mov_b32 s0, 0
.LBB23_224:
	s_and_b32 s16, s1, 3
	s_mov_b32 s1, 0
	s_cmp_eq_u32 s16, 0
	s_cbranch_scc1 .LBB23_227
; %bb.225:
	s_lshl_b32 s24, s0, 3
	s_mov_b32 s25, s1
	s_mul_u64 s[26:27], s[0:1], 12
	s_add_nc_u64 s[24:25], s[2:3], s[24:25]
	s_delay_alu instid0(SALU_CYCLE_1)
	s_add_nc_u64 s[0:1], s[24:25], 0xc4
	s_add_nc_u64 s[24:25], s[2:3], s[26:27]
.LBB23_226:                             ; =>This Inner Loop Header: Depth=1
	s_load_b96 s[40:42], s[24:25], 0x4
	s_load_b64 s[26:27], s[0:1], 0x0
	s_add_co_i32 s16, s16, -1
	s_wait_xcnt 0x0
	s_add_nc_u64 s[24:25], s[24:25], 12
	s_cmp_lg_u32 s16, 0
	s_add_nc_u64 s[0:1], s[0:1], 8
	s_wait_kmcnt 0x0
	v_mul_hi_u32 v4, s41, v1
	s_delay_alu instid0(VALU_DEP_1) | instskip(NEXT) | instid1(VALU_DEP_1)
	v_add_nc_u32_e32 v4, v1, v4
	v_lshrrev_b32_e32 v4, s42, v4
	s_delay_alu instid0(VALU_DEP_1) | instskip(NEXT) | instid1(VALU_DEP_1)
	v_mul_lo_u32 v5, v4, s40
	v_sub_nc_u32_e32 v1, v1, v5
	s_delay_alu instid0(VALU_DEP_1)
	v_mad_u32 v3, v1, s27, v3
	v_mad_u32 v2, v1, s26, v2
	v_mov_b32_e32 v1, v4
	s_cbranch_scc1 .LBB23_226
.LBB23_227:
	s_cbranch_execnz .LBB23_230
.LBB23_228:
	v_mov_b32_e32 v1, 0
	s_and_not1_b32 vcc_lo, exec_lo, s33
	s_delay_alu instid0(VALU_DEP_1) | instskip(NEXT) | instid1(VALU_DEP_1)
	v_mul_u64_e32 v[2:3], s[18:19], v[0:1]
	v_add_nc_u32_e32 v2, v0, v3
	s_delay_alu instid0(VALU_DEP_1) | instskip(NEXT) | instid1(VALU_DEP_1)
	v_lshrrev_b32_e32 v4, s10, v2
	v_mul_lo_u32 v2, v4, s8
	s_delay_alu instid0(VALU_DEP_1) | instskip(NEXT) | instid1(VALU_DEP_1)
	v_sub_nc_u32_e32 v2, v0, v2
	v_mul_lo_u32 v3, v2, s13
	v_mul_lo_u32 v2, v2, s12
	s_cbranch_vccnz .LBB23_230
; %bb.229:
	v_mov_b32_e32 v5, v1
	s_delay_alu instid0(VALU_DEP_1) | instskip(NEXT) | instid1(VALU_DEP_1)
	v_mul_u64_e32 v[6:7], s[20:21], v[4:5]
	v_add_nc_u32_e32 v1, v4, v7
	s_delay_alu instid0(VALU_DEP_1) | instskip(NEXT) | instid1(VALU_DEP_1)
	v_lshrrev_b32_e32 v1, s17, v1
	v_mul_lo_u32 v1, v1, s11
	s_delay_alu instid0(VALU_DEP_1) | instskip(NEXT) | instid1(VALU_DEP_1)
	v_sub_nc_u32_e32 v1, v4, v1
	v_mad_u32 v2, v1, s14, v2
	v_mad_u32 v3, v1, s15, v3
.LBB23_230:
	global_load_u16 v1, v3, s[6:7]
                                        ; implicit-def: $vgpr5
                                        ; implicit-def: $vgpr4
	s_mov_b32 s1, exec_lo
	s_wait_loadcnt 0x0
	v_cvt_f32_f16_e32 v1, v1
	s_wait_xcnt 0x0
	s_delay_alu instid0(VALU_DEP_1)
	v_and_b32_e32 v3, 0x7fffffff, v1
	v_cmpx_ngt_f32_e64 0x48000000, |v1|
	s_xor_b32 s16, exec_lo, s1
	s_cbranch_execz .LBB23_232
; %bb.231:
	s_mov_b32 s0, 0x7fffff
	v_mov_b32_e32 v5, 0
	v_and_or_b32 v4, v3, s0, 0x800000
	s_mov_b64 s[0:1], 0xfe5163ab
	s_delay_alu instid0(VALU_DEP_1) | instid1(SALU_CYCLE_1)
	v_mul_u64_e32 v[6:7], s[0:1], v[4:5]
	s_delay_alu instid0(VALU_DEP_1) | instskip(SKIP_2) | instid1(VALU_DEP_3)
	v_dual_mov_b32 v8, v7 :: v_dual_mov_b32 v9, v5
	v_dual_mov_b32 v11, v5 :: v_dual_mov_b32 v13, v5
	v_dual_mov_b32 v15, v5 :: v_dual_lshrrev_b32 v7, 23, v3
	v_mad_nc_u64_u32 v[8:9], 0x3c439041, v4, v[8:9]
	s_delay_alu instid0(VALU_DEP_1) | instskip(NEXT) | instid1(VALU_DEP_1)
	v_mov_b32_e32 v10, v9
	v_mad_nc_u64_u32 v[10:11], 0xdb629599, v4, v[10:11]
	s_delay_alu instid0(VALU_DEP_1) | instskip(NEXT) | instid1(VALU_DEP_1)
	v_mov_b32_e32 v12, v11
	;; [unrolled: 3-line block ×3, first 2 shown]
	v_mad_nc_u64_u32 v[14:15], 0xfc2757d1, v4, v[14:15]
	s_delay_alu instid0(VALU_DEP_1) | instskip(NEXT) | instid1(VALU_DEP_1)
	v_dual_mov_b32 v17, v5 :: v_dual_mov_b32 v16, v15
	v_mad_nc_u64_u32 v[16:17], 0x4e441529, v4, v[16:17]
	s_delay_alu instid0(VALU_DEP_1) | instskip(NEXT) | instid1(VALU_DEP_1)
	v_dual_mov_b32 v18, v17 :: v_dual_add_nc_u32 v7, 0xffffff88, v7
	v_cmp_lt_u32_e32 vcc_lo, 63, v7
	v_mov_b32_e32 v19, v5
	v_cndmask_b32_e64 v9, 0, 0xffffffc0, vcc_lo
	s_delay_alu instid0(VALU_DEP_2) | instskip(SKIP_1) | instid1(VALU_DEP_3)
	v_mad_nc_u64_u32 v[4:5], 0xa2f9836e, v4, v[18:19]
	v_dual_cndmask_b32 v11, v16, v12, vcc_lo :: v_dual_cndmask_b32 v13, v14, v10, vcc_lo
	v_dual_cndmask_b32 v8, v12, v8 :: v_dual_add_nc_u32 v7, v9, v7
	v_cndmask_b32_e32 v6, v10, v6, vcc_lo
	s_delay_alu instid0(VALU_DEP_2) | instskip(SKIP_1) | instid1(VALU_DEP_2)
	v_cmp_lt_u32_e64 s0, 31, v7
	v_dual_cndmask_b32 v4, v4, v14 :: v_dual_cndmask_b32 v5, v5, v16
	v_cndmask_b32_e64 v9, 0, 0xffffffe0, s0
	s_delay_alu instid0(VALU_DEP_4) | instskip(NEXT) | instid1(VALU_DEP_2)
	v_dual_cndmask_b32 v12, v13, v8, s0 :: v_dual_cndmask_b32 v6, v8, v6, s0
	v_add_nc_u32_e32 v7, v9, v7
	s_delay_alu instid0(VALU_DEP_1) | instskip(NEXT) | instid1(VALU_DEP_1)
	v_cmp_lt_u32_e64 s1, 31, v7
	v_cndmask_b32_e64 v9, 0, 0xffffffe0, s1
	s_delay_alu instid0(VALU_DEP_1) | instskip(SKIP_1) | instid1(VALU_DEP_2)
	v_dual_cndmask_b32 v6, v12, v6, s1 :: v_dual_add_nc_u32 v7, v9, v7
	v_dual_cndmask_b32 v9, v4, v11, s0 :: v_dual_cndmask_b32 v4, v5, v4, s0
	v_dual_cndmask_b32 v5, v11, v13, s0 :: v_dual_sub_nc_u32 v11, 32, v7
	v_cmp_eq_u32_e32 vcc_lo, 0, v7
	s_delay_alu instid0(VALU_DEP_3) | instskip(NEXT) | instid1(VALU_DEP_3)
	v_cndmask_b32_e64 v4, v4, v9, s1
	v_cndmask_b32_e64 v9, v9, v5, s1
	;; [unrolled: 1-line block ×3, first 2 shown]
	s_delay_alu instid0(VALU_DEP_2) | instskip(NEXT) | instid1(VALU_DEP_2)
	v_alignbit_b32 v13, v4, v9, v11
	v_alignbit_b32 v10, v9, v5, v11
	;; [unrolled: 1-line block ×3, first 2 shown]
	s_delay_alu instid0(VALU_DEP_2) | instskip(NEXT) | instid1(VALU_DEP_2)
	v_dual_cndmask_b32 v4, v13, v4 :: v_dual_cndmask_b32 v7, v10, v9
	v_cndmask_b32_e32 v5, v11, v5, vcc_lo
	s_delay_alu instid0(VALU_DEP_2) | instskip(NEXT) | instid1(VALU_DEP_3)
	v_bfe_u32 v8, v4, 29, 1
	v_alignbit_b32 v9, v4, v7, 30
	s_delay_alu instid0(VALU_DEP_3) | instskip(SKIP_1) | instid1(VALU_DEP_4)
	v_alignbit_b32 v7, v7, v5, 30
	v_alignbit_b32 v5, v5, v6, 30
	v_sub_nc_u32_e32 v10, 0, v8
	s_delay_alu instid0(VALU_DEP_1) | instskip(NEXT) | instid1(VALU_DEP_4)
	v_xor_b32_e32 v9, v9, v10
	v_xor_b32_e32 v6, v7, v10
	s_delay_alu instid0(VALU_DEP_4) | instskip(NEXT) | instid1(VALU_DEP_3)
	v_dual_lshrrev_b32 v10, 29, v4 :: v_dual_bitop2_b32 v5, v5, v10 bitop3:0x14
	v_clz_i32_u32_e32 v11, v9
	s_delay_alu instid0(VALU_DEP_1) | instskip(NEXT) | instid1(VALU_DEP_1)
	v_min_u32_e32 v11, 32, v11
	v_dual_sub_nc_u32 v7, 31, v11 :: v_dual_lshlrev_b32 v12, 23, v11
	s_delay_alu instid0(VALU_DEP_1) | instskip(SKIP_2) | instid1(VALU_DEP_2)
	v_alignbit_b32 v9, v9, v6, v7
	v_alignbit_b32 v5, v6, v5, v7
	v_lshlrev_b32_e32 v6, 31, v10
	v_alignbit_b32 v7, v9, v5, 9
	s_delay_alu instid0(VALU_DEP_2) | instskip(SKIP_1) | instid1(VALU_DEP_3)
	v_dual_lshrrev_b32 v9, 9, v9 :: v_dual_bitop2_b32 v10, 0.5, v6 bitop3:0x54
	v_or_b32_e32 v6, 0x33000000, v6
	v_clz_i32_u32_e32 v13, v7
	s_delay_alu instid0(VALU_DEP_3) | instskip(NEXT) | instid1(VALU_DEP_2)
	v_sub_nc_u32_e32 v10, v10, v12
	v_min_u32_e32 v12, 32, v13
	s_delay_alu instid0(VALU_DEP_1) | instskip(NEXT) | instid1(VALU_DEP_3)
	v_add_lshl_u32 v11, v12, v11, 23
	v_or_b32_e32 v9, v9, v10
	v_not_b32_e32 v10, v12
	s_delay_alu instid0(VALU_DEP_2) | instskip(NEXT) | instid1(VALU_DEP_2)
	v_dual_mul_f32 v13, 0x3fc90fda, v9 :: v_dual_sub_nc_u32 v6, v6, v11
	v_alignbit_b32 v5, v7, v5, v10
	s_delay_alu instid0(VALU_DEP_2) | instskip(NEXT) | instid1(VALU_DEP_2)
	v_fma_f32 v7, 0x3fc90fda, v9, -v13
	v_lshrrev_b32_e32 v5, 9, v5
	s_delay_alu instid0(VALU_DEP_2) | instskip(NEXT) | instid1(VALU_DEP_2)
	v_fmamk_f32 v7, v9, 0x33a22168, v7
	v_or_b32_e32 v5, v6, v5
	s_delay_alu instid0(VALU_DEP_1) | instskip(NEXT) | instid1(VALU_DEP_1)
	v_fmac_f32_e32 v7, 0x3fc90fda, v5
	v_dual_add_f32 v4, v13, v7 :: v_dual_lshrrev_b32 v5, 30, v4
	s_delay_alu instid0(VALU_DEP_1)
	v_add_nc_u32_e32 v5, v8, v5
.LBB23_232:
	s_and_not1_saveexec_b32 s0, s16
; %bb.233:
	v_mul_f32_e64 v4, 0x3f22f983, |v1|
	s_delay_alu instid0(VALU_DEP_1) | instskip(NEXT) | instid1(VALU_DEP_1)
	v_rndne_f32_e32 v5, v4
	v_fma_f32 v4, 0xbfc90fda, v5, |v1|
	s_delay_alu instid0(VALU_DEP_1) | instskip(NEXT) | instid1(VALU_DEP_1)
	v_fmamk_f32 v4, v5, 0xb3a22168, v4
	v_fmamk_f32 v4, v5, 0xa7c234c4, v4
	v_cvt_i32_f32_e32 v5, v5
; %bb.234:
	s_or_b32 exec_lo, exec_lo, s0
	s_delay_alu instid0(VALU_DEP_1) | instskip(SKIP_3) | instid1(VALU_DEP_2)
	v_dual_mul_f32 v6, v4, v4 :: v_dual_bitop2_b32 v9, 1, v5 bitop3:0x40
	s_mov_b32 s0, 0xb94c1982
	s_mov_b32 s1, 0x37d75334
	v_add_nc_u32_e32 v0, 0x80, v0
	v_fmaak_f32 v7, s0, v6, 0x3c0881c4
	v_cmp_eq_u32_e32 vcc_lo, 0, v9
	v_lshlrev_b32_e32 v5, 30, v5
	v_xor_b32_e32 v3, v3, v1
	s_delay_alu instid0(VALU_DEP_4) | instskip(SKIP_1) | instid1(VALU_DEP_4)
	v_fmaak_f32 v7, v6, v7, 0xbe2aaa9d
	v_fmaak_f32 v8, s1, v6, 0xbab64f3b
	v_and_b32_e32 v5, 0x80000000, v5
	s_delay_alu instid0(VALU_DEP_2) | instskip(NEXT) | instid1(VALU_DEP_1)
	v_dual_mul_f32 v7, v6, v7 :: v_dual_fmaak_f32 v8, v6, v8, 0x3d2aabf7
	v_fmac_f32_e32 v4, v4, v7
	s_delay_alu instid0(VALU_DEP_2) | instskip(NEXT) | instid1(VALU_DEP_1)
	v_fmaak_f32 v8, v6, v8, 0xbf000004
	v_fma_f32 v6, v6, v8, 1.0
	s_delay_alu instid0(VALU_DEP_1) | instskip(SKIP_1) | instid1(VALU_DEP_2)
	v_cndmask_b32_e32 v4, v6, v4, vcc_lo
	v_cmp_class_f32_e64 vcc_lo, v1, 0x1f8
	v_xor3_b32 v3, v3, v5, v4
	s_delay_alu instid0(VALU_DEP_1) | instskip(NEXT) | instid1(VALU_DEP_1)
	v_cndmask_b32_e32 v1, 0x7fc00000, v3, vcc_lo
	v_cvt_f16_f32_e32 v1, v1
	global_store_b16 v2, v1, s[4:5]
	s_wait_xcnt 0x0
	s_or_b32 exec_lo, exec_lo, s9
	s_delay_alu instid0(SALU_CYCLE_1)
	s_mov_b32 s9, exec_lo
	v_cmpx_gt_i32_e64 s34, v0
	s_cbranch_execnz .LBB23_216
.LBB23_235:
	s_or_b32 exec_lo, exec_lo, s9
	s_delay_alu instid0(SALU_CYCLE_1)
	s_mov_b32 s9, exec_lo
	v_cmpx_gt_i32_e64 s34, v0
	s_cbranch_execz .LBB23_255
.LBB23_236:
	s_and_not1_b32 vcc_lo, exec_lo, s30
	s_cbranch_vccnz .LBB23_241
; %bb.237:
	s_and_not1_b32 vcc_lo, exec_lo, s36
	s_cbranch_vccnz .LBB23_242
; %bb.238:
	s_add_co_i32 s1, s35, 1
	s_cmp_eq_u32 s29, 2
	s_cbranch_scc1 .LBB23_263
; %bb.239:
	v_dual_mov_b32 v2, 0 :: v_dual_mov_b32 v3, 0
	v_mov_b32_e32 v1, v0
	s_and_b32 s0, s1, 28
	s_mov_b32 s16, 0
	s_mov_b64 s[24:25], s[2:3]
	s_mov_b64 s[26:27], s[22:23]
.LBB23_240:                             ; =>This Inner Loop Header: Depth=1
	s_clause 0x1
	s_load_b256 s[40:47], s[24:25], 0x4
	s_load_b128 s[56:59], s[24:25], 0x24
	s_load_b256 s[48:55], s[26:27], 0x0
	s_add_co_i32 s16, s16, 4
	s_wait_xcnt 0x0
	s_add_nc_u64 s[24:25], s[24:25], 48
	s_cmp_eq_u32 s0, s16
	s_add_nc_u64 s[26:27], s[26:27], 32
	s_wait_kmcnt 0x0
	v_mul_hi_u32 v4, s41, v1
	s_delay_alu instid0(VALU_DEP_1) | instskip(NEXT) | instid1(VALU_DEP_1)
	v_add_nc_u32_e32 v4, v1, v4
	v_lshrrev_b32_e32 v4, s42, v4
	s_delay_alu instid0(VALU_DEP_1) | instskip(NEXT) | instid1(VALU_DEP_1)
	v_mul_hi_u32 v5, s44, v4
	v_add_nc_u32_e32 v5, v4, v5
	s_delay_alu instid0(VALU_DEP_1) | instskip(NEXT) | instid1(VALU_DEP_1)
	v_lshrrev_b32_e32 v5, s45, v5
	v_mul_hi_u32 v6, s47, v5
	s_delay_alu instid0(VALU_DEP_1) | instskip(SKIP_1) | instid1(VALU_DEP_1)
	v_add_nc_u32_e32 v6, v5, v6
	v_mul_lo_u32 v7, v4, s40
	v_sub_nc_u32_e32 v1, v1, v7
	v_mul_lo_u32 v7, v5, s43
	s_delay_alu instid0(VALU_DEP_4) | instskip(NEXT) | instid1(VALU_DEP_3)
	v_lshrrev_b32_e32 v6, s56, v6
	v_mad_u32 v3, v1, s49, v3
	v_mad_u32 v1, v1, s48, v2
	s_delay_alu instid0(VALU_DEP_4) | instskip(NEXT) | instid1(VALU_DEP_4)
	v_sub_nc_u32_e32 v2, v4, v7
	v_mul_hi_u32 v8, s58, v6
	v_mul_lo_u32 v4, v6, s46
	s_delay_alu instid0(VALU_DEP_3) | instskip(SKIP_1) | instid1(VALU_DEP_4)
	v_mad_u32 v3, v2, s51, v3
	v_mad_u32 v2, v2, s50, v1
	v_add_nc_u32_e32 v7, v6, v8
	s_delay_alu instid0(VALU_DEP_1) | instskip(NEXT) | instid1(VALU_DEP_1)
	v_dual_sub_nc_u32 v4, v5, v4 :: v_dual_lshrrev_b32 v1, s59, v7
	v_mad_u32 v3, v4, s53, v3
	s_delay_alu instid0(VALU_DEP_4) | instskip(NEXT) | instid1(VALU_DEP_3)
	v_mad_u32 v2, v4, s52, v2
	v_mul_lo_u32 v5, v1, s57
	s_delay_alu instid0(VALU_DEP_1) | instskip(NEXT) | instid1(VALU_DEP_1)
	v_sub_nc_u32_e32 v4, v6, v5
	v_mad_u32 v3, v4, s55, v3
	s_delay_alu instid0(VALU_DEP_4)
	v_mad_u32 v2, v4, s54, v2
	s_cbranch_scc0 .LBB23_240
	s_branch .LBB23_264
.LBB23_241:
                                        ; implicit-def: $vgpr3
	s_branch .LBB23_268
.LBB23_242:
	v_dual_mov_b32 v3, 0 :: v_dual_mov_b32 v2, 0
	s_branch .LBB23_267
.LBB23_243:
	v_mov_b64_e32 v[2:3], 0
	v_mov_b32_e32 v1, v0
	s_mov_b32 s0, 0
.LBB23_244:
	s_and_b32 s16, s1, 3
	s_mov_b32 s1, 0
	s_cmp_eq_u32 s16, 0
	s_cbranch_scc1 .LBB23_247
; %bb.245:
	s_lshl_b32 s24, s0, 3
	s_mov_b32 s25, s1
	s_mul_u64 s[26:27], s[0:1], 12
	s_add_nc_u64 s[24:25], s[2:3], s[24:25]
	s_delay_alu instid0(SALU_CYCLE_1)
	s_add_nc_u64 s[0:1], s[24:25], 0xc4
	s_add_nc_u64 s[24:25], s[2:3], s[26:27]
.LBB23_246:                             ; =>This Inner Loop Header: Depth=1
	s_load_b96 s[40:42], s[24:25], 0x4
	s_load_b64 s[26:27], s[0:1], 0x0
	s_add_co_i32 s16, s16, -1
	s_wait_xcnt 0x0
	s_add_nc_u64 s[24:25], s[24:25], 12
	s_cmp_lg_u32 s16, 0
	s_add_nc_u64 s[0:1], s[0:1], 8
	s_wait_kmcnt 0x0
	v_mul_hi_u32 v4, s41, v1
	s_delay_alu instid0(VALU_DEP_1) | instskip(NEXT) | instid1(VALU_DEP_1)
	v_add_nc_u32_e32 v4, v1, v4
	v_lshrrev_b32_e32 v4, s42, v4
	s_delay_alu instid0(VALU_DEP_1) | instskip(NEXT) | instid1(VALU_DEP_1)
	v_mul_lo_u32 v5, v4, s40
	v_sub_nc_u32_e32 v1, v1, v5
	s_delay_alu instid0(VALU_DEP_1)
	v_mad_u32 v3, v1, s27, v3
	v_mad_u32 v2, v1, s26, v2
	v_mov_b32_e32 v1, v4
	s_cbranch_scc1 .LBB23_246
.LBB23_247:
	s_cbranch_execnz .LBB23_250
.LBB23_248:
	v_mov_b32_e32 v1, 0
	s_and_not1_b32 vcc_lo, exec_lo, s33
	s_delay_alu instid0(VALU_DEP_1) | instskip(NEXT) | instid1(VALU_DEP_1)
	v_mul_u64_e32 v[2:3], s[18:19], v[0:1]
	v_add_nc_u32_e32 v2, v0, v3
	s_delay_alu instid0(VALU_DEP_1) | instskip(NEXT) | instid1(VALU_DEP_1)
	v_lshrrev_b32_e32 v4, s10, v2
	v_mul_lo_u32 v2, v4, s8
	s_delay_alu instid0(VALU_DEP_1) | instskip(NEXT) | instid1(VALU_DEP_1)
	v_sub_nc_u32_e32 v2, v0, v2
	v_mul_lo_u32 v3, v2, s13
	v_mul_lo_u32 v2, v2, s12
	s_cbranch_vccnz .LBB23_250
; %bb.249:
	v_mov_b32_e32 v5, v1
	s_delay_alu instid0(VALU_DEP_1) | instskip(NEXT) | instid1(VALU_DEP_1)
	v_mul_u64_e32 v[6:7], s[20:21], v[4:5]
	v_add_nc_u32_e32 v1, v4, v7
	s_delay_alu instid0(VALU_DEP_1) | instskip(NEXT) | instid1(VALU_DEP_1)
	v_lshrrev_b32_e32 v1, s17, v1
	v_mul_lo_u32 v1, v1, s11
	s_delay_alu instid0(VALU_DEP_1) | instskip(NEXT) | instid1(VALU_DEP_1)
	v_sub_nc_u32_e32 v1, v4, v1
	v_mad_u32 v2, v1, s14, v2
	v_mad_u32 v3, v1, s15, v3
.LBB23_250:
	global_load_u16 v1, v3, s[6:7]
                                        ; implicit-def: $vgpr5
                                        ; implicit-def: $vgpr4
	s_mov_b32 s1, exec_lo
	s_wait_loadcnt 0x0
	v_cvt_f32_f16_e32 v1, v1
	s_wait_xcnt 0x0
	s_delay_alu instid0(VALU_DEP_1)
	v_and_b32_e32 v3, 0x7fffffff, v1
	v_cmpx_ngt_f32_e64 0x48000000, |v1|
	s_xor_b32 s16, exec_lo, s1
	s_cbranch_execz .LBB23_252
; %bb.251:
	s_mov_b32 s0, 0x7fffff
	v_mov_b32_e32 v5, 0
	v_and_or_b32 v4, v3, s0, 0x800000
	s_mov_b64 s[0:1], 0xfe5163ab
	s_delay_alu instid0(VALU_DEP_1) | instid1(SALU_CYCLE_1)
	v_mul_u64_e32 v[6:7], s[0:1], v[4:5]
	s_delay_alu instid0(VALU_DEP_1) | instskip(SKIP_2) | instid1(VALU_DEP_3)
	v_dual_mov_b32 v8, v7 :: v_dual_mov_b32 v9, v5
	v_dual_mov_b32 v11, v5 :: v_dual_mov_b32 v13, v5
	v_dual_mov_b32 v15, v5 :: v_dual_lshrrev_b32 v7, 23, v3
	v_mad_nc_u64_u32 v[8:9], 0x3c439041, v4, v[8:9]
	s_delay_alu instid0(VALU_DEP_1) | instskip(NEXT) | instid1(VALU_DEP_1)
	v_mov_b32_e32 v10, v9
	v_mad_nc_u64_u32 v[10:11], 0xdb629599, v4, v[10:11]
	s_delay_alu instid0(VALU_DEP_1) | instskip(NEXT) | instid1(VALU_DEP_1)
	v_mov_b32_e32 v12, v11
	v_mad_nc_u64_u32 v[12:13], 0xf534ddc0, v4, v[12:13]
	s_delay_alu instid0(VALU_DEP_1) | instskip(NEXT) | instid1(VALU_DEP_1)
	v_mov_b32_e32 v14, v13
	v_mad_nc_u64_u32 v[14:15], 0xfc2757d1, v4, v[14:15]
	s_delay_alu instid0(VALU_DEP_1) | instskip(NEXT) | instid1(VALU_DEP_1)
	v_dual_mov_b32 v17, v5 :: v_dual_mov_b32 v16, v15
	v_mad_nc_u64_u32 v[16:17], 0x4e441529, v4, v[16:17]
	s_delay_alu instid0(VALU_DEP_1) | instskip(NEXT) | instid1(VALU_DEP_1)
	v_dual_mov_b32 v18, v17 :: v_dual_add_nc_u32 v7, 0xffffff88, v7
	v_cmp_lt_u32_e32 vcc_lo, 63, v7
	v_mov_b32_e32 v19, v5
	v_cndmask_b32_e64 v9, 0, 0xffffffc0, vcc_lo
	s_delay_alu instid0(VALU_DEP_2) | instskip(SKIP_1) | instid1(VALU_DEP_3)
	v_mad_nc_u64_u32 v[4:5], 0xa2f9836e, v4, v[18:19]
	v_dual_cndmask_b32 v11, v16, v12, vcc_lo :: v_dual_cndmask_b32 v13, v14, v10, vcc_lo
	v_dual_cndmask_b32 v8, v12, v8 :: v_dual_add_nc_u32 v7, v9, v7
	v_cndmask_b32_e32 v6, v10, v6, vcc_lo
	s_delay_alu instid0(VALU_DEP_2) | instskip(SKIP_1) | instid1(VALU_DEP_2)
	v_cmp_lt_u32_e64 s0, 31, v7
	v_dual_cndmask_b32 v4, v4, v14 :: v_dual_cndmask_b32 v5, v5, v16
	v_cndmask_b32_e64 v9, 0, 0xffffffe0, s0
	s_delay_alu instid0(VALU_DEP_4) | instskip(NEXT) | instid1(VALU_DEP_2)
	v_dual_cndmask_b32 v12, v13, v8, s0 :: v_dual_cndmask_b32 v6, v8, v6, s0
	v_add_nc_u32_e32 v7, v9, v7
	s_delay_alu instid0(VALU_DEP_1) | instskip(NEXT) | instid1(VALU_DEP_1)
	v_cmp_lt_u32_e64 s1, 31, v7
	v_cndmask_b32_e64 v9, 0, 0xffffffe0, s1
	s_delay_alu instid0(VALU_DEP_1) | instskip(SKIP_1) | instid1(VALU_DEP_2)
	v_dual_cndmask_b32 v6, v12, v6, s1 :: v_dual_add_nc_u32 v7, v9, v7
	v_dual_cndmask_b32 v9, v4, v11, s0 :: v_dual_cndmask_b32 v4, v5, v4, s0
	v_dual_cndmask_b32 v5, v11, v13, s0 :: v_dual_sub_nc_u32 v11, 32, v7
	v_cmp_eq_u32_e32 vcc_lo, 0, v7
	s_delay_alu instid0(VALU_DEP_3) | instskip(NEXT) | instid1(VALU_DEP_3)
	v_cndmask_b32_e64 v4, v4, v9, s1
	v_cndmask_b32_e64 v9, v9, v5, s1
	;; [unrolled: 1-line block ×3, first 2 shown]
	s_delay_alu instid0(VALU_DEP_2) | instskip(NEXT) | instid1(VALU_DEP_2)
	v_alignbit_b32 v13, v4, v9, v11
	v_alignbit_b32 v10, v9, v5, v11
	v_alignbit_b32 v11, v5, v6, v11
	s_delay_alu instid0(VALU_DEP_2) | instskip(NEXT) | instid1(VALU_DEP_2)
	v_dual_cndmask_b32 v4, v13, v4 :: v_dual_cndmask_b32 v7, v10, v9
	v_cndmask_b32_e32 v5, v11, v5, vcc_lo
	s_delay_alu instid0(VALU_DEP_2) | instskip(NEXT) | instid1(VALU_DEP_3)
	v_bfe_u32 v8, v4, 29, 1
	v_alignbit_b32 v9, v4, v7, 30
	s_delay_alu instid0(VALU_DEP_3) | instskip(SKIP_1) | instid1(VALU_DEP_4)
	v_alignbit_b32 v7, v7, v5, 30
	v_alignbit_b32 v5, v5, v6, 30
	v_sub_nc_u32_e32 v10, 0, v8
	s_delay_alu instid0(VALU_DEP_1) | instskip(NEXT) | instid1(VALU_DEP_4)
	v_xor_b32_e32 v9, v9, v10
	v_xor_b32_e32 v6, v7, v10
	s_delay_alu instid0(VALU_DEP_4) | instskip(NEXT) | instid1(VALU_DEP_3)
	v_dual_lshrrev_b32 v10, 29, v4 :: v_dual_bitop2_b32 v5, v5, v10 bitop3:0x14
	v_clz_i32_u32_e32 v11, v9
	s_delay_alu instid0(VALU_DEP_1) | instskip(NEXT) | instid1(VALU_DEP_1)
	v_min_u32_e32 v11, 32, v11
	v_dual_sub_nc_u32 v7, 31, v11 :: v_dual_lshlrev_b32 v12, 23, v11
	s_delay_alu instid0(VALU_DEP_1) | instskip(SKIP_2) | instid1(VALU_DEP_2)
	v_alignbit_b32 v9, v9, v6, v7
	v_alignbit_b32 v5, v6, v5, v7
	v_lshlrev_b32_e32 v6, 31, v10
	v_alignbit_b32 v7, v9, v5, 9
	s_delay_alu instid0(VALU_DEP_2) | instskip(SKIP_1) | instid1(VALU_DEP_3)
	v_dual_lshrrev_b32 v9, 9, v9 :: v_dual_bitop2_b32 v10, 0.5, v6 bitop3:0x54
	v_or_b32_e32 v6, 0x33000000, v6
	v_clz_i32_u32_e32 v13, v7
	s_delay_alu instid0(VALU_DEP_3) | instskip(NEXT) | instid1(VALU_DEP_2)
	v_sub_nc_u32_e32 v10, v10, v12
	v_min_u32_e32 v12, 32, v13
	s_delay_alu instid0(VALU_DEP_1) | instskip(NEXT) | instid1(VALU_DEP_3)
	v_add_lshl_u32 v11, v12, v11, 23
	v_or_b32_e32 v9, v9, v10
	v_not_b32_e32 v10, v12
	s_delay_alu instid0(VALU_DEP_2) | instskip(NEXT) | instid1(VALU_DEP_2)
	v_dual_mul_f32 v13, 0x3fc90fda, v9 :: v_dual_sub_nc_u32 v6, v6, v11
	v_alignbit_b32 v5, v7, v5, v10
	s_delay_alu instid0(VALU_DEP_2) | instskip(NEXT) | instid1(VALU_DEP_2)
	v_fma_f32 v7, 0x3fc90fda, v9, -v13
	v_lshrrev_b32_e32 v5, 9, v5
	s_delay_alu instid0(VALU_DEP_2) | instskip(NEXT) | instid1(VALU_DEP_2)
	v_fmamk_f32 v7, v9, 0x33a22168, v7
	v_or_b32_e32 v5, v6, v5
	s_delay_alu instid0(VALU_DEP_1) | instskip(NEXT) | instid1(VALU_DEP_1)
	v_fmac_f32_e32 v7, 0x3fc90fda, v5
	v_dual_add_f32 v4, v13, v7 :: v_dual_lshrrev_b32 v5, 30, v4
	s_delay_alu instid0(VALU_DEP_1)
	v_add_nc_u32_e32 v5, v8, v5
.LBB23_252:
	s_and_not1_saveexec_b32 s0, s16
; %bb.253:
	v_mul_f32_e64 v4, 0x3f22f983, |v1|
	s_delay_alu instid0(VALU_DEP_1) | instskip(NEXT) | instid1(VALU_DEP_1)
	v_rndne_f32_e32 v5, v4
	v_fma_f32 v4, 0xbfc90fda, v5, |v1|
	s_delay_alu instid0(VALU_DEP_1) | instskip(NEXT) | instid1(VALU_DEP_1)
	v_fmamk_f32 v4, v5, 0xb3a22168, v4
	v_fmamk_f32 v4, v5, 0xa7c234c4, v4
	v_cvt_i32_f32_e32 v5, v5
; %bb.254:
	s_or_b32 exec_lo, exec_lo, s0
	s_delay_alu instid0(VALU_DEP_1) | instskip(SKIP_3) | instid1(VALU_DEP_2)
	v_dual_mul_f32 v6, v4, v4 :: v_dual_bitop2_b32 v9, 1, v5 bitop3:0x40
	s_mov_b32 s0, 0xb94c1982
	s_mov_b32 s1, 0x37d75334
	v_add_nc_u32_e32 v0, 0x80, v0
	v_fmaak_f32 v7, s0, v6, 0x3c0881c4
	v_cmp_eq_u32_e32 vcc_lo, 0, v9
	v_lshlrev_b32_e32 v5, 30, v5
	v_xor_b32_e32 v3, v3, v1
	s_delay_alu instid0(VALU_DEP_4) | instskip(SKIP_1) | instid1(VALU_DEP_4)
	v_fmaak_f32 v7, v6, v7, 0xbe2aaa9d
	v_fmaak_f32 v8, s1, v6, 0xbab64f3b
	v_and_b32_e32 v5, 0x80000000, v5
	s_delay_alu instid0(VALU_DEP_2) | instskip(NEXT) | instid1(VALU_DEP_1)
	v_dual_mul_f32 v7, v6, v7 :: v_dual_fmaak_f32 v8, v6, v8, 0x3d2aabf7
	v_fmac_f32_e32 v4, v4, v7
	s_delay_alu instid0(VALU_DEP_2) | instskip(NEXT) | instid1(VALU_DEP_1)
	v_fmaak_f32 v8, v6, v8, 0xbf000004
	v_fma_f32 v6, v6, v8, 1.0
	s_delay_alu instid0(VALU_DEP_1) | instskip(SKIP_1) | instid1(VALU_DEP_2)
	v_cndmask_b32_e32 v4, v6, v4, vcc_lo
	v_cmp_class_f32_e64 vcc_lo, v1, 0x1f8
	v_xor3_b32 v3, v3, v5, v4
	s_delay_alu instid0(VALU_DEP_1) | instskip(NEXT) | instid1(VALU_DEP_1)
	v_cndmask_b32_e32 v1, 0x7fc00000, v3, vcc_lo
	v_cvt_f16_f32_e32 v1, v1
	global_store_b16 v2, v1, s[4:5]
	s_wait_xcnt 0x0
	s_or_b32 exec_lo, exec_lo, s9
	s_delay_alu instid0(SALU_CYCLE_1)
	s_mov_b32 s9, exec_lo
	v_cmpx_gt_i32_e64 s34, v0
	s_cbranch_execnz .LBB23_236
.LBB23_255:
	s_or_b32 exec_lo, exec_lo, s9
	s_delay_alu instid0(SALU_CYCLE_1)
	s_mov_b32 s9, exec_lo
	v_cmpx_gt_i32_e64 s34, v0
	s_cbranch_execz .LBB23_275
.LBB23_256:
	s_and_not1_b32 vcc_lo, exec_lo, s30
	s_cbranch_vccnz .LBB23_261
; %bb.257:
	s_and_not1_b32 vcc_lo, exec_lo, s36
	s_cbranch_vccnz .LBB23_262
; %bb.258:
	s_add_co_i32 s1, s35, 1
	s_cmp_eq_u32 s29, 2
	s_cbranch_scc1 .LBB23_278
; %bb.259:
	v_dual_mov_b32 v2, 0 :: v_dual_mov_b32 v3, 0
	v_mov_b32_e32 v1, v0
	s_and_b32 s0, s1, 28
	s_mov_b32 s16, 0
	s_mov_b64 s[24:25], s[2:3]
	s_mov_b64 s[26:27], s[22:23]
.LBB23_260:                             ; =>This Inner Loop Header: Depth=1
	s_clause 0x1
	s_load_b256 s[40:47], s[24:25], 0x4
	s_load_b128 s[56:59], s[24:25], 0x24
	s_load_b256 s[48:55], s[26:27], 0x0
	s_add_co_i32 s16, s16, 4
	s_wait_xcnt 0x0
	s_add_nc_u64 s[24:25], s[24:25], 48
	s_cmp_eq_u32 s0, s16
	s_add_nc_u64 s[26:27], s[26:27], 32
	s_wait_kmcnt 0x0
	v_mul_hi_u32 v4, s41, v1
	s_delay_alu instid0(VALU_DEP_1) | instskip(NEXT) | instid1(VALU_DEP_1)
	v_add_nc_u32_e32 v4, v1, v4
	v_lshrrev_b32_e32 v4, s42, v4
	s_delay_alu instid0(VALU_DEP_1) | instskip(NEXT) | instid1(VALU_DEP_1)
	v_mul_hi_u32 v5, s44, v4
	v_add_nc_u32_e32 v5, v4, v5
	s_delay_alu instid0(VALU_DEP_1) | instskip(NEXT) | instid1(VALU_DEP_1)
	v_lshrrev_b32_e32 v5, s45, v5
	v_mul_hi_u32 v6, s47, v5
	s_delay_alu instid0(VALU_DEP_1) | instskip(SKIP_1) | instid1(VALU_DEP_1)
	v_add_nc_u32_e32 v6, v5, v6
	v_mul_lo_u32 v7, v4, s40
	v_sub_nc_u32_e32 v1, v1, v7
	v_mul_lo_u32 v7, v5, s43
	s_delay_alu instid0(VALU_DEP_4) | instskip(NEXT) | instid1(VALU_DEP_3)
	v_lshrrev_b32_e32 v6, s56, v6
	v_mad_u32 v3, v1, s49, v3
	v_mad_u32 v1, v1, s48, v2
	s_delay_alu instid0(VALU_DEP_4) | instskip(NEXT) | instid1(VALU_DEP_4)
	v_sub_nc_u32_e32 v2, v4, v7
	v_mul_hi_u32 v8, s58, v6
	v_mul_lo_u32 v4, v6, s46
	s_delay_alu instid0(VALU_DEP_3) | instskip(SKIP_1) | instid1(VALU_DEP_4)
	v_mad_u32 v3, v2, s51, v3
	v_mad_u32 v2, v2, s50, v1
	v_add_nc_u32_e32 v7, v6, v8
	s_delay_alu instid0(VALU_DEP_1) | instskip(NEXT) | instid1(VALU_DEP_1)
	v_dual_sub_nc_u32 v4, v5, v4 :: v_dual_lshrrev_b32 v1, s59, v7
	v_mad_u32 v3, v4, s53, v3
	s_delay_alu instid0(VALU_DEP_4) | instskip(NEXT) | instid1(VALU_DEP_3)
	v_mad_u32 v2, v4, s52, v2
	v_mul_lo_u32 v5, v1, s57
	s_delay_alu instid0(VALU_DEP_1) | instskip(NEXT) | instid1(VALU_DEP_1)
	v_sub_nc_u32_e32 v4, v6, v5
	v_mad_u32 v3, v4, s55, v3
	s_delay_alu instid0(VALU_DEP_4)
	v_mad_u32 v2, v4, s54, v2
	s_cbranch_scc0 .LBB23_260
	s_branch .LBB23_279
.LBB23_261:
                                        ; implicit-def: $vgpr3
	s_branch .LBB23_283
.LBB23_262:
	v_dual_mov_b32 v3, 0 :: v_dual_mov_b32 v2, 0
	s_branch .LBB23_282
.LBB23_263:
	v_mov_b64_e32 v[2:3], 0
	v_mov_b32_e32 v1, v0
	s_mov_b32 s0, 0
.LBB23_264:
	s_and_b32 s16, s1, 3
	s_mov_b32 s1, 0
	s_cmp_eq_u32 s16, 0
	s_cbranch_scc1 .LBB23_267
; %bb.265:
	s_lshl_b32 s24, s0, 3
	s_mov_b32 s25, s1
	s_mul_u64 s[26:27], s[0:1], 12
	s_add_nc_u64 s[24:25], s[2:3], s[24:25]
	s_delay_alu instid0(SALU_CYCLE_1)
	s_add_nc_u64 s[0:1], s[24:25], 0xc4
	s_add_nc_u64 s[24:25], s[2:3], s[26:27]
.LBB23_266:                             ; =>This Inner Loop Header: Depth=1
	s_load_b96 s[40:42], s[24:25], 0x4
	s_load_b64 s[26:27], s[0:1], 0x0
	s_add_co_i32 s16, s16, -1
	s_wait_xcnt 0x0
	s_add_nc_u64 s[24:25], s[24:25], 12
	s_cmp_lg_u32 s16, 0
	s_add_nc_u64 s[0:1], s[0:1], 8
	s_wait_kmcnt 0x0
	v_mul_hi_u32 v4, s41, v1
	s_delay_alu instid0(VALU_DEP_1) | instskip(NEXT) | instid1(VALU_DEP_1)
	v_add_nc_u32_e32 v4, v1, v4
	v_lshrrev_b32_e32 v4, s42, v4
	s_delay_alu instid0(VALU_DEP_1) | instskip(NEXT) | instid1(VALU_DEP_1)
	v_mul_lo_u32 v5, v4, s40
	v_sub_nc_u32_e32 v1, v1, v5
	s_delay_alu instid0(VALU_DEP_1)
	v_mad_u32 v3, v1, s27, v3
	v_mad_u32 v2, v1, s26, v2
	v_mov_b32_e32 v1, v4
	s_cbranch_scc1 .LBB23_266
.LBB23_267:
	s_cbranch_execnz .LBB23_270
.LBB23_268:
	v_mov_b32_e32 v1, 0
	s_and_not1_b32 vcc_lo, exec_lo, s33
	s_delay_alu instid0(VALU_DEP_1) | instskip(NEXT) | instid1(VALU_DEP_1)
	v_mul_u64_e32 v[2:3], s[18:19], v[0:1]
	v_add_nc_u32_e32 v2, v0, v3
	s_delay_alu instid0(VALU_DEP_1) | instskip(NEXT) | instid1(VALU_DEP_1)
	v_lshrrev_b32_e32 v4, s10, v2
	v_mul_lo_u32 v2, v4, s8
	s_delay_alu instid0(VALU_DEP_1) | instskip(NEXT) | instid1(VALU_DEP_1)
	v_sub_nc_u32_e32 v2, v0, v2
	v_mul_lo_u32 v3, v2, s13
	v_mul_lo_u32 v2, v2, s12
	s_cbranch_vccnz .LBB23_270
; %bb.269:
	v_mov_b32_e32 v5, v1
	s_delay_alu instid0(VALU_DEP_1) | instskip(NEXT) | instid1(VALU_DEP_1)
	v_mul_u64_e32 v[6:7], s[20:21], v[4:5]
	v_add_nc_u32_e32 v1, v4, v7
	s_delay_alu instid0(VALU_DEP_1) | instskip(NEXT) | instid1(VALU_DEP_1)
	v_lshrrev_b32_e32 v1, s17, v1
	v_mul_lo_u32 v1, v1, s11
	s_delay_alu instid0(VALU_DEP_1) | instskip(NEXT) | instid1(VALU_DEP_1)
	v_sub_nc_u32_e32 v1, v4, v1
	v_mad_u32 v2, v1, s14, v2
	v_mad_u32 v3, v1, s15, v3
.LBB23_270:
	global_load_u16 v1, v3, s[6:7]
                                        ; implicit-def: $vgpr5
                                        ; implicit-def: $vgpr4
	s_mov_b32 s1, exec_lo
	s_wait_loadcnt 0x0
	v_cvt_f32_f16_e32 v1, v1
	s_wait_xcnt 0x0
	s_delay_alu instid0(VALU_DEP_1)
	v_and_b32_e32 v3, 0x7fffffff, v1
	v_cmpx_ngt_f32_e64 0x48000000, |v1|
	s_xor_b32 s16, exec_lo, s1
	s_cbranch_execz .LBB23_272
; %bb.271:
	s_mov_b32 s0, 0x7fffff
	v_mov_b32_e32 v5, 0
	v_and_or_b32 v4, v3, s0, 0x800000
	s_mov_b64 s[0:1], 0xfe5163ab
	s_delay_alu instid0(VALU_DEP_1) | instid1(SALU_CYCLE_1)
	v_mul_u64_e32 v[6:7], s[0:1], v[4:5]
	s_delay_alu instid0(VALU_DEP_1) | instskip(SKIP_2) | instid1(VALU_DEP_3)
	v_dual_mov_b32 v8, v7 :: v_dual_mov_b32 v9, v5
	v_dual_mov_b32 v11, v5 :: v_dual_mov_b32 v13, v5
	v_dual_mov_b32 v15, v5 :: v_dual_lshrrev_b32 v7, 23, v3
	v_mad_nc_u64_u32 v[8:9], 0x3c439041, v4, v[8:9]
	s_delay_alu instid0(VALU_DEP_1) | instskip(NEXT) | instid1(VALU_DEP_1)
	v_mov_b32_e32 v10, v9
	v_mad_nc_u64_u32 v[10:11], 0xdb629599, v4, v[10:11]
	s_delay_alu instid0(VALU_DEP_1) | instskip(NEXT) | instid1(VALU_DEP_1)
	v_mov_b32_e32 v12, v11
	;; [unrolled: 3-line block ×3, first 2 shown]
	v_mad_nc_u64_u32 v[14:15], 0xfc2757d1, v4, v[14:15]
	s_delay_alu instid0(VALU_DEP_1) | instskip(NEXT) | instid1(VALU_DEP_1)
	v_dual_mov_b32 v17, v5 :: v_dual_mov_b32 v16, v15
	v_mad_nc_u64_u32 v[16:17], 0x4e441529, v4, v[16:17]
	s_delay_alu instid0(VALU_DEP_1) | instskip(NEXT) | instid1(VALU_DEP_1)
	v_dual_mov_b32 v18, v17 :: v_dual_add_nc_u32 v7, 0xffffff88, v7
	v_cmp_lt_u32_e32 vcc_lo, 63, v7
	v_mov_b32_e32 v19, v5
	v_cndmask_b32_e64 v9, 0, 0xffffffc0, vcc_lo
	s_delay_alu instid0(VALU_DEP_2) | instskip(SKIP_1) | instid1(VALU_DEP_3)
	v_mad_nc_u64_u32 v[4:5], 0xa2f9836e, v4, v[18:19]
	v_dual_cndmask_b32 v11, v16, v12, vcc_lo :: v_dual_cndmask_b32 v13, v14, v10, vcc_lo
	v_dual_cndmask_b32 v8, v12, v8 :: v_dual_add_nc_u32 v7, v9, v7
	v_cndmask_b32_e32 v6, v10, v6, vcc_lo
	s_delay_alu instid0(VALU_DEP_2) | instskip(SKIP_1) | instid1(VALU_DEP_2)
	v_cmp_lt_u32_e64 s0, 31, v7
	v_dual_cndmask_b32 v4, v4, v14 :: v_dual_cndmask_b32 v5, v5, v16
	v_cndmask_b32_e64 v9, 0, 0xffffffe0, s0
	s_delay_alu instid0(VALU_DEP_4) | instskip(NEXT) | instid1(VALU_DEP_2)
	v_dual_cndmask_b32 v12, v13, v8, s0 :: v_dual_cndmask_b32 v6, v8, v6, s0
	v_add_nc_u32_e32 v7, v9, v7
	s_delay_alu instid0(VALU_DEP_1) | instskip(NEXT) | instid1(VALU_DEP_1)
	v_cmp_lt_u32_e64 s1, 31, v7
	v_cndmask_b32_e64 v9, 0, 0xffffffe0, s1
	s_delay_alu instid0(VALU_DEP_1) | instskip(SKIP_1) | instid1(VALU_DEP_2)
	v_dual_cndmask_b32 v6, v12, v6, s1 :: v_dual_add_nc_u32 v7, v9, v7
	v_dual_cndmask_b32 v9, v4, v11, s0 :: v_dual_cndmask_b32 v4, v5, v4, s0
	v_dual_cndmask_b32 v5, v11, v13, s0 :: v_dual_sub_nc_u32 v11, 32, v7
	v_cmp_eq_u32_e32 vcc_lo, 0, v7
	s_delay_alu instid0(VALU_DEP_3) | instskip(NEXT) | instid1(VALU_DEP_3)
	v_cndmask_b32_e64 v4, v4, v9, s1
	v_cndmask_b32_e64 v9, v9, v5, s1
	;; [unrolled: 1-line block ×3, first 2 shown]
	s_delay_alu instid0(VALU_DEP_2) | instskip(NEXT) | instid1(VALU_DEP_2)
	v_alignbit_b32 v13, v4, v9, v11
	v_alignbit_b32 v10, v9, v5, v11
	;; [unrolled: 1-line block ×3, first 2 shown]
	s_delay_alu instid0(VALU_DEP_2) | instskip(NEXT) | instid1(VALU_DEP_2)
	v_dual_cndmask_b32 v4, v13, v4 :: v_dual_cndmask_b32 v7, v10, v9
	v_cndmask_b32_e32 v5, v11, v5, vcc_lo
	s_delay_alu instid0(VALU_DEP_2) | instskip(NEXT) | instid1(VALU_DEP_3)
	v_bfe_u32 v8, v4, 29, 1
	v_alignbit_b32 v9, v4, v7, 30
	s_delay_alu instid0(VALU_DEP_3) | instskip(SKIP_1) | instid1(VALU_DEP_4)
	v_alignbit_b32 v7, v7, v5, 30
	v_alignbit_b32 v5, v5, v6, 30
	v_sub_nc_u32_e32 v10, 0, v8
	s_delay_alu instid0(VALU_DEP_1) | instskip(NEXT) | instid1(VALU_DEP_4)
	v_xor_b32_e32 v9, v9, v10
	v_xor_b32_e32 v6, v7, v10
	s_delay_alu instid0(VALU_DEP_4) | instskip(NEXT) | instid1(VALU_DEP_3)
	v_dual_lshrrev_b32 v10, 29, v4 :: v_dual_bitop2_b32 v5, v5, v10 bitop3:0x14
	v_clz_i32_u32_e32 v11, v9
	s_delay_alu instid0(VALU_DEP_1) | instskip(NEXT) | instid1(VALU_DEP_1)
	v_min_u32_e32 v11, 32, v11
	v_dual_sub_nc_u32 v7, 31, v11 :: v_dual_lshlrev_b32 v12, 23, v11
	s_delay_alu instid0(VALU_DEP_1) | instskip(SKIP_2) | instid1(VALU_DEP_2)
	v_alignbit_b32 v9, v9, v6, v7
	v_alignbit_b32 v5, v6, v5, v7
	v_lshlrev_b32_e32 v6, 31, v10
	v_alignbit_b32 v7, v9, v5, 9
	s_delay_alu instid0(VALU_DEP_2) | instskip(SKIP_1) | instid1(VALU_DEP_3)
	v_dual_lshrrev_b32 v9, 9, v9 :: v_dual_bitop2_b32 v10, 0.5, v6 bitop3:0x54
	v_or_b32_e32 v6, 0x33000000, v6
	v_clz_i32_u32_e32 v13, v7
	s_delay_alu instid0(VALU_DEP_3) | instskip(NEXT) | instid1(VALU_DEP_2)
	v_sub_nc_u32_e32 v10, v10, v12
	v_min_u32_e32 v12, 32, v13
	s_delay_alu instid0(VALU_DEP_1) | instskip(NEXT) | instid1(VALU_DEP_3)
	v_add_lshl_u32 v11, v12, v11, 23
	v_or_b32_e32 v9, v9, v10
	v_not_b32_e32 v10, v12
	s_delay_alu instid0(VALU_DEP_2) | instskip(NEXT) | instid1(VALU_DEP_2)
	v_dual_mul_f32 v13, 0x3fc90fda, v9 :: v_dual_sub_nc_u32 v6, v6, v11
	v_alignbit_b32 v5, v7, v5, v10
	s_delay_alu instid0(VALU_DEP_2) | instskip(NEXT) | instid1(VALU_DEP_2)
	v_fma_f32 v7, 0x3fc90fda, v9, -v13
	v_lshrrev_b32_e32 v5, 9, v5
	s_delay_alu instid0(VALU_DEP_2) | instskip(NEXT) | instid1(VALU_DEP_2)
	v_fmamk_f32 v7, v9, 0x33a22168, v7
	v_or_b32_e32 v5, v6, v5
	s_delay_alu instid0(VALU_DEP_1) | instskip(NEXT) | instid1(VALU_DEP_1)
	v_fmac_f32_e32 v7, 0x3fc90fda, v5
	v_dual_add_f32 v4, v13, v7 :: v_dual_lshrrev_b32 v5, 30, v4
	s_delay_alu instid0(VALU_DEP_1)
	v_add_nc_u32_e32 v5, v8, v5
.LBB23_272:
	s_and_not1_saveexec_b32 s0, s16
; %bb.273:
	v_mul_f32_e64 v4, 0x3f22f983, |v1|
	s_delay_alu instid0(VALU_DEP_1) | instskip(NEXT) | instid1(VALU_DEP_1)
	v_rndne_f32_e32 v5, v4
	v_fma_f32 v4, 0xbfc90fda, v5, |v1|
	s_delay_alu instid0(VALU_DEP_1) | instskip(NEXT) | instid1(VALU_DEP_1)
	v_fmamk_f32 v4, v5, 0xb3a22168, v4
	v_fmamk_f32 v4, v5, 0xa7c234c4, v4
	v_cvt_i32_f32_e32 v5, v5
; %bb.274:
	s_or_b32 exec_lo, exec_lo, s0
	s_delay_alu instid0(VALU_DEP_1) | instskip(SKIP_3) | instid1(VALU_DEP_2)
	v_dual_mul_f32 v6, v4, v4 :: v_dual_bitop2_b32 v9, 1, v5 bitop3:0x40
	s_mov_b32 s0, 0xb94c1982
	s_mov_b32 s1, 0x37d75334
	v_add_nc_u32_e32 v0, 0x80, v0
	v_fmaak_f32 v7, s0, v6, 0x3c0881c4
	v_cmp_eq_u32_e32 vcc_lo, 0, v9
	v_lshlrev_b32_e32 v5, 30, v5
	v_xor_b32_e32 v3, v3, v1
	s_delay_alu instid0(VALU_DEP_4) | instskip(SKIP_1) | instid1(VALU_DEP_4)
	v_fmaak_f32 v7, v6, v7, 0xbe2aaa9d
	v_fmaak_f32 v8, s1, v6, 0xbab64f3b
	v_and_b32_e32 v5, 0x80000000, v5
	s_delay_alu instid0(VALU_DEP_2) | instskip(NEXT) | instid1(VALU_DEP_1)
	v_dual_mul_f32 v7, v6, v7 :: v_dual_fmaak_f32 v8, v6, v8, 0x3d2aabf7
	v_fmac_f32_e32 v4, v4, v7
	s_delay_alu instid0(VALU_DEP_2) | instskip(NEXT) | instid1(VALU_DEP_1)
	v_fmaak_f32 v8, v6, v8, 0xbf000004
	v_fma_f32 v6, v6, v8, 1.0
	s_delay_alu instid0(VALU_DEP_1) | instskip(SKIP_1) | instid1(VALU_DEP_2)
	v_cndmask_b32_e32 v4, v6, v4, vcc_lo
	v_cmp_class_f32_e64 vcc_lo, v1, 0x1f8
	v_xor3_b32 v3, v3, v5, v4
	s_delay_alu instid0(VALU_DEP_1) | instskip(NEXT) | instid1(VALU_DEP_1)
	v_cndmask_b32_e32 v1, 0x7fc00000, v3, vcc_lo
	v_cvt_f16_f32_e32 v1, v1
	global_store_b16 v2, v1, s[4:5]
	s_wait_xcnt 0x0
	s_or_b32 exec_lo, exec_lo, s9
	s_delay_alu instid0(SALU_CYCLE_1)
	s_mov_b32 s9, exec_lo
	v_cmpx_gt_i32_e64 s34, v0
	s_cbranch_execnz .LBB23_256
.LBB23_275:
	s_or_b32 exec_lo, exec_lo, s9
	s_delay_alu instid0(SALU_CYCLE_1)
	s_mov_b32 s9, exec_lo
	v_cmpx_gt_i32_e64 s34, v0
	s_cbranch_execnz .LBB23_290
.LBB23_276:
	s_or_b32 exec_lo, exec_lo, s9
                                        ; implicit-def: $vgpr16
                                        ; implicit-def: $vgpr0
	s_and_not1_saveexec_b32 s0, s31
	s_cbranch_execnz .LBB23_8
.LBB23_277:
	s_endpgm
.LBB23_278:
	v_mov_b64_e32 v[2:3], 0
	v_mov_b32_e32 v1, v0
	s_mov_b32 s0, 0
.LBB23_279:
	s_and_b32 s16, s1, 3
	s_mov_b32 s1, 0
	s_cmp_eq_u32 s16, 0
	s_cbranch_scc1 .LBB23_282
; %bb.280:
	s_lshl_b32 s24, s0, 3
	s_mov_b32 s25, s1
	s_mul_u64 s[26:27], s[0:1], 12
	s_add_nc_u64 s[24:25], s[2:3], s[24:25]
	s_delay_alu instid0(SALU_CYCLE_1)
	s_add_nc_u64 s[0:1], s[24:25], 0xc4
	s_add_nc_u64 s[24:25], s[2:3], s[26:27]
.LBB23_281:                             ; =>This Inner Loop Header: Depth=1
	s_load_b96 s[40:42], s[24:25], 0x4
	s_load_b64 s[26:27], s[0:1], 0x0
	s_add_co_i32 s16, s16, -1
	s_wait_xcnt 0x0
	s_add_nc_u64 s[24:25], s[24:25], 12
	s_cmp_lg_u32 s16, 0
	s_add_nc_u64 s[0:1], s[0:1], 8
	s_wait_kmcnt 0x0
	v_mul_hi_u32 v4, s41, v1
	s_delay_alu instid0(VALU_DEP_1) | instskip(NEXT) | instid1(VALU_DEP_1)
	v_add_nc_u32_e32 v4, v1, v4
	v_lshrrev_b32_e32 v4, s42, v4
	s_delay_alu instid0(VALU_DEP_1) | instskip(NEXT) | instid1(VALU_DEP_1)
	v_mul_lo_u32 v5, v4, s40
	v_sub_nc_u32_e32 v1, v1, v5
	s_delay_alu instid0(VALU_DEP_1)
	v_mad_u32 v3, v1, s27, v3
	v_mad_u32 v2, v1, s26, v2
	v_mov_b32_e32 v1, v4
	s_cbranch_scc1 .LBB23_281
.LBB23_282:
	s_cbranch_execnz .LBB23_285
.LBB23_283:
	v_mov_b32_e32 v1, 0
	s_and_not1_b32 vcc_lo, exec_lo, s33
	s_delay_alu instid0(VALU_DEP_1) | instskip(NEXT) | instid1(VALU_DEP_1)
	v_mul_u64_e32 v[2:3], s[18:19], v[0:1]
	v_add_nc_u32_e32 v2, v0, v3
	s_delay_alu instid0(VALU_DEP_1) | instskip(NEXT) | instid1(VALU_DEP_1)
	v_lshrrev_b32_e32 v4, s10, v2
	v_mul_lo_u32 v2, v4, s8
	s_delay_alu instid0(VALU_DEP_1) | instskip(NEXT) | instid1(VALU_DEP_1)
	v_sub_nc_u32_e32 v2, v0, v2
	v_mul_lo_u32 v3, v2, s13
	v_mul_lo_u32 v2, v2, s12
	s_cbranch_vccnz .LBB23_285
; %bb.284:
	v_mov_b32_e32 v5, v1
	s_delay_alu instid0(VALU_DEP_1) | instskip(NEXT) | instid1(VALU_DEP_1)
	v_mul_u64_e32 v[6:7], s[20:21], v[4:5]
	v_add_nc_u32_e32 v1, v4, v7
	s_delay_alu instid0(VALU_DEP_1) | instskip(NEXT) | instid1(VALU_DEP_1)
	v_lshrrev_b32_e32 v1, s17, v1
	v_mul_lo_u32 v1, v1, s11
	s_delay_alu instid0(VALU_DEP_1) | instskip(NEXT) | instid1(VALU_DEP_1)
	v_sub_nc_u32_e32 v1, v4, v1
	v_mad_u32 v2, v1, s14, v2
	v_mad_u32 v3, v1, s15, v3
.LBB23_285:
	global_load_u16 v1, v3, s[6:7]
                                        ; implicit-def: $vgpr5
                                        ; implicit-def: $vgpr4
	s_mov_b32 s1, exec_lo
	s_wait_loadcnt 0x0
	v_cvt_f32_f16_e32 v1, v1
	s_wait_xcnt 0x0
	s_delay_alu instid0(VALU_DEP_1)
	v_and_b32_e32 v3, 0x7fffffff, v1
	v_cmpx_ngt_f32_e64 0x48000000, |v1|
	s_xor_b32 s16, exec_lo, s1
	s_cbranch_execz .LBB23_287
; %bb.286:
	s_mov_b32 s0, 0x7fffff
	v_mov_b32_e32 v5, 0
	v_and_or_b32 v4, v3, s0, 0x800000
	s_mov_b64 s[0:1], 0xfe5163ab
	s_delay_alu instid0(VALU_DEP_1) | instid1(SALU_CYCLE_1)
	v_mul_u64_e32 v[6:7], s[0:1], v[4:5]
	s_delay_alu instid0(VALU_DEP_1) | instskip(SKIP_2) | instid1(VALU_DEP_3)
	v_dual_mov_b32 v8, v7 :: v_dual_mov_b32 v9, v5
	v_dual_mov_b32 v11, v5 :: v_dual_mov_b32 v13, v5
	v_dual_mov_b32 v15, v5 :: v_dual_lshrrev_b32 v7, 23, v3
	v_mad_nc_u64_u32 v[8:9], 0x3c439041, v4, v[8:9]
	s_delay_alu instid0(VALU_DEP_1) | instskip(NEXT) | instid1(VALU_DEP_1)
	v_mov_b32_e32 v10, v9
	v_mad_nc_u64_u32 v[10:11], 0xdb629599, v4, v[10:11]
	s_delay_alu instid0(VALU_DEP_1) | instskip(NEXT) | instid1(VALU_DEP_1)
	v_mov_b32_e32 v12, v11
	;; [unrolled: 3-line block ×3, first 2 shown]
	v_mad_nc_u64_u32 v[14:15], 0xfc2757d1, v4, v[14:15]
	s_delay_alu instid0(VALU_DEP_1) | instskip(NEXT) | instid1(VALU_DEP_1)
	v_dual_mov_b32 v17, v5 :: v_dual_mov_b32 v16, v15
	v_mad_nc_u64_u32 v[16:17], 0x4e441529, v4, v[16:17]
	s_delay_alu instid0(VALU_DEP_1) | instskip(NEXT) | instid1(VALU_DEP_1)
	v_dual_mov_b32 v18, v17 :: v_dual_add_nc_u32 v7, 0xffffff88, v7
	v_cmp_lt_u32_e32 vcc_lo, 63, v7
	v_mov_b32_e32 v19, v5
	v_cndmask_b32_e64 v9, 0, 0xffffffc0, vcc_lo
	s_delay_alu instid0(VALU_DEP_2) | instskip(SKIP_1) | instid1(VALU_DEP_3)
	v_mad_nc_u64_u32 v[4:5], 0xa2f9836e, v4, v[18:19]
	v_dual_cndmask_b32 v11, v16, v12, vcc_lo :: v_dual_cndmask_b32 v13, v14, v10, vcc_lo
	v_dual_cndmask_b32 v8, v12, v8 :: v_dual_add_nc_u32 v7, v9, v7
	v_cndmask_b32_e32 v6, v10, v6, vcc_lo
	s_delay_alu instid0(VALU_DEP_2) | instskip(SKIP_1) | instid1(VALU_DEP_2)
	v_cmp_lt_u32_e64 s0, 31, v7
	v_dual_cndmask_b32 v4, v4, v14 :: v_dual_cndmask_b32 v5, v5, v16
	v_cndmask_b32_e64 v9, 0, 0xffffffe0, s0
	s_delay_alu instid0(VALU_DEP_4) | instskip(NEXT) | instid1(VALU_DEP_2)
	v_dual_cndmask_b32 v12, v13, v8, s0 :: v_dual_cndmask_b32 v6, v8, v6, s0
	v_add_nc_u32_e32 v7, v9, v7
	s_delay_alu instid0(VALU_DEP_1) | instskip(NEXT) | instid1(VALU_DEP_1)
	v_cmp_lt_u32_e64 s1, 31, v7
	v_cndmask_b32_e64 v9, 0, 0xffffffe0, s1
	s_delay_alu instid0(VALU_DEP_1) | instskip(SKIP_1) | instid1(VALU_DEP_2)
	v_dual_cndmask_b32 v6, v12, v6, s1 :: v_dual_add_nc_u32 v7, v9, v7
	v_dual_cndmask_b32 v9, v4, v11, s0 :: v_dual_cndmask_b32 v4, v5, v4, s0
	v_dual_cndmask_b32 v5, v11, v13, s0 :: v_dual_sub_nc_u32 v11, 32, v7
	v_cmp_eq_u32_e32 vcc_lo, 0, v7
	s_delay_alu instid0(VALU_DEP_3) | instskip(NEXT) | instid1(VALU_DEP_3)
	v_cndmask_b32_e64 v4, v4, v9, s1
	v_cndmask_b32_e64 v9, v9, v5, s1
	;; [unrolled: 1-line block ×3, first 2 shown]
	s_delay_alu instid0(VALU_DEP_2) | instskip(NEXT) | instid1(VALU_DEP_2)
	v_alignbit_b32 v13, v4, v9, v11
	v_alignbit_b32 v10, v9, v5, v11
	;; [unrolled: 1-line block ×3, first 2 shown]
	s_delay_alu instid0(VALU_DEP_2) | instskip(NEXT) | instid1(VALU_DEP_2)
	v_dual_cndmask_b32 v4, v13, v4 :: v_dual_cndmask_b32 v7, v10, v9
	v_cndmask_b32_e32 v5, v11, v5, vcc_lo
	s_delay_alu instid0(VALU_DEP_2) | instskip(NEXT) | instid1(VALU_DEP_3)
	v_bfe_u32 v8, v4, 29, 1
	v_alignbit_b32 v9, v4, v7, 30
	s_delay_alu instid0(VALU_DEP_3) | instskip(SKIP_1) | instid1(VALU_DEP_4)
	v_alignbit_b32 v7, v7, v5, 30
	v_alignbit_b32 v5, v5, v6, 30
	v_sub_nc_u32_e32 v10, 0, v8
	s_delay_alu instid0(VALU_DEP_1) | instskip(NEXT) | instid1(VALU_DEP_4)
	v_xor_b32_e32 v9, v9, v10
	v_xor_b32_e32 v6, v7, v10
	s_delay_alu instid0(VALU_DEP_4) | instskip(NEXT) | instid1(VALU_DEP_3)
	v_dual_lshrrev_b32 v10, 29, v4 :: v_dual_bitop2_b32 v5, v5, v10 bitop3:0x14
	v_clz_i32_u32_e32 v11, v9
	s_delay_alu instid0(VALU_DEP_1) | instskip(NEXT) | instid1(VALU_DEP_1)
	v_min_u32_e32 v11, 32, v11
	v_dual_sub_nc_u32 v7, 31, v11 :: v_dual_lshlrev_b32 v12, 23, v11
	s_delay_alu instid0(VALU_DEP_1) | instskip(SKIP_2) | instid1(VALU_DEP_2)
	v_alignbit_b32 v9, v9, v6, v7
	v_alignbit_b32 v5, v6, v5, v7
	v_lshlrev_b32_e32 v6, 31, v10
	v_alignbit_b32 v7, v9, v5, 9
	s_delay_alu instid0(VALU_DEP_2) | instskip(SKIP_1) | instid1(VALU_DEP_3)
	v_dual_lshrrev_b32 v9, 9, v9 :: v_dual_bitop2_b32 v10, 0.5, v6 bitop3:0x54
	v_or_b32_e32 v6, 0x33000000, v6
	v_clz_i32_u32_e32 v13, v7
	s_delay_alu instid0(VALU_DEP_3) | instskip(NEXT) | instid1(VALU_DEP_2)
	v_sub_nc_u32_e32 v10, v10, v12
	v_min_u32_e32 v12, 32, v13
	s_delay_alu instid0(VALU_DEP_1) | instskip(NEXT) | instid1(VALU_DEP_3)
	v_add_lshl_u32 v11, v12, v11, 23
	v_or_b32_e32 v9, v9, v10
	v_not_b32_e32 v10, v12
	s_delay_alu instid0(VALU_DEP_2) | instskip(NEXT) | instid1(VALU_DEP_2)
	v_dual_mul_f32 v13, 0x3fc90fda, v9 :: v_dual_sub_nc_u32 v6, v6, v11
	v_alignbit_b32 v5, v7, v5, v10
	s_delay_alu instid0(VALU_DEP_2) | instskip(NEXT) | instid1(VALU_DEP_2)
	v_fma_f32 v7, 0x3fc90fda, v9, -v13
	v_lshrrev_b32_e32 v5, 9, v5
	s_delay_alu instid0(VALU_DEP_2) | instskip(NEXT) | instid1(VALU_DEP_2)
	v_fmamk_f32 v7, v9, 0x33a22168, v7
	v_or_b32_e32 v5, v6, v5
	s_delay_alu instid0(VALU_DEP_1) | instskip(NEXT) | instid1(VALU_DEP_1)
	v_fmac_f32_e32 v7, 0x3fc90fda, v5
	v_dual_add_f32 v4, v13, v7 :: v_dual_lshrrev_b32 v5, 30, v4
	s_delay_alu instid0(VALU_DEP_1)
	v_add_nc_u32_e32 v5, v8, v5
.LBB23_287:
	s_and_not1_saveexec_b32 s0, s16
; %bb.288:
	v_mul_f32_e64 v4, 0x3f22f983, |v1|
	s_delay_alu instid0(VALU_DEP_1) | instskip(NEXT) | instid1(VALU_DEP_1)
	v_rndne_f32_e32 v5, v4
	v_fma_f32 v4, 0xbfc90fda, v5, |v1|
	s_delay_alu instid0(VALU_DEP_1) | instskip(NEXT) | instid1(VALU_DEP_1)
	v_fmamk_f32 v4, v5, 0xb3a22168, v4
	v_fmamk_f32 v4, v5, 0xa7c234c4, v4
	v_cvt_i32_f32_e32 v5, v5
; %bb.289:
	s_or_b32 exec_lo, exec_lo, s0
	s_delay_alu instid0(VALU_DEP_1) | instskip(SKIP_3) | instid1(VALU_DEP_2)
	v_dual_mul_f32 v6, v4, v4 :: v_dual_bitop2_b32 v9, 1, v5 bitop3:0x40
	s_mov_b32 s0, 0xb94c1982
	s_mov_b32 s1, 0x37d75334
	v_add_nc_u32_e32 v0, 0x80, v0
	v_fmaak_f32 v7, s0, v6, 0x3c0881c4
	v_cmp_eq_u32_e32 vcc_lo, 0, v9
	v_lshlrev_b32_e32 v5, 30, v5
	v_xor_b32_e32 v3, v3, v1
	s_delay_alu instid0(VALU_DEP_4) | instskip(SKIP_1) | instid1(VALU_DEP_4)
	v_fmaak_f32 v7, v6, v7, 0xbe2aaa9d
	v_fmaak_f32 v8, s1, v6, 0xbab64f3b
	v_and_b32_e32 v5, 0x80000000, v5
	s_delay_alu instid0(VALU_DEP_2) | instskip(NEXT) | instid1(VALU_DEP_1)
	v_dual_mul_f32 v7, v6, v7 :: v_dual_fmaak_f32 v8, v6, v8, 0x3d2aabf7
	v_fmac_f32_e32 v4, v4, v7
	s_delay_alu instid0(VALU_DEP_2) | instskip(NEXT) | instid1(VALU_DEP_1)
	v_fmaak_f32 v8, v6, v8, 0xbf000004
	v_fma_f32 v6, v6, v8, 1.0
	s_delay_alu instid0(VALU_DEP_1) | instskip(SKIP_1) | instid1(VALU_DEP_2)
	v_cndmask_b32_e32 v4, v6, v4, vcc_lo
	v_cmp_class_f32_e64 vcc_lo, v1, 0x1f8
	v_xor3_b32 v3, v3, v5, v4
	s_delay_alu instid0(VALU_DEP_1) | instskip(NEXT) | instid1(VALU_DEP_1)
	v_cndmask_b32_e32 v1, 0x7fc00000, v3, vcc_lo
	v_cvt_f16_f32_e32 v1, v1
	global_store_b16 v2, v1, s[4:5]
	s_wait_xcnt 0x0
	s_or_b32 exec_lo, exec_lo, s9
	s_delay_alu instid0(SALU_CYCLE_1)
	s_mov_b32 s9, exec_lo
	v_cmpx_gt_i32_e64 s34, v0
	s_cbranch_execz .LBB23_276
.LBB23_290:
	s_and_not1_b32 vcc_lo, exec_lo, s30
	s_cbranch_vccnz .LBB23_295
; %bb.291:
	s_and_not1_b32 vcc_lo, exec_lo, s36
	s_cbranch_vccnz .LBB23_296
; %bb.292:
	s_add_co_i32 s35, s35, 1
	s_cmp_eq_u32 s29, 2
	s_cbranch_scc1 .LBB23_297
; %bb.293:
	v_dual_mov_b32 v2, 0 :: v_dual_mov_b32 v3, 0
	v_mov_b32_e32 v1, v0
	s_and_b32 s0, s35, 28
	s_mov_b32 s1, 0
	s_mov_b64 s[24:25], s[2:3]
.LBB23_294:                             ; =>This Inner Loop Header: Depth=1
	s_clause 0x1
	s_load_b256 s[36:43], s[24:25], 0x4
	s_load_b128 s[52:55], s[24:25], 0x24
	s_load_b256 s[44:51], s[22:23], 0x0
	s_add_co_i32 s1, s1, 4
	s_wait_xcnt 0x0
	s_add_nc_u64 s[24:25], s[24:25], 48
	s_cmp_eq_u32 s0, s1
	s_add_nc_u64 s[22:23], s[22:23], 32
	s_wait_kmcnt 0x0
	v_mul_hi_u32 v4, s37, v1
	s_delay_alu instid0(VALU_DEP_1) | instskip(NEXT) | instid1(VALU_DEP_1)
	v_add_nc_u32_e32 v4, v1, v4
	v_lshrrev_b32_e32 v4, s38, v4
	s_delay_alu instid0(VALU_DEP_1) | instskip(NEXT) | instid1(VALU_DEP_1)
	v_mul_hi_u32 v5, s40, v4
	v_add_nc_u32_e32 v5, v4, v5
	s_delay_alu instid0(VALU_DEP_1) | instskip(NEXT) | instid1(VALU_DEP_1)
	v_lshrrev_b32_e32 v5, s41, v5
	v_mul_hi_u32 v6, s43, v5
	s_delay_alu instid0(VALU_DEP_1) | instskip(SKIP_1) | instid1(VALU_DEP_1)
	v_add_nc_u32_e32 v6, v5, v6
	v_mul_lo_u32 v7, v4, s36
	v_sub_nc_u32_e32 v1, v1, v7
	v_mul_lo_u32 v7, v5, s39
	s_delay_alu instid0(VALU_DEP_4) | instskip(NEXT) | instid1(VALU_DEP_3)
	v_lshrrev_b32_e32 v6, s52, v6
	v_mad_u32 v3, v1, s45, v3
	v_mad_u32 v1, v1, s44, v2
	s_delay_alu instid0(VALU_DEP_4) | instskip(NEXT) | instid1(VALU_DEP_4)
	v_sub_nc_u32_e32 v2, v4, v7
	v_mul_hi_u32 v8, s54, v6
	v_mul_lo_u32 v4, v6, s42
	s_delay_alu instid0(VALU_DEP_3) | instskip(SKIP_1) | instid1(VALU_DEP_4)
	v_mad_u32 v3, v2, s47, v3
	v_mad_u32 v2, v2, s46, v1
	v_add_nc_u32_e32 v7, v6, v8
	s_delay_alu instid0(VALU_DEP_1) | instskip(NEXT) | instid1(VALU_DEP_1)
	v_dual_sub_nc_u32 v4, v5, v4 :: v_dual_lshrrev_b32 v1, s55, v7
	v_mad_u32 v3, v4, s49, v3
	s_delay_alu instid0(VALU_DEP_4) | instskip(NEXT) | instid1(VALU_DEP_3)
	v_mad_u32 v2, v4, s48, v2
	v_mul_lo_u32 v5, v1, s53
	s_delay_alu instid0(VALU_DEP_1) | instskip(NEXT) | instid1(VALU_DEP_1)
	v_sub_nc_u32_e32 v4, v6, v5
	v_mad_u32 v3, v4, s51, v3
	s_delay_alu instid0(VALU_DEP_4)
	v_mad_u32 v2, v4, s50, v2
	s_cbranch_scc0 .LBB23_294
	s_branch .LBB23_298
.LBB23_295:
                                        ; implicit-def: $vgpr3
	s_branch .LBB23_302
.LBB23_296:
	v_dual_mov_b32 v3, 0 :: v_dual_mov_b32 v2, 0
	s_branch .LBB23_301
.LBB23_297:
	v_mov_b64_e32 v[2:3], 0
	v_mov_b32_e32 v1, v0
	s_mov_b32 s0, 0
.LBB23_298:
	s_and_b32 s16, s35, 3
	s_mov_b32 s1, 0
	s_cmp_eq_u32 s16, 0
	s_cbranch_scc1 .LBB23_301
; %bb.299:
	s_lshl_b32 s22, s0, 3
	s_mov_b32 s23, s1
	s_mul_u64 s[24:25], s[0:1], 12
	s_add_nc_u64 s[22:23], s[2:3], s[22:23]
	s_delay_alu instid0(SALU_CYCLE_1)
	s_add_nc_u64 s[0:1], s[22:23], 0xc4
	s_add_nc_u64 s[22:23], s[2:3], s[24:25]
.LBB23_300:                             ; =>This Inner Loop Header: Depth=1
	s_load_b96 s[24:26], s[22:23], 0x4
	s_add_co_i32 s16, s16, -1
	s_wait_xcnt 0x0
	s_add_nc_u64 s[22:23], s[22:23], 12
	s_cmp_lg_u32 s16, 0
	s_wait_kmcnt 0x0
	v_mul_hi_u32 v4, s25, v1
	s_delay_alu instid0(VALU_DEP_1) | instskip(NEXT) | instid1(VALU_DEP_1)
	v_add_nc_u32_e32 v4, v1, v4
	v_lshrrev_b32_e32 v4, s26, v4
	s_load_b64 s[26:27], s[0:1], 0x0
	s_wait_xcnt 0x0
	s_add_nc_u64 s[0:1], s[0:1], 8
	s_delay_alu instid0(VALU_DEP_1) | instskip(NEXT) | instid1(VALU_DEP_1)
	v_mul_lo_u32 v5, v4, s24
	v_sub_nc_u32_e32 v1, v1, v5
	s_wait_kmcnt 0x0
	s_delay_alu instid0(VALU_DEP_1)
	v_mad_u32 v3, v1, s27, v3
	v_mad_u32 v2, v1, s26, v2
	v_mov_b32_e32 v1, v4
	s_cbranch_scc1 .LBB23_300
.LBB23_301:
	s_cbranch_execnz .LBB23_304
.LBB23_302:
	v_mov_b32_e32 v1, 0
	s_and_not1_b32 vcc_lo, exec_lo, s33
	s_delay_alu instid0(VALU_DEP_1) | instskip(NEXT) | instid1(VALU_DEP_1)
	v_mul_u64_e32 v[2:3], s[18:19], v[0:1]
	v_add_nc_u32_e32 v2, v0, v3
	s_delay_alu instid0(VALU_DEP_1) | instskip(NEXT) | instid1(VALU_DEP_1)
	v_lshrrev_b32_e32 v4, s10, v2
	v_mul_lo_u32 v2, v4, s8
	s_delay_alu instid0(VALU_DEP_1) | instskip(NEXT) | instid1(VALU_DEP_1)
	v_sub_nc_u32_e32 v0, v0, v2
	v_mul_lo_u32 v3, v0, s13
	v_mul_lo_u32 v2, v0, s12
	s_cbranch_vccnz .LBB23_304
; %bb.303:
	v_mov_b32_e32 v5, v1
	s_delay_alu instid0(VALU_DEP_1) | instskip(NEXT) | instid1(VALU_DEP_1)
	v_mul_u64_e32 v[0:1], s[20:21], v[4:5]
	v_add_nc_u32_e32 v0, v4, v1
	s_delay_alu instid0(VALU_DEP_1) | instskip(NEXT) | instid1(VALU_DEP_1)
	v_lshrrev_b32_e32 v0, s17, v0
	v_mul_lo_u32 v0, v0, s11
	s_delay_alu instid0(VALU_DEP_1) | instskip(NEXT) | instid1(VALU_DEP_1)
	v_sub_nc_u32_e32 v0, v4, v0
	v_mad_u32 v2, v0, s14, v2
	v_mad_u32 v3, v0, s15, v3
.LBB23_304:
	global_load_u16 v0, v3, s[6:7]
                                        ; implicit-def: $vgpr4
                                        ; implicit-def: $vgpr3
	s_mov_b32 s1, exec_lo
	s_wait_loadcnt 0x0
	v_cvt_f32_f16_e32 v0, v0
	s_delay_alu instid0(VALU_DEP_1)
	v_and_b32_e32 v1, 0x7fffffff, v0
	s_wait_xcnt 0x0
	v_cmpx_ngt_f32_e64 0x48000000, |v0|
	s_xor_b32 s6, exec_lo, s1
	s_cbranch_execz .LBB23_306
; %bb.305:
	s_mov_b32 s0, 0x7fffff
	v_mov_b32_e32 v5, 0
	v_and_or_b32 v4, v1, s0, 0x800000
	s_mov_b64 s[0:1], 0xfe5163ab
	v_lshrrev_b32_e32 v3, 23, v1
	s_delay_alu instid0(VALU_DEP_2) | instskip(NEXT) | instid1(VALU_DEP_1)
	v_mul_u64_e32 v[6:7], s[0:1], v[4:5]
	v_dual_mov_b32 v8, v7 :: v_dual_mov_b32 v9, v5
	v_dual_mov_b32 v11, v5 :: v_dual_mov_b32 v13, v5
	;; [unrolled: 1-line block ×3, first 2 shown]
	s_delay_alu instid0(VALU_DEP_3) | instskip(NEXT) | instid1(VALU_DEP_1)
	v_mad_nc_u64_u32 v[8:9], 0x3c439041, v4, v[8:9]
	v_mov_b32_e32 v10, v9
	s_delay_alu instid0(VALU_DEP_1) | instskip(NEXT) | instid1(VALU_DEP_1)
	v_mad_nc_u64_u32 v[10:11], 0xdb629599, v4, v[10:11]
	v_mov_b32_e32 v12, v11
	s_delay_alu instid0(VALU_DEP_1) | instskip(NEXT) | instid1(VALU_DEP_1)
	;; [unrolled: 3-line block ×3, first 2 shown]
	v_mad_nc_u64_u32 v[14:15], 0xfc2757d1, v4, v[14:15]
	v_dual_mov_b32 v17, v5 :: v_dual_mov_b32 v16, v15
	s_delay_alu instid0(VALU_DEP_1) | instskip(NEXT) | instid1(VALU_DEP_1)
	v_mad_nc_u64_u32 v[16:17], 0x4e441529, v4, v[16:17]
	v_dual_mov_b32 v18, v17 :: v_dual_add_nc_u32 v3, 0xffffff88, v3
	s_delay_alu instid0(VALU_DEP_1) | instskip(NEXT) | instid1(VALU_DEP_2)
	v_cmp_lt_u32_e32 vcc_lo, 63, v3
	v_mad_nc_u64_u32 v[4:5], 0xa2f9836e, v4, v[18:19]
	v_cndmask_b32_e64 v7, 0, 0xffffffc0, vcc_lo
	v_dual_cndmask_b32 v9, v16, v12 :: v_dual_cndmask_b32 v6, v10, v6
	s_delay_alu instid0(VALU_DEP_2) | instskip(NEXT) | instid1(VALU_DEP_1)
	v_add_nc_u32_e32 v3, v7, v3
	v_cmp_lt_u32_e64 s0, 31, v3
	v_dual_cndmask_b32 v4, v4, v14 :: v_dual_cndmask_b32 v5, v5, v16
	s_delay_alu instid0(VALU_DEP_2) | instskip(NEXT) | instid1(VALU_DEP_1)
	v_cndmask_b32_e64 v7, 0, 0xffffffe0, s0
	v_add_nc_u32_e32 v3, v7, v3
	s_delay_alu instid0(VALU_DEP_1) | instskip(NEXT) | instid1(VALU_DEP_1)
	v_cmp_lt_u32_e64 s1, 31, v3
	v_cndmask_b32_e64 v7, 0, 0xffffffe0, s1
	s_delay_alu instid0(VALU_DEP_1) | instskip(SKIP_2) | instid1(VALU_DEP_3)
	v_dual_cndmask_b32 v11, v14, v10, vcc_lo :: v_dual_add_nc_u32 v3, v7, v3
	v_cndmask_b32_e32 v7, v12, v8, vcc_lo
	v_dual_cndmask_b32 v8, v4, v9, s0 :: v_dual_cndmask_b32 v4, v5, v4, s0
	v_cndmask_b32_e64 v5, v9, v11, s0
	s_delay_alu instid0(VALU_DEP_4) | instskip(NEXT) | instid1(VALU_DEP_4)
	v_sub_nc_u32_e32 v9, 32, v3
	v_cndmask_b32_e64 v11, v11, v7, s0
	v_cmp_eq_u32_e32 vcc_lo, 0, v3
	v_cndmask_b32_e64 v4, v4, v8, s1
	s_delay_alu instid0(VALU_DEP_3) | instskip(NEXT) | instid1(VALU_DEP_1)
	v_dual_cndmask_b32 v8, v8, v5, s1 :: v_dual_cndmask_b32 v5, v5, v11, s1
	v_alignbit_b32 v12, v4, v8, v9
	s_delay_alu instid0(VALU_DEP_2) | instskip(NEXT) | instid1(VALU_DEP_2)
	v_alignbit_b32 v10, v8, v5, v9
	v_dual_cndmask_b32 v3, v12, v4, vcc_lo :: v_dual_cndmask_b32 v4, v7, v6, s0
	s_delay_alu instid0(VALU_DEP_1) | instskip(NEXT) | instid1(VALU_DEP_1)
	v_bfe_u32 v7, v3, 29, 1
	v_dual_cndmask_b32 v6, v10, v8, vcc_lo :: v_dual_sub_nc_u32 v10, 0, v7
	s_delay_alu instid0(VALU_DEP_1) | instskip(NEXT) | instid1(VALU_DEP_1)
	v_alignbit_b32 v8, v3, v6, 30
	v_dual_cndmask_b32 v4, v11, v4, s1 :: v_dual_bitop2_b32 v8, v8, v10 bitop3:0x14
	s_delay_alu instid0(VALU_DEP_1) | instskip(NEXT) | instid1(VALU_DEP_1)
	v_alignbit_b32 v9, v5, v4, v9
	v_cndmask_b32_e32 v5, v9, v5, vcc_lo
	s_delay_alu instid0(VALU_DEP_3) | instskip(NEXT) | instid1(VALU_DEP_2)
	v_clz_i32_u32_e32 v9, v8
	v_alignbit_b32 v4, v5, v4, 30
	s_delay_alu instid0(VALU_DEP_2) | instskip(NEXT) | instid1(VALU_DEP_2)
	v_min_u32_e32 v9, 32, v9
	v_xor_b32_e32 v4, v4, v10
	v_alignbit_b32 v6, v6, v5, 30
	s_delay_alu instid0(VALU_DEP_1) | instskip(SKIP_1) | instid1(VALU_DEP_1)
	v_dual_lshlrev_b32 v11, 23, v9 :: v_dual_bitop2_b32 v5, v6, v10 bitop3:0x14
	v_dual_sub_nc_u32 v6, 31, v9 :: v_dual_lshrrev_b32 v10, 29, v3
	v_alignbit_b32 v8, v8, v5, v6
	v_alignbit_b32 v4, v5, v4, v6
	s_delay_alu instid0(VALU_DEP_3) | instskip(NEXT) | instid1(VALU_DEP_2)
	v_lshlrev_b32_e32 v5, 31, v10
	v_alignbit_b32 v6, v8, v4, 9
	s_delay_alu instid0(VALU_DEP_2) | instskip(NEXT) | instid1(VALU_DEP_2)
	v_dual_lshrrev_b32 v8, 9, v8 :: v_dual_bitop2_b32 v10, 0.5, v5 bitop3:0x54
	v_clz_i32_u32_e32 v12, v6
	s_delay_alu instid0(VALU_DEP_2) | instskip(SKIP_1) | instid1(VALU_DEP_3)
	v_sub_nc_u32_e32 v10, v10, v11
	v_or_b32_e32 v5, 0x33000000, v5
	v_min_u32_e32 v11, 32, v12
	s_delay_alu instid0(VALU_DEP_1) | instskip(NEXT) | instid1(VALU_DEP_4)
	v_add_lshl_u32 v9, v11, v9, 23
	v_or_b32_e32 v8, v8, v10
	v_not_b32_e32 v10, v11
	s_delay_alu instid0(VALU_DEP_2) | instskip(NEXT) | instid1(VALU_DEP_2)
	v_dual_mul_f32 v12, 0x3fc90fda, v8 :: v_dual_sub_nc_u32 v5, v5, v9
	v_alignbit_b32 v4, v6, v4, v10
	s_delay_alu instid0(VALU_DEP_2) | instskip(NEXT) | instid1(VALU_DEP_2)
	v_fma_f32 v6, 0x3fc90fda, v8, -v12
	v_lshrrev_b32_e32 v4, 9, v4
	s_delay_alu instid0(VALU_DEP_2) | instskip(NEXT) | instid1(VALU_DEP_2)
	v_fmamk_f32 v6, v8, 0x33a22168, v6
	v_or_b32_e32 v4, v5, v4
	s_delay_alu instid0(VALU_DEP_1) | instskip(NEXT) | instid1(VALU_DEP_1)
	v_fmac_f32_e32 v6, 0x3fc90fda, v4
	v_dual_add_f32 v3, v12, v6 :: v_dual_lshrrev_b32 v4, 30, v3
	s_delay_alu instid0(VALU_DEP_1)
	v_add_nc_u32_e32 v4, v7, v4
.LBB23_306:
	s_and_not1_saveexec_b32 s0, s6
; %bb.307:
	v_mul_f32_e64 v3, 0x3f22f983, |v0|
	s_delay_alu instid0(VALU_DEP_1) | instskip(NEXT) | instid1(VALU_DEP_1)
	v_rndne_f32_e32 v4, v3
	v_fma_f32 v3, 0xbfc90fda, v4, |v0|
	s_delay_alu instid0(VALU_DEP_1) | instskip(NEXT) | instid1(VALU_DEP_1)
	v_fmamk_f32 v3, v4, 0xb3a22168, v3
	v_fmamk_f32 v3, v4, 0xa7c234c4, v3
	v_cvt_i32_f32_e32 v4, v4
; %bb.308:
	s_or_b32 exec_lo, exec_lo, s0
	s_delay_alu instid0(VALU_DEP_1) | instskip(SKIP_3) | instid1(VALU_DEP_2)
	v_dual_mul_f32 v5, v3, v3 :: v_dual_bitop2_b32 v8, 1, v4 bitop3:0x40
	s_mov_b32 s0, 0xb94c1982
	s_mov_b32 s1, 0x37d75334
	v_lshlrev_b32_e32 v4, 30, v4
	v_fmaak_f32 v6, s0, v5, 0x3c0881c4
	v_cmp_eq_u32_e32 vcc_lo, 0, v8
	v_xor_b32_e32 v1, v1, v0
	s_delay_alu instid0(VALU_DEP_4) | instskip(NEXT) | instid1(VALU_DEP_4)
	v_and_b32_e32 v4, 0x80000000, v4
	v_fmaak_f32 v6, v5, v6, 0xbe2aaa9d
	s_delay_alu instid0(VALU_DEP_1) | instskip(NEXT) | instid1(VALU_DEP_1)
	v_dual_fmaak_f32 v7, s1, v5, 0xbab64f3b :: v_dual_mul_f32 v6, v5, v6
	v_fmaak_f32 v7, v5, v7, 0x3d2aabf7
	s_delay_alu instid0(VALU_DEP_2) | instskip(NEXT) | instid1(VALU_DEP_2)
	v_fmac_f32_e32 v3, v3, v6
	v_fmaak_f32 v7, v5, v7, 0xbf000004
	s_delay_alu instid0(VALU_DEP_1) | instskip(NEXT) | instid1(VALU_DEP_1)
	v_fma_f32 v5, v5, v7, 1.0
	v_cndmask_b32_e32 v3, v5, v3, vcc_lo
	v_cmp_class_f32_e64 vcc_lo, v0, 0x1f8
	s_delay_alu instid0(VALU_DEP_2) | instskip(NEXT) | instid1(VALU_DEP_1)
	v_xor3_b32 v1, v1, v4, v3
	v_cndmask_b32_e32 v0, 0x7fc00000, v1, vcc_lo
	s_delay_alu instid0(VALU_DEP_1)
	v_cvt_f16_f32_e32 v0, v0
	global_store_b16 v2, v0, s[4:5]
	s_wait_xcnt 0x0
	s_or_b32 exec_lo, exec_lo, s9
                                        ; implicit-def: $vgpr16
                                        ; implicit-def: $vgpr0
	s_and_not1_saveexec_b32 s0, s31
	s_cbranch_execz .LBB23_277
	s_branch .LBB23_8
	.section	.rodata,"a",@progbits
	.p2align	6, 0x0
	.amdhsa_kernel _ZN2at6native32elementwise_kernel_manual_unrollILi128ELi8EZNS0_22gpu_kernel_impl_nocastIZZZNS0_15sin_kernel_cudaERNS_18TensorIteratorBaseEENKUlvE0_clEvENKUlvE1_clEvEUlN3c104HalfEE_EEvS4_RKT_EUlibE_EEviT1_
		.amdhsa_group_segment_fixed_size 0
		.amdhsa_private_segment_fixed_size 0
		.amdhsa_kernarg_size 360
		.amdhsa_user_sgpr_count 2
		.amdhsa_user_sgpr_dispatch_ptr 0
		.amdhsa_user_sgpr_queue_ptr 0
		.amdhsa_user_sgpr_kernarg_segment_ptr 1
		.amdhsa_user_sgpr_dispatch_id 0
		.amdhsa_user_sgpr_kernarg_preload_length 0
		.amdhsa_user_sgpr_kernarg_preload_offset 0
		.amdhsa_user_sgpr_private_segment_size 0
		.amdhsa_wavefront_size32 1
		.amdhsa_uses_dynamic_stack 0
		.amdhsa_enable_private_segment 0
		.amdhsa_system_sgpr_workgroup_id_x 1
		.amdhsa_system_sgpr_workgroup_id_y 0
		.amdhsa_system_sgpr_workgroup_id_z 0
		.amdhsa_system_sgpr_workgroup_info 0
		.amdhsa_system_vgpr_workitem_id 0
		.amdhsa_next_free_vgpr 56
		.amdhsa_next_free_sgpr 60
		.amdhsa_named_barrier_count 0
		.amdhsa_reserve_vcc 1
		.amdhsa_float_round_mode_32 0
		.amdhsa_float_round_mode_16_64 0
		.amdhsa_float_denorm_mode_32 3
		.amdhsa_float_denorm_mode_16_64 3
		.amdhsa_fp16_overflow 0
		.amdhsa_memory_ordered 1
		.amdhsa_forward_progress 1
		.amdhsa_inst_pref_size 218
		.amdhsa_round_robin_scheduling 0
		.amdhsa_exception_fp_ieee_invalid_op 0
		.amdhsa_exception_fp_denorm_src 0
		.amdhsa_exception_fp_ieee_div_zero 0
		.amdhsa_exception_fp_ieee_overflow 0
		.amdhsa_exception_fp_ieee_underflow 0
		.amdhsa_exception_fp_ieee_inexact 0
		.amdhsa_exception_int_div_zero 0
	.end_amdhsa_kernel
	.section	.text._ZN2at6native32elementwise_kernel_manual_unrollILi128ELi8EZNS0_22gpu_kernel_impl_nocastIZZZNS0_15sin_kernel_cudaERNS_18TensorIteratorBaseEENKUlvE0_clEvENKUlvE1_clEvEUlN3c104HalfEE_EEvS4_RKT_EUlibE_EEviT1_,"axG",@progbits,_ZN2at6native32elementwise_kernel_manual_unrollILi128ELi8EZNS0_22gpu_kernel_impl_nocastIZZZNS0_15sin_kernel_cudaERNS_18TensorIteratorBaseEENKUlvE0_clEvENKUlvE1_clEvEUlN3c104HalfEE_EEvS4_RKT_EUlibE_EEviT1_,comdat
.Lfunc_end23:
	.size	_ZN2at6native32elementwise_kernel_manual_unrollILi128ELi8EZNS0_22gpu_kernel_impl_nocastIZZZNS0_15sin_kernel_cudaERNS_18TensorIteratorBaseEENKUlvE0_clEvENKUlvE1_clEvEUlN3c104HalfEE_EEvS4_RKT_EUlibE_EEviT1_, .Lfunc_end23-_ZN2at6native32elementwise_kernel_manual_unrollILi128ELi8EZNS0_22gpu_kernel_impl_nocastIZZZNS0_15sin_kernel_cudaERNS_18TensorIteratorBaseEENKUlvE0_clEvENKUlvE1_clEvEUlN3c104HalfEE_EEvS4_RKT_EUlibE_EEviT1_
                                        ; -- End function
	.set _ZN2at6native32elementwise_kernel_manual_unrollILi128ELi8EZNS0_22gpu_kernel_impl_nocastIZZZNS0_15sin_kernel_cudaERNS_18TensorIteratorBaseEENKUlvE0_clEvENKUlvE1_clEvEUlN3c104HalfEE_EEvS4_RKT_EUlibE_EEviT1_.num_vgpr, 56
	.set _ZN2at6native32elementwise_kernel_manual_unrollILi128ELi8EZNS0_22gpu_kernel_impl_nocastIZZZNS0_15sin_kernel_cudaERNS_18TensorIteratorBaseEENKUlvE0_clEvENKUlvE1_clEvEUlN3c104HalfEE_EEvS4_RKT_EUlibE_EEviT1_.num_agpr, 0
	.set _ZN2at6native32elementwise_kernel_manual_unrollILi128ELi8EZNS0_22gpu_kernel_impl_nocastIZZZNS0_15sin_kernel_cudaERNS_18TensorIteratorBaseEENKUlvE0_clEvENKUlvE1_clEvEUlN3c104HalfEE_EEvS4_RKT_EUlibE_EEviT1_.numbered_sgpr, 60
	.set _ZN2at6native32elementwise_kernel_manual_unrollILi128ELi8EZNS0_22gpu_kernel_impl_nocastIZZZNS0_15sin_kernel_cudaERNS_18TensorIteratorBaseEENKUlvE0_clEvENKUlvE1_clEvEUlN3c104HalfEE_EEvS4_RKT_EUlibE_EEviT1_.num_named_barrier, 0
	.set _ZN2at6native32elementwise_kernel_manual_unrollILi128ELi8EZNS0_22gpu_kernel_impl_nocastIZZZNS0_15sin_kernel_cudaERNS_18TensorIteratorBaseEENKUlvE0_clEvENKUlvE1_clEvEUlN3c104HalfEE_EEvS4_RKT_EUlibE_EEviT1_.private_seg_size, 0
	.set _ZN2at6native32elementwise_kernel_manual_unrollILi128ELi8EZNS0_22gpu_kernel_impl_nocastIZZZNS0_15sin_kernel_cudaERNS_18TensorIteratorBaseEENKUlvE0_clEvENKUlvE1_clEvEUlN3c104HalfEE_EEvS4_RKT_EUlibE_EEviT1_.uses_vcc, 1
	.set _ZN2at6native32elementwise_kernel_manual_unrollILi128ELi8EZNS0_22gpu_kernel_impl_nocastIZZZNS0_15sin_kernel_cudaERNS_18TensorIteratorBaseEENKUlvE0_clEvENKUlvE1_clEvEUlN3c104HalfEE_EEvS4_RKT_EUlibE_EEviT1_.uses_flat_scratch, 0
	.set _ZN2at6native32elementwise_kernel_manual_unrollILi128ELi8EZNS0_22gpu_kernel_impl_nocastIZZZNS0_15sin_kernel_cudaERNS_18TensorIteratorBaseEENKUlvE0_clEvENKUlvE1_clEvEUlN3c104HalfEE_EEvS4_RKT_EUlibE_EEviT1_.has_dyn_sized_stack, 0
	.set _ZN2at6native32elementwise_kernel_manual_unrollILi128ELi8EZNS0_22gpu_kernel_impl_nocastIZZZNS0_15sin_kernel_cudaERNS_18TensorIteratorBaseEENKUlvE0_clEvENKUlvE1_clEvEUlN3c104HalfEE_EEvS4_RKT_EUlibE_EEviT1_.has_recursion, 0
	.set _ZN2at6native32elementwise_kernel_manual_unrollILi128ELi8EZNS0_22gpu_kernel_impl_nocastIZZZNS0_15sin_kernel_cudaERNS_18TensorIteratorBaseEENKUlvE0_clEvENKUlvE1_clEvEUlN3c104HalfEE_EEvS4_RKT_EUlibE_EEviT1_.has_indirect_call, 0
	.section	.AMDGPU.csdata,"",@progbits
; Kernel info:
; codeLenInByte = 27828
; TotalNumSgprs: 62
; NumVgprs: 56
; ScratchSize: 0
; MemoryBound: 0
; FloatMode: 240
; IeeeMode: 1
; LDSByteSize: 0 bytes/workgroup (compile time only)
; SGPRBlocks: 0
; VGPRBlocks: 3
; NumSGPRsForWavesPerEU: 62
; NumVGPRsForWavesPerEU: 56
; NamedBarCnt: 0
; Occupancy: 16
; WaveLimiterHint : 1
; COMPUTE_PGM_RSRC2:SCRATCH_EN: 0
; COMPUTE_PGM_RSRC2:USER_SGPR: 2
; COMPUTE_PGM_RSRC2:TRAP_HANDLER: 0
; COMPUTE_PGM_RSRC2:TGID_X_EN: 1
; COMPUTE_PGM_RSRC2:TGID_Y_EN: 0
; COMPUTE_PGM_RSRC2:TGID_Z_EN: 0
; COMPUTE_PGM_RSRC2:TIDIG_COMP_CNT: 0
	.section	.text._ZN2at6native32elementwise_kernel_manual_unrollILi128ELi4EZNS0_15gpu_kernel_implIZZZNS0_15sin_kernel_cudaERNS_18TensorIteratorBaseEENKUlvE0_clEvENKUlvE1_clEvEUlN3c104HalfEE_EEvS4_RKT_EUlibE_EEviT1_,"axG",@progbits,_ZN2at6native32elementwise_kernel_manual_unrollILi128ELi4EZNS0_15gpu_kernel_implIZZZNS0_15sin_kernel_cudaERNS_18TensorIteratorBaseEENKUlvE0_clEvENKUlvE1_clEvEUlN3c104HalfEE_EEvS4_RKT_EUlibE_EEviT1_,comdat
	.globl	_ZN2at6native32elementwise_kernel_manual_unrollILi128ELi4EZNS0_15gpu_kernel_implIZZZNS0_15sin_kernel_cudaERNS_18TensorIteratorBaseEENKUlvE0_clEvENKUlvE1_clEvEUlN3c104HalfEE_EEvS4_RKT_EUlibE_EEviT1_ ; -- Begin function _ZN2at6native32elementwise_kernel_manual_unrollILi128ELi4EZNS0_15gpu_kernel_implIZZZNS0_15sin_kernel_cudaERNS_18TensorIteratorBaseEENKUlvE0_clEvENKUlvE1_clEvEUlN3c104HalfEE_EEvS4_RKT_EUlibE_EEviT1_
	.p2align	8
	.type	_ZN2at6native32elementwise_kernel_manual_unrollILi128ELi4EZNS0_15gpu_kernel_implIZZZNS0_15sin_kernel_cudaERNS_18TensorIteratorBaseEENKUlvE0_clEvENKUlvE1_clEvEUlN3c104HalfEE_EEvS4_RKT_EUlibE_EEviT1_,@function
_ZN2at6native32elementwise_kernel_manual_unrollILi128ELi4EZNS0_15gpu_kernel_implIZZZNS0_15sin_kernel_cudaERNS_18TensorIteratorBaseEENKUlvE0_clEvENKUlvE1_clEvEUlN3c104HalfEE_EEvS4_RKT_EUlibE_EEviT1_: ; @_ZN2at6native32elementwise_kernel_manual_unrollILi128ELi4EZNS0_15gpu_kernel_implIZZZNS0_15sin_kernel_cudaERNS_18TensorIteratorBaseEENKUlvE0_clEvENKUlvE1_clEvEUlN3c104HalfEE_EEvS4_RKT_EUlibE_EEviT1_
; %bb.0:
	v_mov_b32_e32 v1, 0
	s_bfe_u32 s10, ttmp6, 0x4000c
	s_clause 0x1
	s_load_b32 s13, s[0:1], 0x0
	s_load_b128 s[4:7], s[0:1], 0x8
	s_add_co_i32 s10, s10, 1
	s_and_b32 s9, ttmp6, 15
	global_load_u16 v1, v1, s[0:1] offset:33
	s_load_b64 s[2:3], s[0:1], 0x18
	s_wait_xcnt 0x0
	s_mul_i32 s1, ttmp9, s10
	s_getreg_b32 s11, hwreg(HW_REG_IB_STS2, 6, 4)
	s_add_co_i32 s9, s9, s1
	s_mov_b32 s12, 0
	s_wait_loadcnt 0x0
	v_readfirstlane_b32 s8, v1
	s_and_b32 s0, 0xffff, s8
	s_delay_alu instid0(SALU_CYCLE_1)
	s_lshr_b32 s10, s0, 8
	s_cmp_eq_u32 s11, 0
	s_cselect_b32 s0, ttmp9, s9
	s_mov_b32 s9, 0
	v_lshl_or_b32 v4, s0, 9, v0
	s_mov_b32 s0, exec_lo
	s_delay_alu instid0(VALU_DEP_1) | instskip(SKIP_1) | instid1(VALU_DEP_1)
	v_or_b32_e32 v0, 0x180, v4
	s_wait_kmcnt 0x0
	v_cmpx_le_i32_e64 s13, v0
	s_xor_b32 s11, exec_lo, s0
	s_cbranch_execz .LBB24_1044
; %bb.1:
	s_mov_b32 s1, -1
	s_mov_b32 s16, 0
	s_mov_b32 s14, 0
	s_mov_b32 s15, exec_lo
	v_cmpx_gt_i32_e64 s13, v4
	s_cbranch_execz .LBB24_256
; %bb.2:
	v_mul_lo_u32 v0, v4, s3
	s_and_b32 s0, 0xffff, s10
	s_delay_alu instid0(SALU_CYCLE_1) | instskip(NEXT) | instid1(VALU_DEP_1)
	s_cmp_lt_i32 s0, 11
	v_ashrrev_i32_e32 v1, 31, v0
	s_delay_alu instid0(VALU_DEP_1)
	v_add_nc_u64_e32 v[0:1], s[6:7], v[0:1]
	s_cbranch_scc1 .LBB24_9
; %bb.3:
	s_cmp_gt_i32 s0, 25
	s_cbranch_scc0 .LBB24_61
; %bb.4:
	s_cmp_gt_i32 s0, 28
	s_cbranch_scc0 .LBB24_62
	;; [unrolled: 3-line block ×4, first 2 shown]
; %bb.7:
	s_cmp_eq_u32 s0, 46
	s_cbranch_scc0 .LBB24_68
; %bb.8:
	global_load_b32 v2, v[0:1], off
	s_wait_loadcnt 0x0
	v_lshlrev_b32_e32 v2, 16, v2
	s_delay_alu instid0(VALU_DEP_1)
	v_cvt_f16_f32_e32 v2, v2
	s_branch .LBB24_70
.LBB24_9:
	s_mov_b32 s1, 0
                                        ; implicit-def: $vgpr2
	s_cbranch_execnz .LBB24_206
.LBB24_10:
	s_and_not1_b32 vcc_lo, exec_lo, s1
	s_cbranch_vccnz .LBB24_253
.LBB24_11:
	s_wait_loadcnt 0x0
	s_delay_alu instid0(VALU_DEP_1) | instskip(SKIP_1) | instid1(VALU_DEP_1)
	v_cvt_f32_f16_e32 v0, v2
                                        ; implicit-def: $vgpr3
                                        ; implicit-def: $vgpr2
	s_mov_b32 s1, exec_lo
	v_and_b32_e32 v1, 0x7fffffff, v0
	v_cmpx_ngt_f32_e64 0x48000000, |v0|
	s_xor_b32 s12, exec_lo, s1
	s_cbranch_execz .LBB24_13
; %bb.12:
	s_mov_b32 s0, 0x7fffff
	v_mov_b32_e32 v3, 0
	v_and_or_b32 v2, v1, s0, 0x800000
	s_mov_b64 s[0:1], 0xfe5163ab
	v_lshrrev_b32_e32 v5, 23, v1
	s_delay_alu instid0(VALU_DEP_2) | instskip(NEXT) | instid1(VALU_DEP_1)
	v_mul_u64_e32 v[6:7], s[0:1], v[2:3]
	v_dual_mov_b32 v8, v7 :: v_dual_mov_b32 v9, v3
	v_dual_mov_b32 v11, v3 :: v_dual_mov_b32 v13, v3
	v_mov_b32_e32 v15, v3
	s_delay_alu instid0(VALU_DEP_3) | instskip(NEXT) | instid1(VALU_DEP_1)
	v_mad_nc_u64_u32 v[8:9], 0x3c439041, v2, v[8:9]
	v_mov_b32_e32 v10, v9
	s_delay_alu instid0(VALU_DEP_1) | instskip(NEXT) | instid1(VALU_DEP_1)
	v_mad_nc_u64_u32 v[10:11], 0xdb629599, v2, v[10:11]
	v_mov_b32_e32 v12, v11
	s_delay_alu instid0(VALU_DEP_1) | instskip(NEXT) | instid1(VALU_DEP_1)
	v_mad_nc_u64_u32 v[12:13], 0xf534ddc0, v2, v[12:13]
	v_mov_b32_e32 v14, v13
	s_delay_alu instid0(VALU_DEP_1) | instskip(NEXT) | instid1(VALU_DEP_1)
	v_mad_nc_u64_u32 v[14:15], 0xfc2757d1, v2, v[14:15]
	v_dual_mov_b32 v17, v3 :: v_dual_mov_b32 v16, v15
	s_delay_alu instid0(VALU_DEP_1) | instskip(NEXT) | instid1(VALU_DEP_1)
	v_mad_nc_u64_u32 v[16:17], 0x4e441529, v2, v[16:17]
	v_dual_mov_b32 v18, v17 :: v_dual_add_nc_u32 v5, 0xffffff88, v5
	s_delay_alu instid0(VALU_DEP_1) | instskip(SKIP_2) | instid1(VALU_DEP_2)
	v_cmp_lt_u32_e32 vcc_lo, 63, v5
	v_mov_b32_e32 v19, v3
	v_cndmask_b32_e64 v7, 0, 0xffffffc0, vcc_lo
	v_mad_nc_u64_u32 v[2:3], 0xa2f9836e, v2, v[18:19]
	v_dual_cndmask_b32 v9, v16, v12, vcc_lo :: v_dual_cndmask_b32 v11, v14, v10, vcc_lo
	s_delay_alu instid0(VALU_DEP_3) | instskip(NEXT) | instid1(VALU_DEP_1)
	v_dual_cndmask_b32 v6, v10, v6 :: v_dual_add_nc_u32 v5, v7, v5
	v_cmp_lt_u32_e64 s0, 31, v5
	s_delay_alu instid0(VALU_DEP_4) | instskip(NEXT) | instid1(VALU_DEP_2)
	v_dual_cndmask_b32 v2, v2, v14 :: v_dual_cndmask_b32 v3, v3, v16
	v_cndmask_b32_e64 v7, 0, 0xffffffe0, s0
	s_delay_alu instid0(VALU_DEP_1) | instskip(NEXT) | instid1(VALU_DEP_1)
	v_add_nc_u32_e32 v5, v7, v5
	v_cmp_lt_u32_e64 s1, 31, v5
	s_delay_alu instid0(VALU_DEP_1) | instskip(NEXT) | instid1(VALU_DEP_1)
	v_cndmask_b32_e64 v7, 0, 0xffffffe0, s1
	v_dual_add_nc_u32 v5, v7, v5 :: v_dual_cndmask_b32 v7, v12, v8, vcc_lo
	v_dual_cndmask_b32 v8, v2, v9, s0 :: v_dual_cndmask_b32 v2, v3, v2, s0
	s_delay_alu instid0(VALU_DEP_2) | instskip(NEXT) | instid1(VALU_DEP_3)
	v_dual_cndmask_b32 v3, v9, v11, s0 :: v_dual_sub_nc_u32 v9, 32, v5
	v_cndmask_b32_e64 v11, v11, v7, s0
	v_cmp_eq_u32_e32 vcc_lo, 0, v5
	s_delay_alu instid0(VALU_DEP_3) | instskip(SKIP_1) | instid1(VALU_DEP_4)
	v_dual_cndmask_b32 v2, v2, v8, s1 :: v_dual_cndmask_b32 v8, v8, v3, s1
	v_cndmask_b32_e64 v5, v7, v6, s0
	v_cndmask_b32_e64 v3, v3, v11, s1
	s_delay_alu instid0(VALU_DEP_3) | instskip(NEXT) | instid1(VALU_DEP_2)
	v_alignbit_b32 v12, v2, v8, v9
	v_alignbit_b32 v10, v8, v3, v9
	s_delay_alu instid0(VALU_DEP_1) | instskip(NEXT) | instid1(VALU_DEP_1)
	v_dual_cndmask_b32 v2, v12, v2, vcc_lo :: v_dual_cndmask_b32 v6, v10, v8, vcc_lo
	v_bfe_u32 v7, v2, 29, 1
	s_delay_alu instid0(VALU_DEP_2) | instskip(NEXT) | instid1(VALU_DEP_2)
	v_alignbit_b32 v8, v2, v6, 30
	v_dual_sub_nc_u32 v10, 0, v7 :: v_dual_cndmask_b32 v5, v11, v5, s1
	s_delay_alu instid0(VALU_DEP_1) | instskip(NEXT) | instid1(VALU_DEP_2)
	v_xor_b32_e32 v8, v8, v10
	v_alignbit_b32 v9, v3, v5, v9
	s_delay_alu instid0(VALU_DEP_1) | instskip(NEXT) | instid1(VALU_DEP_3)
	v_cndmask_b32_e32 v3, v9, v3, vcc_lo
	v_clz_i32_u32_e32 v9, v8
	s_delay_alu instid0(VALU_DEP_2) | instskip(NEXT) | instid1(VALU_DEP_2)
	v_alignbit_b32 v6, v6, v3, 30
	v_min_u32_e32 v9, 32, v9
	v_alignbit_b32 v3, v3, v5, 30
	s_delay_alu instid0(VALU_DEP_2) | instskip(NEXT) | instid1(VALU_DEP_2)
	v_dual_sub_nc_u32 v6, 31, v9 :: v_dual_bitop2_b32 v5, v6, v10 bitop3:0x14
	v_xor_b32_e32 v3, v3, v10
	v_dual_lshrrev_b32 v10, 29, v2 :: v_dual_lshlrev_b32 v11, 23, v9
	s_delay_alu instid0(VALU_DEP_3) | instskip(NEXT) | instid1(VALU_DEP_3)
	v_alignbit_b32 v8, v8, v5, v6
	v_alignbit_b32 v3, v5, v3, v6
	s_delay_alu instid0(VALU_DEP_3) | instskip(NEXT) | instid1(VALU_DEP_2)
	v_lshlrev_b32_e32 v5, 31, v10
	v_alignbit_b32 v6, v8, v3, 9
	s_delay_alu instid0(VALU_DEP_2) | instskip(NEXT) | instid1(VALU_DEP_2)
	v_dual_lshrrev_b32 v8, 9, v8 :: v_dual_bitop2_b32 v10, 0.5, v5 bitop3:0x54
	v_clz_i32_u32_e32 v12, v6
	s_delay_alu instid0(VALU_DEP_2) | instskip(SKIP_1) | instid1(VALU_DEP_3)
	v_sub_nc_u32_e32 v10, v10, v11
	v_or_b32_e32 v5, 0x33000000, v5
	v_min_u32_e32 v11, 32, v12
	s_delay_alu instid0(VALU_DEP_1) | instskip(NEXT) | instid1(VALU_DEP_4)
	v_add_lshl_u32 v9, v11, v9, 23
	v_or_b32_e32 v8, v8, v10
	v_not_b32_e32 v10, v11
	s_delay_alu instid0(VALU_DEP_3) | instskip(NEXT) | instid1(VALU_DEP_2)
	v_sub_nc_u32_e32 v5, v5, v9
	v_alignbit_b32 v3, v6, v3, v10
	s_delay_alu instid0(VALU_DEP_1) | instskip(NEXT) | instid1(VALU_DEP_1)
	v_dual_mul_f32 v12, 0x3fc90fda, v8 :: v_dual_lshrrev_b32 v3, 9, v3
	v_fma_f32 v6, 0x3fc90fda, v8, -v12
	s_delay_alu instid0(VALU_DEP_2) | instskip(NEXT) | instid1(VALU_DEP_2)
	v_or_b32_e32 v3, v5, v3
	v_fmamk_f32 v6, v8, 0x33a22168, v6
	s_delay_alu instid0(VALU_DEP_1) | instskip(NEXT) | instid1(VALU_DEP_1)
	v_dual_fmac_f32 v6, 0x3fc90fda, v3 :: v_dual_lshrrev_b32 v3, 30, v2
	v_dual_add_f32 v2, v12, v6 :: v_dual_add_nc_u32 v3, v7, v3
.LBB24_13:
	s_and_not1_saveexec_b32 s0, s12
; %bb.14:
	v_mul_f32_e64 v2, 0x3f22f983, |v0|
	s_delay_alu instid0(VALU_DEP_1) | instskip(NEXT) | instid1(VALU_DEP_1)
	v_rndne_f32_e32 v3, v2
	v_fma_f32 v2, 0xbfc90fda, v3, |v0|
	s_delay_alu instid0(VALU_DEP_1) | instskip(NEXT) | instid1(VALU_DEP_1)
	v_fmamk_f32 v2, v3, 0xb3a22168, v2
	v_fmamk_f32 v2, v3, 0xa7c234c4, v2
	v_cvt_i32_f32_e32 v3, v3
; %bb.15:
	s_or_b32 exec_lo, exec_lo, s0
	s_delay_alu instid0(VALU_DEP_1) | instskip(SKIP_3) | instid1(VALU_DEP_1)
	v_dual_mul_f32 v5, v2, v2 :: v_dual_bitop2_b32 v8, 1, v3 bitop3:0x40
	s_mov_b32 s0, 0xb94c1982
	s_mov_b32 s1, 0x37d75334
	s_mov_b32 s12, -1
	v_dual_fmaak_f32 v6, s0, v5, 0x3c0881c4 :: v_dual_lshlrev_b32 v3, 30, v3
	v_cmp_eq_u32_e32 vcc_lo, 0, v8
	s_mov_b32 s0, 0
	s_mov_b32 s17, 0
	s_delay_alu instid0(VALU_DEP_2) | instskip(SKIP_3) | instid1(SALU_CYCLE_1)
	v_fmaak_f32 v6, v5, v6, 0xbe2aaa9d
	v_fmaak_f32 v7, s1, v5, 0xbab64f3b
	v_and_b32_e32 v3, 0x80000000, v3
	s_and_b32 s1, s8, 0xff
	s_cmp_lt_i32 s1, 11
	s_delay_alu instid0(VALU_DEP_2) | instskip(NEXT) | instid1(VALU_DEP_1)
	v_dual_mul_f32 v6, v5, v6 :: v_dual_fmaak_f32 v7, v5, v7, 0x3d2aabf7
	v_dual_fmac_f32 v2, v2, v6 :: v_dual_fmaak_f32 v7, v5, v7, 0xbf000004
	v_mul_lo_u32 v6, v4, s2
	v_xor_b32_e32 v1, v1, v0
	s_delay_alu instid0(VALU_DEP_3) | instskip(NEXT) | instid1(VALU_DEP_1)
	v_fma_f32 v5, v5, v7, 1.0
	v_cndmask_b32_e32 v2, v5, v2, vcc_lo
	v_cmp_class_f32_e64 vcc_lo, v0, 0x1f8
	v_ashrrev_i32_e32 v7, 31, v6
	s_delay_alu instid0(VALU_DEP_3) | instskip(NEXT) | instid1(VALU_DEP_1)
	v_xor3_b32 v1, v1, v3, v2
	v_cndmask_b32_e32 v2, 0x7fc00000, v1, vcc_lo
	s_delay_alu instid0(VALU_DEP_3) | instskip(NEXT) | instid1(VALU_DEP_2)
	v_add_nc_u64_e32 v[0:1], s[4:5], v[6:7]
	v_cvt_f16_f32_e32 v2, v2
	s_cbranch_scc1 .LBB24_22
; %bb.16:
	s_and_b32 s12, 0xffff, s1
	s_delay_alu instid0(SALU_CYCLE_1)
	s_cmp_gt_i32 s12, 25
	s_cbranch_scc0 .LBB24_63
; %bb.17:
	s_cmp_gt_i32 s12, 28
	s_cbranch_scc0 .LBB24_65
; %bb.18:
	;; [unrolled: 3-line block ×4, first 2 shown]
	s_mov_b32 s18, 0
	s_mov_b32 s0, -1
	s_cmp_eq_u32 s12, 46
	s_cbranch_scc0 .LBB24_74
; %bb.21:
	v_cvt_f32_f16_e32 v3, v2
	v_cmp_o_f16_e32 vcc_lo, v2, v2
	s_mov_b32 s17, -1
	s_mov_b32 s0, 0
	s_delay_alu instid0(VALU_DEP_2) | instskip(NEXT) | instid1(VALU_DEP_1)
	v_bfe_u32 v5, v3, 16, 1
	v_add3_u32 v3, v3, v5, 0x7fff
	s_delay_alu instid0(VALU_DEP_1) | instskip(NEXT) | instid1(VALU_DEP_1)
	v_lshrrev_b32_e32 v3, 16, v3
	v_cndmask_b32_e32 v3, 0x7fc0, v3, vcc_lo
	global_store_b32 v[0:1], v3, off
	s_branch .LBB24_74
.LBB24_22:
	s_and_b32 vcc_lo, exec_lo, s12
	s_cbranch_vccz .LBB24_143
; %bb.23:
	s_and_b32 s1, 0xffff, s1
	s_mov_b32 s12, -1
	s_cmp_lt_i32 s1, 5
	s_cbranch_scc1 .LBB24_44
; %bb.24:
	s_cmp_lt_i32 s1, 8
	s_cbranch_scc1 .LBB24_34
; %bb.25:
	;; [unrolled: 3-line block ×3, first 2 shown]
	s_cmp_gt_i32 s1, 9
	s_cbranch_scc0 .LBB24_28
; %bb.27:
	s_wait_xcnt 0x0
	v_cvt_f32_f16_e32 v3, v2
	v_mov_b32_e32 v8, 0
	s_mov_b32 s12, 0
	s_delay_alu instid0(VALU_DEP_2) | instskip(NEXT) | instid1(VALU_DEP_2)
	v_cvt_f64_f32_e32 v[6:7], v3
	v_mov_b32_e32 v9, v8
	global_store_b128 v[0:1], v[6:9], off
.LBB24_28:
	s_and_not1_b32 vcc_lo, exec_lo, s12
	s_cbranch_vccnz .LBB24_30
; %bb.29:
	s_wait_xcnt 0x0
	v_cvt_f32_f16_e32 v6, v2
	v_mov_b32_e32 v7, 0
	global_store_b64 v[0:1], v[6:7], off
.LBB24_30:
	s_mov_b32 s12, 0
.LBB24_31:
	s_delay_alu instid0(SALU_CYCLE_1)
	s_and_not1_b32 vcc_lo, exec_lo, s12
	s_cbranch_vccnz .LBB24_33
; %bb.32:
	s_wait_xcnt 0x0
	v_and_b32_e32 v3, 0xffff, v2
	global_store_b32 v[0:1], v3, off
.LBB24_33:
	s_mov_b32 s12, 0
.LBB24_34:
	s_delay_alu instid0(SALU_CYCLE_1)
	s_and_not1_b32 vcc_lo, exec_lo, s12
	s_cbranch_vccnz .LBB24_43
; %bb.35:
	s_cmp_lt_i32 s1, 6
	s_mov_b32 s12, -1
	s_cbranch_scc1 .LBB24_41
; %bb.36:
	s_cmp_gt_i32 s1, 6
	s_cbranch_scc0 .LBB24_38
; %bb.37:
	s_wait_xcnt 0x0
	v_cvt_f32_f16_e32 v3, v2
	s_mov_b32 s12, 0
	s_delay_alu instid0(VALU_DEP_1)
	v_cvt_f64_f32_e32 v[6:7], v3
	global_store_b64 v[0:1], v[6:7], off
.LBB24_38:
	s_and_not1_b32 vcc_lo, exec_lo, s12
	s_cbranch_vccnz .LBB24_40
; %bb.39:
	s_wait_xcnt 0x0
	v_cvt_f32_f16_e32 v3, v2
	global_store_b32 v[0:1], v3, off
.LBB24_40:
	s_mov_b32 s12, 0
.LBB24_41:
	s_delay_alu instid0(SALU_CYCLE_1)
	s_and_not1_b32 vcc_lo, exec_lo, s12
	s_cbranch_vccnz .LBB24_43
; %bb.42:
	global_store_b16 v[0:1], v2, off
.LBB24_43:
	s_mov_b32 s12, 0
.LBB24_44:
	s_delay_alu instid0(SALU_CYCLE_1)
	s_and_not1_b32 vcc_lo, exec_lo, s12
	s_cbranch_vccnz .LBB24_60
; %bb.45:
	s_cmp_lt_i32 s1, 2
	s_mov_b32 s12, -1
	s_cbranch_scc1 .LBB24_55
; %bb.46:
	s_cmp_lt_i32 s1, 3
	s_cbranch_scc1 .LBB24_52
; %bb.47:
	s_cmp_gt_i32 s1, 3
	s_cbranch_scc0 .LBB24_49
; %bb.48:
	s_wait_xcnt 0x0
	v_cvt_f32_f16_e32 v3, v2
	s_mov_b32 s12, 0
	s_delay_alu instid0(VALU_DEP_1) | instskip(NEXT) | instid1(VALU_DEP_1)
	v_cvt_i32_f32_e32 v6, v3
	v_ashrrev_i32_e32 v7, 31, v6
	global_store_b64 v[0:1], v[6:7], off
.LBB24_49:
	s_and_not1_b32 vcc_lo, exec_lo, s12
	s_cbranch_vccnz .LBB24_51
; %bb.50:
	s_wait_xcnt 0x0
	v_cvt_f32_f16_e32 v3, v2
	s_delay_alu instid0(VALU_DEP_1)
	v_cvt_i32_f32_e32 v3, v3
	global_store_b32 v[0:1], v3, off
.LBB24_51:
	s_mov_b32 s12, 0
.LBB24_52:
	s_delay_alu instid0(SALU_CYCLE_1)
	s_and_not1_b32 vcc_lo, exec_lo, s12
	s_cbranch_vccnz .LBB24_54
; %bb.53:
	s_wait_xcnt 0x0
	v_cvt_i16_f16_e32 v3, v2
	global_store_b16 v[0:1], v3, off
.LBB24_54:
	s_mov_b32 s12, 0
.LBB24_55:
	s_delay_alu instid0(SALU_CYCLE_1)
	s_and_not1_b32 vcc_lo, exec_lo, s12
	s_cbranch_vccnz .LBB24_60
; %bb.56:
	s_cmp_gt_i32 s1, 0
	s_mov_b32 s1, -1
	s_cbranch_scc0 .LBB24_58
; %bb.57:
	s_wait_xcnt 0x0
	v_cvt_i16_f16_e32 v3, v2
	s_mov_b32 s1, 0
	global_store_b8 v[0:1], v3, off
.LBB24_58:
	s_and_not1_b32 vcc_lo, exec_lo, s1
	s_cbranch_vccnz .LBB24_60
; %bb.59:
	s_wait_xcnt 0x0
	v_cvt_f32_f16_e32 v2, v2
	s_delay_alu instid0(VALU_DEP_1)
	v_cvt_i32_f32_e32 v2, v2
	global_store_b8 v[0:1], v2, off
.LBB24_60:
	s_branch .LBB24_144
.LBB24_61:
	s_mov_b32 s1, 0
                                        ; implicit-def: $vgpr2
	s_cbranch_execnz .LBB24_171
	s_branch .LBB24_205
.LBB24_62:
	s_mov_b32 s12, -1
	s_mov_b32 s1, 0
                                        ; implicit-def: $vgpr2
	s_branch .LBB24_152
.LBB24_63:
	s_mov_b32 s18, -1
	s_branch .LBB24_101
.LBB24_64:
	s_mov_b32 s12, -1
	s_mov_b32 s1, 0
                                        ; implicit-def: $vgpr2
	s_branch .LBB24_147
.LBB24_65:
	s_mov_b32 s18, -1
	s_branch .LBB24_84
.LBB24_66:
	s_mov_b32 s12, -1
	s_branch .LBB24_69
.LBB24_67:
	s_mov_b32 s18, -1
	s_branch .LBB24_80
.LBB24_68:
	s_mov_b32 s14, -1
.LBB24_69:
	s_mov_b32 s1, 0
                                        ; implicit-def: $vgpr2
.LBB24_70:
	s_and_b32 vcc_lo, exec_lo, s12
	s_cbranch_vccz .LBB24_146
; %bb.71:
	s_cmp_eq_u32 s0, 44
	s_cbranch_scc0 .LBB24_145
; %bb.72:
	global_load_u8 v2, v[0:1], off
	s_mov_b32 s14, 0
	s_mov_b32 s1, -1
	s_wait_loadcnt 0x0
	v_lshlrev_b32_e32 v3, 23, v2
	v_cmp_ne_u32_e32 vcc_lo, 0xff, v2
	s_delay_alu instid0(VALU_DEP_2) | instskip(NEXT) | instid1(VALU_DEP_1)
	v_cvt_f16_f32_e32 v3, v3
	v_cndmask_b32_e32 v3, 0x7e00, v3, vcc_lo
	v_cmp_ne_u32_e32 vcc_lo, 0, v2
	s_delay_alu instid0(VALU_DEP_2)
	v_cndmask_b32_e32 v2, 0, v3, vcc_lo
	s_branch .LBB24_146
.LBB24_73:
	s_mov_b32 s18, -1
.LBB24_74:
	s_delay_alu instid0(SALU_CYCLE_1)
	s_and_b32 vcc_lo, exec_lo, s18
	s_cbranch_vccz .LBB24_79
; %bb.75:
	s_cmp_eq_u32 s12, 44
	s_mov_b32 s0, -1
	s_cbranch_scc0 .LBB24_79
; %bb.76:
	s_wait_xcnt 0x0
	v_cvt_f32_f16_e32 v3, v2
	v_mov_b32_e32 v5, 0xff
	s_mov_b32 s17, exec_lo
	s_delay_alu instid0(VALU_DEP_2) | instskip(NEXT) | instid1(VALU_DEP_1)
	v_bfe_u32 v6, v3, 23, 8
	v_cmpx_ne_u32_e32 0xff, v6
	s_cbranch_execz .LBB24_78
; %bb.77:
	v_and_b32_e32 v5, 0x400000, v3
	v_and_or_b32 v6, 0x3fffff, v3, v6
	v_lshrrev_b32_e32 v3, 23, v3
	s_delay_alu instid0(VALU_DEP_3) | instskip(NEXT) | instid1(VALU_DEP_3)
	v_cmp_ne_u32_e32 vcc_lo, 0, v5
	v_cmp_ne_u32_e64 s0, 0, v6
	s_and_b32 s0, vcc_lo, s0
	s_delay_alu instid0(SALU_CYCLE_1) | instskip(NEXT) | instid1(VALU_DEP_1)
	v_cndmask_b32_e64 v5, 0, 1, s0
	v_add_nc_u32_e32 v5, v3, v5
.LBB24_78:
	s_or_b32 exec_lo, exec_lo, s17
	s_mov_b32 s17, -1
	s_mov_b32 s0, 0
	global_store_b8 v[0:1], v5, off
.LBB24_79:
	s_mov_b32 s18, 0
.LBB24_80:
	s_delay_alu instid0(SALU_CYCLE_1)
	s_and_b32 vcc_lo, exec_lo, s18
	s_cbranch_vccz .LBB24_83
; %bb.81:
	s_cmp_eq_u32 s12, 29
	s_mov_b32 s0, -1
	s_cbranch_scc0 .LBB24_83
; %bb.82:
	s_wait_xcnt 0x0
	v_cvt_f32_f16_e32 v3, v2
	v_mov_b32_e32 v7, 0
	s_mov_b32 s17, -1
	s_mov_b32 s0, 0
	s_mov_b32 s18, 0
	v_cvt_u32_f32_e32 v6, v3
	global_store_b64 v[0:1], v[6:7], off
	s_branch .LBB24_84
.LBB24_83:
	s_mov_b32 s18, 0
.LBB24_84:
	s_delay_alu instid0(SALU_CYCLE_1)
	s_and_b32 vcc_lo, exec_lo, s18
	s_cbranch_vccz .LBB24_100
; %bb.85:
	s_cmp_lt_i32 s12, 27
	s_mov_b32 s17, -1
	s_cbranch_scc1 .LBB24_91
; %bb.86:
	s_cmp_gt_i32 s12, 27
	s_cbranch_scc0 .LBB24_88
; %bb.87:
	s_wait_xcnt 0x0
	v_cvt_f32_f16_e32 v3, v2
	s_mov_b32 s17, 0
	s_delay_alu instid0(VALU_DEP_1)
	v_cvt_u32_f32_e32 v3, v3
	global_store_b32 v[0:1], v3, off
.LBB24_88:
	s_and_not1_b32 vcc_lo, exec_lo, s17
	s_cbranch_vccnz .LBB24_90
; %bb.89:
	s_wait_xcnt 0x0
	v_cvt_u16_f16_e32 v3, v2
	global_store_b16 v[0:1], v3, off
.LBB24_90:
	s_mov_b32 s17, 0
.LBB24_91:
	s_delay_alu instid0(SALU_CYCLE_1)
	s_and_not1_b32 vcc_lo, exec_lo, s17
	s_cbranch_vccnz .LBB24_99
; %bb.92:
	s_wait_xcnt 0x0
	v_cvt_f32_f16_e32 v3, v2
	v_mov_b32_e32 v6, 0x80
	s_mov_b32 s17, exec_lo
	s_delay_alu instid0(VALU_DEP_2) | instskip(NEXT) | instid1(VALU_DEP_1)
	v_and_b32_e32 v5, 0x7fffffff, v3
	v_cmpx_gt_u32_e32 0x43800000, v5
	s_cbranch_execz .LBB24_98
; %bb.93:
	v_cmp_lt_u32_e32 vcc_lo, 0x3bffffff, v5
	s_mov_b32 s18, 0
                                        ; implicit-def: $vgpr5
	s_and_saveexec_b32 s19, vcc_lo
	s_delay_alu instid0(SALU_CYCLE_1)
	s_xor_b32 s19, exec_lo, s19
	s_cbranch_execz .LBB24_326
; %bb.94:
	v_bfe_u32 v5, v3, 20, 1
	s_mov_b32 s18, exec_lo
	s_delay_alu instid0(VALU_DEP_1) | instskip(NEXT) | instid1(VALU_DEP_1)
	v_add3_u32 v5, v3, v5, 0x487ffff
	v_lshrrev_b32_e32 v5, 20, v5
	s_and_not1_saveexec_b32 s19, s19
	s_cbranch_execnz .LBB24_327
.LBB24_95:
	s_or_b32 exec_lo, exec_lo, s19
	v_mov_b32_e32 v6, 0
	s_and_saveexec_b32 s19, s18
.LBB24_96:
	v_lshrrev_b32_e32 v3, 24, v3
	s_delay_alu instid0(VALU_DEP_1)
	v_and_or_b32 v6, 0x80, v3, v5
.LBB24_97:
	s_or_b32 exec_lo, exec_lo, s19
.LBB24_98:
	s_delay_alu instid0(SALU_CYCLE_1)
	s_or_b32 exec_lo, exec_lo, s17
	global_store_b8 v[0:1], v6, off
.LBB24_99:
	s_mov_b32 s17, -1
.LBB24_100:
	s_mov_b32 s18, 0
.LBB24_101:
	s_delay_alu instid0(SALU_CYCLE_1)
	s_and_b32 vcc_lo, exec_lo, s18
	s_cbranch_vccz .LBB24_142
; %bb.102:
	s_cmp_gt_i32 s12, 22
	s_mov_b32 s18, -1
	s_cbranch_scc0 .LBB24_134
; %bb.103:
	s_cmp_lt_i32 s12, 24
	s_mov_b32 s17, -1
	s_cbranch_scc1 .LBB24_123
; %bb.104:
	s_cmp_gt_i32 s12, 24
	s_cbranch_scc0 .LBB24_112
; %bb.105:
	s_wait_xcnt 0x0
	v_cvt_f32_f16_e32 v3, v2
	v_mov_b32_e32 v6, 0x80
	s_mov_b32 s17, exec_lo
	s_delay_alu instid0(VALU_DEP_2) | instskip(NEXT) | instid1(VALU_DEP_1)
	v_and_b32_e32 v5, 0x7fffffff, v3
	v_cmpx_gt_u32_e32 0x47800000, v5
	s_cbranch_execz .LBB24_111
; %bb.106:
	v_cmp_lt_u32_e32 vcc_lo, 0x37ffffff, v5
	s_mov_b32 s18, 0
                                        ; implicit-def: $vgpr5
	s_and_saveexec_b32 s19, vcc_lo
	s_delay_alu instid0(SALU_CYCLE_1)
	s_xor_b32 s19, exec_lo, s19
	s_cbranch_execz .LBB24_330
; %bb.107:
	v_bfe_u32 v5, v3, 21, 1
	s_mov_b32 s18, exec_lo
	s_delay_alu instid0(VALU_DEP_1) | instskip(NEXT) | instid1(VALU_DEP_1)
	v_add3_u32 v5, v3, v5, 0x88fffff
	v_lshrrev_b32_e32 v5, 21, v5
	s_and_not1_saveexec_b32 s19, s19
	s_cbranch_execnz .LBB24_331
.LBB24_108:
	s_or_b32 exec_lo, exec_lo, s19
	v_mov_b32_e32 v6, 0
	s_and_saveexec_b32 s19, s18
.LBB24_109:
	v_lshrrev_b32_e32 v3, 24, v3
	s_delay_alu instid0(VALU_DEP_1)
	v_and_or_b32 v6, 0x80, v3, v5
.LBB24_110:
	s_or_b32 exec_lo, exec_lo, s19
.LBB24_111:
	s_delay_alu instid0(SALU_CYCLE_1)
	s_or_b32 exec_lo, exec_lo, s17
	s_mov_b32 s17, 0
	global_store_b8 v[0:1], v6, off
.LBB24_112:
	s_and_b32 vcc_lo, exec_lo, s17
	s_cbranch_vccz .LBB24_122
; %bb.113:
	s_wait_xcnt 0x0
	v_cvt_f32_f16_e32 v3, v2
	s_mov_b32 s17, exec_lo
                                        ; implicit-def: $vgpr5
	s_delay_alu instid0(VALU_DEP_1) | instskip(NEXT) | instid1(VALU_DEP_1)
	v_and_b32_e32 v6, 0x7fffffff, v3
	v_cmpx_gt_u32_e32 0x43f00000, v6
	s_xor_b32 s17, exec_lo, s17
	s_cbranch_execz .LBB24_119
; %bb.114:
	s_mov_b32 s18, exec_lo
                                        ; implicit-def: $vgpr5
	v_cmpx_lt_u32_e32 0x3c7fffff, v6
	s_xor_b32 s18, exec_lo, s18
; %bb.115:
	v_bfe_u32 v5, v3, 20, 1
	s_delay_alu instid0(VALU_DEP_1) | instskip(NEXT) | instid1(VALU_DEP_1)
	v_add3_u32 v5, v3, v5, 0x407ffff
	v_and_b32_e32 v6, 0xff00000, v5
	v_lshrrev_b32_e32 v5, 20, v5
	s_delay_alu instid0(VALU_DEP_2) | instskip(NEXT) | instid1(VALU_DEP_2)
	v_cmp_ne_u32_e32 vcc_lo, 0x7f00000, v6
	v_cndmask_b32_e32 v5, 0x7e, v5, vcc_lo
; %bb.116:
	s_and_not1_saveexec_b32 s18, s18
; %bb.117:
	v_add_f32_e64 v5, 0x46800000, |v3|
; %bb.118:
	s_or_b32 exec_lo, exec_lo, s18
                                        ; implicit-def: $vgpr6
.LBB24_119:
	s_and_not1_saveexec_b32 s17, s17
; %bb.120:
	v_mov_b32_e32 v5, 0x7f
	v_cmp_lt_u32_e32 vcc_lo, 0x7f800000, v6
	s_delay_alu instid0(VALU_DEP_2)
	v_cndmask_b32_e32 v5, 0x7e, v5, vcc_lo
; %bb.121:
	s_or_b32 exec_lo, exec_lo, s17
	v_lshrrev_b32_e32 v3, 24, v3
	s_delay_alu instid0(VALU_DEP_1)
	v_and_or_b32 v3, 0x80, v3, v5
	global_store_b8 v[0:1], v3, off
.LBB24_122:
	s_mov_b32 s17, 0
.LBB24_123:
	s_delay_alu instid0(SALU_CYCLE_1)
	s_and_not1_b32 vcc_lo, exec_lo, s17
	s_cbranch_vccnz .LBB24_133
; %bb.124:
	s_wait_xcnt 0x0
	v_cvt_f32_f16_e32 v3, v2
	s_mov_b32 s17, exec_lo
                                        ; implicit-def: $vgpr5
	s_delay_alu instid0(VALU_DEP_1) | instskip(NEXT) | instid1(VALU_DEP_1)
	v_and_b32_e32 v6, 0x7fffffff, v3
	v_cmpx_gt_u32_e32 0x47800000, v6
	s_xor_b32 s17, exec_lo, s17
	s_cbranch_execz .LBB24_130
; %bb.125:
	s_mov_b32 s18, exec_lo
                                        ; implicit-def: $vgpr5
	v_cmpx_lt_u32_e32 0x387fffff, v6
	s_xor_b32 s18, exec_lo, s18
; %bb.126:
	v_bfe_u32 v5, v3, 21, 1
	s_delay_alu instid0(VALU_DEP_1) | instskip(NEXT) | instid1(VALU_DEP_1)
	v_add3_u32 v5, v3, v5, 0x80fffff
	v_lshrrev_b32_e32 v5, 21, v5
; %bb.127:
	s_and_not1_saveexec_b32 s18, s18
; %bb.128:
	v_add_f32_e64 v5, 0x43000000, |v3|
; %bb.129:
	s_or_b32 exec_lo, exec_lo, s18
                                        ; implicit-def: $vgpr6
.LBB24_130:
	s_and_not1_saveexec_b32 s17, s17
; %bb.131:
	v_mov_b32_e32 v5, 0x7f
	v_cmp_lt_u32_e32 vcc_lo, 0x7f800000, v6
	s_delay_alu instid0(VALU_DEP_2)
	v_cndmask_b32_e32 v5, 0x7c, v5, vcc_lo
; %bb.132:
	s_or_b32 exec_lo, exec_lo, s17
	v_lshrrev_b32_e32 v3, 24, v3
	s_delay_alu instid0(VALU_DEP_1)
	v_and_or_b32 v3, 0x80, v3, v5
	global_store_b8 v[0:1], v3, off
.LBB24_133:
	s_mov_b32 s18, 0
	s_mov_b32 s17, -1
.LBB24_134:
	s_and_not1_b32 vcc_lo, exec_lo, s18
	s_cbranch_vccnz .LBB24_142
; %bb.135:
	s_cmp_gt_i32 s12, 14
	s_mov_b32 s18, -1
	s_cbranch_scc0 .LBB24_139
; %bb.136:
	s_cmp_eq_u32 s12, 15
	s_mov_b32 s0, -1
	s_cbranch_scc0 .LBB24_138
; %bb.137:
	s_wait_xcnt 0x0
	v_cvt_f32_f16_e32 v3, v2
	v_cmp_o_f16_e32 vcc_lo, v2, v2
	s_mov_b32 s17, -1
	s_mov_b32 s0, 0
	s_delay_alu instid0(VALU_DEP_2) | instskip(NEXT) | instid1(VALU_DEP_1)
	v_bfe_u32 v5, v3, 16, 1
	v_add3_u32 v3, v3, v5, 0x7fff
	s_delay_alu instid0(VALU_DEP_1) | instskip(NEXT) | instid1(VALU_DEP_1)
	v_lshrrev_b32_e32 v3, 16, v3
	v_cndmask_b32_e32 v3, 0x7fc0, v3, vcc_lo
	global_store_b16 v[0:1], v3, off
.LBB24_138:
	s_mov_b32 s18, 0
.LBB24_139:
	s_delay_alu instid0(SALU_CYCLE_1)
	s_and_b32 vcc_lo, exec_lo, s18
	s_cbranch_vccz .LBB24_142
; %bb.140:
	s_cmp_eq_u32 s12, 11
	s_mov_b32 s0, -1
	s_cbranch_scc0 .LBB24_142
; %bb.141:
	v_cmp_neq_f16_e32 vcc_lo, 0, v2
	s_mov_b32 s0, 0
	s_mov_b32 s17, -1
	s_wait_xcnt 0x0
	v_cndmask_b32_e64 v3, 0, 1, vcc_lo
	global_store_b8 v[0:1], v3, off
.LBB24_142:
.LBB24_143:
	s_and_not1_b32 vcc_lo, exec_lo, s17
	s_cbranch_vccnz .LBB24_254
.LBB24_144:
	v_add_nc_u32_e32 v4, 0x80, v4
	s_mov_b32 s1, -1
	s_branch .LBB24_255
.LBB24_145:
	s_mov_b32 s14, -1
                                        ; implicit-def: $vgpr2
.LBB24_146:
	s_mov_b32 s12, 0
.LBB24_147:
	s_delay_alu instid0(SALU_CYCLE_1)
	s_and_b32 vcc_lo, exec_lo, s12
	s_cbranch_vccz .LBB24_151
; %bb.148:
	s_cmp_eq_u32 s0, 29
	s_cbranch_scc0 .LBB24_150
; %bb.149:
	global_load_b64 v[2:3], v[0:1], off
	s_mov_b32 s1, -1
	s_mov_b32 s14, 0
	s_mov_b32 s12, 0
	s_wait_loadcnt 0x0
	v_clz_i32_u32_e32 v5, v3
	s_delay_alu instid0(VALU_DEP_1) | instskip(NEXT) | instid1(VALU_DEP_1)
	v_min_u32_e32 v5, 32, v5
	v_lshlrev_b64_e32 v[2:3], v5, v[2:3]
	s_delay_alu instid0(VALU_DEP_1) | instskip(NEXT) | instid1(VALU_DEP_1)
	v_min_u32_e32 v2, 1, v2
	v_dual_sub_nc_u32 v3, 32, v5 :: v_dual_bitop2_b32 v2, v3, v2 bitop3:0x54
	s_delay_alu instid0(VALU_DEP_1) | instskip(NEXT) | instid1(VALU_DEP_1)
	v_cvt_f32_u32_e32 v2, v2
	v_ldexp_f32 v2, v2, v3
	s_delay_alu instid0(VALU_DEP_1)
	v_cvt_f16_f32_e32 v2, v2
	s_branch .LBB24_152
.LBB24_150:
	s_mov_b32 s14, -1
                                        ; implicit-def: $vgpr2
.LBB24_151:
	s_mov_b32 s12, 0
.LBB24_152:
	s_delay_alu instid0(SALU_CYCLE_1)
	s_and_b32 vcc_lo, exec_lo, s12
	s_cbranch_vccz .LBB24_170
; %bb.153:
	s_cmp_lt_i32 s0, 27
	s_cbranch_scc1 .LBB24_156
; %bb.154:
	s_cmp_gt_i32 s0, 27
	s_cbranch_scc0 .LBB24_157
; %bb.155:
	global_load_b32 v2, v[0:1], off
	s_mov_b32 s1, 0
	s_wait_loadcnt 0x0
	v_cvt_f32_u32_e32 v2, v2
	s_delay_alu instid0(VALU_DEP_1)
	v_cvt_f16_f32_e32 v2, v2
	s_branch .LBB24_158
.LBB24_156:
	s_mov_b32 s1, -1
                                        ; implicit-def: $vgpr2
	s_branch .LBB24_161
.LBB24_157:
	s_mov_b32 s1, -1
                                        ; implicit-def: $vgpr2
.LBB24_158:
	s_delay_alu instid0(SALU_CYCLE_1)
	s_and_not1_b32 vcc_lo, exec_lo, s1
	s_cbranch_vccnz .LBB24_160
; %bb.159:
	global_load_u16 v2, v[0:1], off
	s_wait_loadcnt 0x0
	v_cvt_f16_u16_e32 v2, v2
.LBB24_160:
	s_mov_b32 s1, 0
.LBB24_161:
	s_delay_alu instid0(SALU_CYCLE_1)
	s_and_not1_b32 vcc_lo, exec_lo, s1
	s_cbranch_vccnz .LBB24_169
; %bb.162:
	global_load_u8 v3, v[0:1], off
	s_mov_b32 s1, 0
	s_mov_b32 s12, exec_lo
	s_wait_loadcnt 0x0
	v_cmpx_lt_i16_e32 0x7f, v3
	s_xor_b32 s12, exec_lo, s12
	s_cbranch_execz .LBB24_182
; %bb.163:
	s_mov_b32 s1, -1
	s_mov_b32 s17, exec_lo
	v_cmpx_eq_u16_e32 0x80, v3
; %bb.164:
	s_xor_b32 s1, exec_lo, -1
; %bb.165:
	s_or_b32 exec_lo, exec_lo, s17
	s_delay_alu instid0(SALU_CYCLE_1)
	s_and_b32 s1, s1, exec_lo
	s_or_saveexec_b32 s12, s12
	v_mov_b32_e32 v2, 0x7e00
	s_xor_b32 exec_lo, exec_lo, s12
	s_cbranch_execnz .LBB24_183
.LBB24_166:
	s_or_b32 exec_lo, exec_lo, s12
	s_and_saveexec_b32 s12, s1
	s_cbranch_execz .LBB24_168
.LBB24_167:
	v_and_b32_e32 v2, 0xffff, v3
	s_delay_alu instid0(VALU_DEP_1) | instskip(SKIP_1) | instid1(VALU_DEP_2)
	v_dual_lshlrev_b32 v3, 24, v3 :: v_dual_bitop2_b32 v5, 7, v2 bitop3:0x40
	v_bfe_u32 v8, v2, 3, 4
	v_and_b32_e32 v3, 0x80000000, v3
	s_delay_alu instid0(VALU_DEP_3) | instskip(NEXT) | instid1(VALU_DEP_3)
	v_clz_i32_u32_e32 v6, v5
	v_cmp_eq_u32_e32 vcc_lo, 0, v8
	s_delay_alu instid0(VALU_DEP_2) | instskip(NEXT) | instid1(VALU_DEP_1)
	v_min_u32_e32 v6, 32, v6
	v_subrev_nc_u32_e32 v7, 28, v6
	v_sub_nc_u32_e32 v6, 29, v6
	s_delay_alu instid0(VALU_DEP_2) | instskip(NEXT) | instid1(VALU_DEP_2)
	v_lshlrev_b32_e32 v2, v7, v2
	v_cndmask_b32_e32 v6, v8, v6, vcc_lo
	s_delay_alu instid0(VALU_DEP_2) | instskip(NEXT) | instid1(VALU_DEP_1)
	v_and_b32_e32 v2, 7, v2
	v_cndmask_b32_e32 v2, v5, v2, vcc_lo
	s_delay_alu instid0(VALU_DEP_3) | instskip(NEXT) | instid1(VALU_DEP_2)
	v_lshl_add_u32 v5, v6, 23, 0x3b800000
	v_lshlrev_b32_e32 v2, 20, v2
	s_delay_alu instid0(VALU_DEP_1) | instskip(NEXT) | instid1(VALU_DEP_1)
	v_or3_b32 v2, v3, v5, v2
	v_cvt_f16_f32_e32 v2, v2
.LBB24_168:
	s_or_b32 exec_lo, exec_lo, s12
.LBB24_169:
	s_mov_b32 s1, -1
.LBB24_170:
	s_branch .LBB24_205
.LBB24_171:
	s_cmp_gt_i32 s0, 22
	s_cbranch_scc0 .LBB24_181
; %bb.172:
	s_cmp_lt_i32 s0, 24
	s_cbranch_scc1 .LBB24_184
; %bb.173:
	s_cmp_gt_i32 s0, 24
	s_cbranch_scc0 .LBB24_185
; %bb.174:
	global_load_u8 v3, v[0:1], off
	s_mov_b32 s1, 0
	s_mov_b32 s12, exec_lo
	s_wait_loadcnt 0x0
	v_cmpx_lt_i16_e32 0x7f, v3
	s_xor_b32 s12, exec_lo, s12
	s_cbranch_execz .LBB24_197
; %bb.175:
	s_mov_b32 s1, -1
	s_mov_b32 s17, exec_lo
	v_cmpx_eq_u16_e32 0x80, v3
; %bb.176:
	s_xor_b32 s1, exec_lo, -1
; %bb.177:
	s_or_b32 exec_lo, exec_lo, s17
	s_delay_alu instid0(SALU_CYCLE_1)
	s_and_b32 s1, s1, exec_lo
	s_or_saveexec_b32 s12, s12
	v_mov_b32_e32 v2, 0x7e00
	s_xor_b32 exec_lo, exec_lo, s12
	s_cbranch_execnz .LBB24_198
.LBB24_178:
	s_or_b32 exec_lo, exec_lo, s12
	s_and_saveexec_b32 s12, s1
	s_cbranch_execz .LBB24_180
.LBB24_179:
	v_and_b32_e32 v2, 0xffff, v3
	s_delay_alu instid0(VALU_DEP_1) | instskip(SKIP_1) | instid1(VALU_DEP_2)
	v_dual_lshlrev_b32 v3, 24, v3 :: v_dual_bitop2_b32 v5, 3, v2 bitop3:0x40
	v_bfe_u32 v8, v2, 2, 5
	v_and_b32_e32 v3, 0x80000000, v3
	s_delay_alu instid0(VALU_DEP_3) | instskip(NEXT) | instid1(VALU_DEP_3)
	v_clz_i32_u32_e32 v6, v5
	v_cmp_eq_u32_e32 vcc_lo, 0, v8
	s_delay_alu instid0(VALU_DEP_2) | instskip(NEXT) | instid1(VALU_DEP_1)
	v_min_u32_e32 v6, 32, v6
	v_subrev_nc_u32_e32 v7, 29, v6
	v_sub_nc_u32_e32 v6, 30, v6
	s_delay_alu instid0(VALU_DEP_2) | instskip(NEXT) | instid1(VALU_DEP_2)
	v_lshlrev_b32_e32 v2, v7, v2
	v_cndmask_b32_e32 v6, v8, v6, vcc_lo
	s_delay_alu instid0(VALU_DEP_2) | instskip(NEXT) | instid1(VALU_DEP_1)
	v_and_b32_e32 v2, 3, v2
	v_cndmask_b32_e32 v2, v5, v2, vcc_lo
	s_delay_alu instid0(VALU_DEP_3) | instskip(NEXT) | instid1(VALU_DEP_2)
	v_lshl_add_u32 v5, v6, 23, 0x37800000
	v_lshlrev_b32_e32 v2, 21, v2
	s_delay_alu instid0(VALU_DEP_1) | instskip(NEXT) | instid1(VALU_DEP_1)
	v_or3_b32 v2, v3, v5, v2
	v_cvt_f16_f32_e32 v2, v2
.LBB24_180:
	s_or_b32 exec_lo, exec_lo, s12
	s_mov_b32 s1, 0
	s_branch .LBB24_186
.LBB24_181:
	s_mov_b32 s12, -1
                                        ; implicit-def: $vgpr2
	s_branch .LBB24_192
.LBB24_182:
	s_or_saveexec_b32 s12, s12
	v_mov_b32_e32 v2, 0x7e00
	s_xor_b32 exec_lo, exec_lo, s12
	s_cbranch_execz .LBB24_166
.LBB24_183:
	v_cmp_ne_u16_e32 vcc_lo, 0, v3
	v_mov_b32_e32 v2, v3
	s_and_not1_b32 s1, s1, exec_lo
	s_and_b32 s17, vcc_lo, exec_lo
	s_delay_alu instid0(SALU_CYCLE_1)
	s_or_b32 s1, s1, s17
	s_or_b32 exec_lo, exec_lo, s12
	s_and_saveexec_b32 s12, s1
	s_cbranch_execnz .LBB24_167
	s_branch .LBB24_168
.LBB24_184:
	s_mov_b32 s1, -1
                                        ; implicit-def: $vgpr2
	s_branch .LBB24_189
.LBB24_185:
	s_mov_b32 s1, -1
                                        ; implicit-def: $vgpr2
.LBB24_186:
	s_delay_alu instid0(SALU_CYCLE_1)
	s_and_b32 vcc_lo, exec_lo, s1
	s_cbranch_vccz .LBB24_188
; %bb.187:
	global_load_u8 v2, v[0:1], off
	s_wait_loadcnt 0x0
	v_lshlrev_b32_e32 v2, 24, v2
	s_delay_alu instid0(VALU_DEP_1) | instskip(NEXT) | instid1(VALU_DEP_1)
	v_and_b32_e32 v3, 0x7f000000, v2
	v_clz_i32_u32_e32 v5, v3
	v_add_nc_u32_e32 v7, 0x1000000, v3
	v_cmp_ne_u32_e32 vcc_lo, 0, v3
	s_delay_alu instid0(VALU_DEP_3) | instskip(NEXT) | instid1(VALU_DEP_1)
	v_min_u32_e32 v5, 32, v5
	v_sub_nc_u32_e64 v5, v5, 4 clamp
	s_delay_alu instid0(VALU_DEP_1) | instskip(NEXT) | instid1(VALU_DEP_1)
	v_dual_lshlrev_b32 v6, v5, v3 :: v_dual_lshlrev_b32 v5, 23, v5
	v_lshrrev_b32_e32 v6, 4, v6
	s_delay_alu instid0(VALU_DEP_1) | instskip(NEXT) | instid1(VALU_DEP_1)
	v_dual_sub_nc_u32 v5, v6, v5 :: v_dual_ashrrev_i32 v6, 8, v7
	v_add_nc_u32_e32 v5, 0x3c000000, v5
	s_delay_alu instid0(VALU_DEP_1) | instskip(NEXT) | instid1(VALU_DEP_1)
	v_and_or_b32 v5, 0x7f800000, v6, v5
	v_cndmask_b32_e32 v3, 0, v5, vcc_lo
	s_delay_alu instid0(VALU_DEP_1) | instskip(NEXT) | instid1(VALU_DEP_1)
	v_and_or_b32 v2, 0x80000000, v2, v3
	v_cvt_f16_f32_e32 v2, v2
.LBB24_188:
	s_mov_b32 s1, 0
.LBB24_189:
	s_delay_alu instid0(SALU_CYCLE_1)
	s_and_not1_b32 vcc_lo, exec_lo, s1
	s_cbranch_vccnz .LBB24_191
; %bb.190:
	global_load_u8 v2, v[0:1], off
	s_wait_loadcnt 0x0
	v_lshlrev_b32_e32 v3, 25, v2
	v_lshlrev_b16 v2, 8, v2
	s_delay_alu instid0(VALU_DEP_2) | instskip(NEXT) | instid1(VALU_DEP_2)
	v_cmp_gt_u32_e32 vcc_lo, 0x8000000, v3
	v_and_or_b32 v6, 0x7f00, v2, 0.5
	v_lshrrev_b32_e32 v5, 4, v3
	v_bfe_i32 v2, v2, 0, 16
	s_delay_alu instid0(VALU_DEP_3) | instskip(NEXT) | instid1(VALU_DEP_3)
	v_add_f32_e32 v6, -0.5, v6
	v_or_b32_e32 v5, 0x70000000, v5
	s_delay_alu instid0(VALU_DEP_1) | instskip(NEXT) | instid1(VALU_DEP_1)
	v_mul_f32_e32 v5, 0x7800000, v5
	v_cndmask_b32_e32 v3, v5, v6, vcc_lo
	s_delay_alu instid0(VALU_DEP_1) | instskip(NEXT) | instid1(VALU_DEP_1)
	v_and_or_b32 v2, 0x80000000, v2, v3
	v_cvt_f16_f32_e32 v2, v2
.LBB24_191:
	s_mov_b32 s12, 0
	s_mov_b32 s1, -1
.LBB24_192:
	s_and_not1_b32 vcc_lo, exec_lo, s12
	s_cbranch_vccnz .LBB24_205
; %bb.193:
	s_cmp_gt_i32 s0, 14
	s_cbranch_scc0 .LBB24_196
; %bb.194:
	s_cmp_eq_u32 s0, 15
	s_cbranch_scc0 .LBB24_199
; %bb.195:
	global_load_u16 v2, v[0:1], off
	s_mov_b32 s1, -1
	s_mov_b32 s14, 0
	s_wait_loadcnt 0x0
	v_lshlrev_b32_e32 v2, 16, v2
	s_delay_alu instid0(VALU_DEP_1)
	v_cvt_f16_f32_e32 v2, v2
	s_branch .LBB24_200
.LBB24_196:
	s_mov_b32 s12, -1
                                        ; implicit-def: $vgpr2
	s_branch .LBB24_201
.LBB24_197:
	s_or_saveexec_b32 s12, s12
	v_mov_b32_e32 v2, 0x7e00
	s_xor_b32 exec_lo, exec_lo, s12
	s_cbranch_execz .LBB24_178
.LBB24_198:
	v_cmp_ne_u16_e32 vcc_lo, 0, v3
	v_mov_b32_e32 v2, v3
	s_and_not1_b32 s1, s1, exec_lo
	s_and_b32 s17, vcc_lo, exec_lo
	s_delay_alu instid0(SALU_CYCLE_1)
	s_or_b32 s1, s1, s17
	s_or_b32 exec_lo, exec_lo, s12
	s_and_saveexec_b32 s12, s1
	s_cbranch_execnz .LBB24_179
	s_branch .LBB24_180
.LBB24_199:
	s_mov_b32 s14, -1
                                        ; implicit-def: $vgpr2
.LBB24_200:
	s_mov_b32 s12, 0
.LBB24_201:
	s_delay_alu instid0(SALU_CYCLE_1)
	s_and_b32 vcc_lo, exec_lo, s12
	s_cbranch_vccz .LBB24_205
; %bb.202:
	s_cmp_eq_u32 s0, 11
	s_cbranch_scc0 .LBB24_204
; %bb.203:
	global_load_u8 v2, v[0:1], off
	s_mov_b32 s14, 0
	s_mov_b32 s1, -1
	s_wait_loadcnt 0x0
	v_cmp_ne_u16_e32 vcc_lo, 0, v2
	v_cndmask_b32_e64 v2, 0, 0x3c00, vcc_lo
	s_branch .LBB24_205
.LBB24_204:
	s_mov_b32 s14, -1
                                        ; implicit-def: $vgpr2
.LBB24_205:
	s_branch .LBB24_10
.LBB24_206:
	s_cmp_lt_i32 s0, 5
	s_cbranch_scc1 .LBB24_211
; %bb.207:
	s_cmp_lt_i32 s0, 8
	s_cbranch_scc1 .LBB24_212
; %bb.208:
	;; [unrolled: 3-line block ×3, first 2 shown]
	s_cmp_gt_i32 s0, 9
	s_cbranch_scc0 .LBB24_214
; %bb.210:
	global_load_b64 v[2:3], v[0:1], off
	s_mov_b32 s1, 0
	s_wait_loadcnt 0x0
	v_and_or_b32 v2, 0x1ff, v3, v2
	v_lshrrev_b32_e32 v5, 8, v3
	v_bfe_u32 v6, v3, 20, 11
	v_lshrrev_b32_e32 v3, 16, v3
	s_delay_alu instid0(VALU_DEP_4) | instskip(NEXT) | instid1(VALU_DEP_3)
	v_cmp_ne_u32_e32 vcc_lo, 0, v2
	v_sub_nc_u32_e32 v7, 0x3f1, v6
	v_add_nc_u32_e32 v6, 0xfffffc10, v6
	v_cndmask_b32_e64 v2, 0, 1, vcc_lo
	s_delay_alu instid0(VALU_DEP_1) | instskip(NEXT) | instid1(VALU_DEP_4)
	v_and_or_b32 v2, 0xffe, v5, v2
	v_med3_i32 v5, v7, 0, 13
	s_delay_alu instid0(VALU_DEP_2) | instskip(NEXT) | instid1(VALU_DEP_1)
	v_or_b32_e32 v7, 0x1000, v2
	v_lshrrev_b32_e32 v8, v5, v7
	s_delay_alu instid0(VALU_DEP_1) | instskip(NEXT) | instid1(VALU_DEP_1)
	v_lshlrev_b32_e32 v5, v5, v8
	v_cmp_ne_u32_e32 vcc_lo, v5, v7
	v_lshl_or_b32 v7, v6, 12, v2
	v_cndmask_b32_e64 v5, 0, 1, vcc_lo
	v_cmp_gt_i32_e32 vcc_lo, 1, v6
	s_delay_alu instid0(VALU_DEP_2) | instskip(NEXT) | instid1(VALU_DEP_1)
	v_or_b32_e32 v5, v8, v5
	v_cndmask_b32_e32 v5, v7, v5, vcc_lo
	s_delay_alu instid0(VALU_DEP_1) | instskip(NEXT) | instid1(VALU_DEP_1)
	v_dual_lshrrev_b32 v5, 2, v5 :: v_dual_bitop2_b32 v7, 7, v5 bitop3:0x40
	v_cmp_lt_i32_e32 vcc_lo, 5, v7
	v_cndmask_b32_e64 v8, 0, 1, vcc_lo
	v_cmp_eq_u32_e32 vcc_lo, 3, v7
	v_cndmask_b32_e64 v7, 0, 1, vcc_lo
	v_cmp_ne_u32_e32 vcc_lo, 0, v2
	s_delay_alu instid0(VALU_DEP_2) | instskip(NEXT) | instid1(VALU_DEP_1)
	v_or_b32_e32 v7, v7, v8
	v_dual_mov_b32 v8, 0x7e00 :: v_dual_add_nc_u32 v5, v5, v7
	s_delay_alu instid0(VALU_DEP_1) | instskip(SKIP_1) | instid1(VALU_DEP_3)
	v_cndmask_b32_e32 v2, 0x7c00, v8, vcc_lo
	v_cmp_gt_i32_e32 vcc_lo, 31, v6
	v_cndmask_b32_e32 v5, 0x7c00, v5, vcc_lo
	v_cmp_eq_u32_e32 vcc_lo, 0x40f, v6
	s_delay_alu instid0(VALU_DEP_2) | instskip(NEXT) | instid1(VALU_DEP_1)
	v_cndmask_b32_e32 v2, v5, v2, vcc_lo
	v_and_or_b32 v2, 0x8000, v3, v2
	s_branch .LBB24_215
.LBB24_211:
                                        ; implicit-def: $vgpr2
	s_branch .LBB24_233
.LBB24_212:
	s_mov_b32 s1, -1
                                        ; implicit-def: $vgpr2
	s_branch .LBB24_221
.LBB24_213:
	s_mov_b32 s1, -1
                                        ; implicit-def: $vgpr2
	s_branch .LBB24_218
.LBB24_214:
	s_mov_b32 s1, -1
                                        ; implicit-def: $vgpr2
.LBB24_215:
	s_delay_alu instid0(SALU_CYCLE_1)
	s_and_not1_b32 vcc_lo, exec_lo, s1
	s_cbranch_vccnz .LBB24_217
; %bb.216:
	global_load_b32 v2, v[0:1], off
	s_wait_loadcnt 0x0
	v_cvt_f16_f32_e32 v2, v2
.LBB24_217:
	s_mov_b32 s1, 0
.LBB24_218:
	s_delay_alu instid0(SALU_CYCLE_1)
	s_and_not1_b32 vcc_lo, exec_lo, s1
	s_cbranch_vccnz .LBB24_220
; %bb.219:
	global_load_b32 v2, v[0:1], off
.LBB24_220:
	s_mov_b32 s1, 0
.LBB24_221:
	s_delay_alu instid0(SALU_CYCLE_1)
	s_and_not1_b32 vcc_lo, exec_lo, s1
	s_cbranch_vccnz .LBB24_232
; %bb.222:
	s_cmp_lt_i32 s0, 6
	s_cbranch_scc1 .LBB24_225
; %bb.223:
	s_cmp_gt_i32 s0, 6
	s_cbranch_scc0 .LBB24_226
; %bb.224:
	s_wait_loadcnt 0x0
	global_load_b64 v[2:3], v[0:1], off
	s_mov_b32 s1, 0
	s_wait_loadcnt 0x0
	v_and_or_b32 v2, 0x1ff, v3, v2
	v_lshrrev_b32_e32 v5, 8, v3
	v_bfe_u32 v6, v3, 20, 11
	v_lshrrev_b32_e32 v3, 16, v3
	s_delay_alu instid0(VALU_DEP_4) | instskip(NEXT) | instid1(VALU_DEP_3)
	v_cmp_ne_u32_e32 vcc_lo, 0, v2
	v_sub_nc_u32_e32 v7, 0x3f1, v6
	v_add_nc_u32_e32 v6, 0xfffffc10, v6
	v_cndmask_b32_e64 v2, 0, 1, vcc_lo
	s_delay_alu instid0(VALU_DEP_1) | instskip(NEXT) | instid1(VALU_DEP_4)
	v_and_or_b32 v2, 0xffe, v5, v2
	v_med3_i32 v5, v7, 0, 13
	s_delay_alu instid0(VALU_DEP_2) | instskip(NEXT) | instid1(VALU_DEP_1)
	v_or_b32_e32 v7, 0x1000, v2
	v_lshrrev_b32_e32 v8, v5, v7
	s_delay_alu instid0(VALU_DEP_1) | instskip(NEXT) | instid1(VALU_DEP_1)
	v_lshlrev_b32_e32 v5, v5, v8
	v_cmp_ne_u32_e32 vcc_lo, v5, v7
	v_lshl_or_b32 v7, v6, 12, v2
	v_cndmask_b32_e64 v5, 0, 1, vcc_lo
	v_cmp_gt_i32_e32 vcc_lo, 1, v6
	s_delay_alu instid0(VALU_DEP_2) | instskip(NEXT) | instid1(VALU_DEP_1)
	v_or_b32_e32 v5, v8, v5
	v_cndmask_b32_e32 v5, v7, v5, vcc_lo
	s_delay_alu instid0(VALU_DEP_1) | instskip(NEXT) | instid1(VALU_DEP_1)
	v_dual_lshrrev_b32 v5, 2, v5 :: v_dual_bitop2_b32 v7, 7, v5 bitop3:0x40
	v_cmp_lt_i32_e32 vcc_lo, 5, v7
	v_cndmask_b32_e64 v8, 0, 1, vcc_lo
	v_cmp_eq_u32_e32 vcc_lo, 3, v7
	v_cndmask_b32_e64 v7, 0, 1, vcc_lo
	v_cmp_ne_u32_e32 vcc_lo, 0, v2
	s_delay_alu instid0(VALU_DEP_2) | instskip(NEXT) | instid1(VALU_DEP_1)
	v_or_b32_e32 v7, v7, v8
	v_dual_mov_b32 v8, 0x7e00 :: v_dual_add_nc_u32 v5, v5, v7
	s_delay_alu instid0(VALU_DEP_1) | instskip(SKIP_1) | instid1(VALU_DEP_3)
	v_cndmask_b32_e32 v2, 0x7c00, v8, vcc_lo
	v_cmp_gt_i32_e32 vcc_lo, 31, v6
	v_cndmask_b32_e32 v5, 0x7c00, v5, vcc_lo
	v_cmp_eq_u32_e32 vcc_lo, 0x40f, v6
	s_delay_alu instid0(VALU_DEP_2) | instskip(NEXT) | instid1(VALU_DEP_1)
	v_cndmask_b32_e32 v2, v5, v2, vcc_lo
	v_and_or_b32 v2, 0x8000, v3, v2
	s_branch .LBB24_227
.LBB24_225:
	s_mov_b32 s1, -1
                                        ; implicit-def: $vgpr2
	s_branch .LBB24_230
.LBB24_226:
	s_mov_b32 s1, -1
                                        ; implicit-def: $vgpr2
.LBB24_227:
	s_delay_alu instid0(SALU_CYCLE_1)
	s_and_not1_b32 vcc_lo, exec_lo, s1
	s_cbranch_vccnz .LBB24_229
; %bb.228:
	s_wait_loadcnt 0x0
	global_load_b32 v2, v[0:1], off
	s_wait_loadcnt 0x0
	v_cvt_f16_f32_e32 v2, v2
.LBB24_229:
	s_mov_b32 s1, 0
.LBB24_230:
	s_delay_alu instid0(SALU_CYCLE_1)
	s_and_not1_b32 vcc_lo, exec_lo, s1
	s_cbranch_vccnz .LBB24_232
; %bb.231:
	s_wait_loadcnt 0x0
	global_load_u16 v2, v[0:1], off
.LBB24_232:
	s_cbranch_execnz .LBB24_252
.LBB24_233:
	s_cmp_lt_i32 s0, 2
	s_cbranch_scc1 .LBB24_237
; %bb.234:
	s_cmp_lt_i32 s0, 3
	s_cbranch_scc1 .LBB24_238
; %bb.235:
	s_cmp_gt_i32 s0, 3
	s_cbranch_scc0 .LBB24_239
; %bb.236:
	s_wait_loadcnt 0x0
	global_load_b64 v[2:3], v[0:1], off
	s_mov_b32 s1, 0
	s_wait_loadcnt 0x0
	v_xor_b32_e32 v5, v2, v3
	v_cls_i32_e32 v6, v3
	s_delay_alu instid0(VALU_DEP_2) | instskip(NEXT) | instid1(VALU_DEP_1)
	v_ashrrev_i32_e32 v5, 31, v5
	v_add_nc_u32_e32 v5, 32, v5
	s_delay_alu instid0(VALU_DEP_1) | instskip(NEXT) | instid1(VALU_DEP_1)
	v_add_min_u32_e64 v5, v6, -1, v5
	v_lshlrev_b64_e32 v[2:3], v5, v[2:3]
	s_delay_alu instid0(VALU_DEP_1) | instskip(NEXT) | instid1(VALU_DEP_1)
	v_min_u32_e32 v2, 1, v2
	v_dual_sub_nc_u32 v3, 32, v5 :: v_dual_bitop2_b32 v2, v3, v2 bitop3:0x54
	s_delay_alu instid0(VALU_DEP_1) | instskip(NEXT) | instid1(VALU_DEP_1)
	v_cvt_f32_i32_e32 v2, v2
	v_ldexp_f32 v2, v2, v3
	s_delay_alu instid0(VALU_DEP_1)
	v_cvt_f16_f32_e32 v2, v2
	s_branch .LBB24_240
.LBB24_237:
	s_mov_b32 s1, -1
                                        ; implicit-def: $vgpr2
	s_branch .LBB24_246
.LBB24_238:
	s_mov_b32 s1, -1
                                        ; implicit-def: $vgpr2
	s_branch .LBB24_243
.LBB24_239:
	s_mov_b32 s1, -1
                                        ; implicit-def: $vgpr2
.LBB24_240:
	s_delay_alu instid0(SALU_CYCLE_1)
	s_and_not1_b32 vcc_lo, exec_lo, s1
	s_cbranch_vccnz .LBB24_242
; %bb.241:
	s_wait_loadcnt 0x0
	global_load_b32 v2, v[0:1], off
	s_wait_loadcnt 0x0
	v_cvt_f32_i32_e32 v2, v2
	s_delay_alu instid0(VALU_DEP_1)
	v_cvt_f16_f32_e32 v2, v2
.LBB24_242:
	s_mov_b32 s1, 0
.LBB24_243:
	s_delay_alu instid0(SALU_CYCLE_1)
	s_and_not1_b32 vcc_lo, exec_lo, s1
	s_cbranch_vccnz .LBB24_245
; %bb.244:
	s_wait_loadcnt 0x0
	global_load_u16 v2, v[0:1], off
	s_wait_loadcnt 0x0
	v_cvt_f16_i16_e32 v2, v2
.LBB24_245:
	s_mov_b32 s1, 0
.LBB24_246:
	s_delay_alu instid0(SALU_CYCLE_1)
	s_and_not1_b32 vcc_lo, exec_lo, s1
	s_cbranch_vccnz .LBB24_252
; %bb.247:
	s_cmp_gt_i32 s0, 0
	s_mov_b32 s0, 0
	s_cbranch_scc0 .LBB24_249
; %bb.248:
	s_wait_loadcnt 0x0
	global_load_i8 v2, v[0:1], off
	s_wait_loadcnt 0x0
	v_cvt_f16_i16_e32 v2, v2
	s_branch .LBB24_250
.LBB24_249:
	s_mov_b32 s0, -1
                                        ; implicit-def: $vgpr2
.LBB24_250:
	s_delay_alu instid0(SALU_CYCLE_1)
	s_and_not1_b32 vcc_lo, exec_lo, s0
	s_cbranch_vccnz .LBB24_252
; %bb.251:
	global_load_u8 v0, v[0:1], off
	s_wait_loadcnt 0x0
	v_cvt_f16_u16_e32 v2, v0
.LBB24_252:
	s_branch .LBB24_11
.LBB24_253:
	s_mov_b32 s0, 0
.LBB24_254:
	s_mov_b32 s1, 0
                                        ; implicit-def: $vgpr4
.LBB24_255:
	s_and_b32 s12, s0, exec_lo
	s_and_b32 s14, s14, exec_lo
	s_or_not1_b32 s1, s1, exec_lo
.LBB24_256:
	s_wait_xcnt 0x0
	s_or_b32 exec_lo, exec_lo, s15
	s_mov_b32 s17, 0
	s_mov_b32 s0, 0
                                        ; implicit-def: $vgpr0_vgpr1
                                        ; implicit-def: $vgpr3
	s_and_saveexec_b32 s15, s1
	s_cbranch_execz .LBB24_265
; %bb.257:
	s_mov_b32 s0, -1
	s_mov_b32 s16, s14
	s_mov_b32 s17, s12
	s_mov_b32 s18, exec_lo
	v_cmpx_gt_i32_e64 s13, v4
	s_cbranch_execz .LBB24_522
; %bb.258:
	v_mul_lo_u32 v0, v4, s3
	s_and_b32 s0, 0xffff, s10
	s_delay_alu instid0(SALU_CYCLE_1) | instskip(NEXT) | instid1(VALU_DEP_1)
	s_cmp_lt_i32 s0, 11
	v_ashrrev_i32_e32 v1, 31, v0
	s_delay_alu instid0(VALU_DEP_1)
	v_add_nc_u64_e32 v[0:1], s[6:7], v[0:1]
	s_cbranch_scc1 .LBB24_268
; %bb.259:
	s_cmp_gt_i32 s0, 25
	s_cbranch_scc0 .LBB24_321
; %bb.260:
	s_cmp_gt_i32 s0, 28
	s_cbranch_scc0 .LBB24_322
	;; [unrolled: 3-line block ×4, first 2 shown]
; %bb.263:
	s_cmp_eq_u32 s0, 46
	s_mov_b32 s17, 0
	s_cbranch_scc0 .LBB24_332
; %bb.264:
	s_wait_loadcnt 0x0
	global_load_b32 v2, v[0:1], off
	s_mov_b32 s1, -1
	s_mov_b32 s16, 0
	s_wait_loadcnt 0x0
	v_lshlrev_b32_e32 v2, 16, v2
	s_delay_alu instid0(VALU_DEP_1)
	v_cvt_f16_f32_e32 v2, v2
	s_branch .LBB24_334
.LBB24_265:
	s_or_b32 exec_lo, exec_lo, s15
	s_mov_b32 s13, 0
	s_and_saveexec_b32 s1, s14
	s_cbranch_execnz .LBB24_873
.LBB24_266:
	s_or_b32 exec_lo, exec_lo, s1
	s_and_saveexec_b32 s1, s16
	s_delay_alu instid0(SALU_CYCLE_1)
	s_xor_b32 s1, exec_lo, s1
	s_cbranch_execz .LBB24_874
.LBB24_267:
	s_wait_loadcnt 0x0
	global_load_u8 v2, v[0:1], off
	s_or_b32 s0, s0, exec_lo
	s_wait_loadcnt 0x0
	v_cmp_ne_u16_e32 vcc_lo, 0, v2
	v_cndmask_b32_e64 v3, 0, 0x3c00, vcc_lo
	s_wait_xcnt 0x0
	s_or_b32 exec_lo, exec_lo, s1
	s_and_saveexec_b32 s1, s17
	s_cbranch_execz .LBB24_920
	s_branch .LBB24_875
.LBB24_268:
	s_mov_b32 s1, 0
	s_mov_b32 s16, s14
                                        ; implicit-def: $vgpr2
	s_cbranch_execnz .LBB24_471
.LBB24_269:
	s_and_not1_b32 vcc_lo, exec_lo, s1
	s_cbranch_vccnz .LBB24_519
.LBB24_270:
	s_wait_loadcnt 0x0
	s_delay_alu instid0(VALU_DEP_1) | instskip(SKIP_1) | instid1(VALU_DEP_1)
	v_cvt_f32_f16_e32 v0, v2
                                        ; implicit-def: $vgpr3
                                        ; implicit-def: $vgpr2
	s_mov_b32 s1, exec_lo
	v_and_b32_e32 v1, 0x7fffffff, v0
	v_cmpx_ngt_f32_e64 0x48000000, |v0|
	s_xor_b32 s17, exec_lo, s1
	s_cbranch_execz .LBB24_272
; %bb.271:
	s_mov_b32 s0, 0x7fffff
	v_mov_b32_e32 v3, 0
	v_and_or_b32 v2, v1, s0, 0x800000
	s_mov_b64 s[0:1], 0xfe5163ab
	v_lshrrev_b32_e32 v5, 23, v1
	s_delay_alu instid0(VALU_DEP_2) | instskip(NEXT) | instid1(VALU_DEP_1)
	v_mul_u64_e32 v[6:7], s[0:1], v[2:3]
	v_dual_mov_b32 v8, v7 :: v_dual_mov_b32 v9, v3
	v_dual_mov_b32 v11, v3 :: v_dual_mov_b32 v13, v3
	v_mov_b32_e32 v15, v3
	s_delay_alu instid0(VALU_DEP_3) | instskip(NEXT) | instid1(VALU_DEP_1)
	v_mad_nc_u64_u32 v[8:9], 0x3c439041, v2, v[8:9]
	v_mov_b32_e32 v10, v9
	s_delay_alu instid0(VALU_DEP_1) | instskip(NEXT) | instid1(VALU_DEP_1)
	v_mad_nc_u64_u32 v[10:11], 0xdb629599, v2, v[10:11]
	v_mov_b32_e32 v12, v11
	s_delay_alu instid0(VALU_DEP_1) | instskip(NEXT) | instid1(VALU_DEP_1)
	;; [unrolled: 3-line block ×3, first 2 shown]
	v_mad_nc_u64_u32 v[14:15], 0xfc2757d1, v2, v[14:15]
	v_dual_mov_b32 v17, v3 :: v_dual_mov_b32 v16, v15
	s_delay_alu instid0(VALU_DEP_1) | instskip(NEXT) | instid1(VALU_DEP_1)
	v_mad_nc_u64_u32 v[16:17], 0x4e441529, v2, v[16:17]
	v_dual_mov_b32 v18, v17 :: v_dual_add_nc_u32 v5, 0xffffff88, v5
	s_delay_alu instid0(VALU_DEP_1) | instskip(SKIP_2) | instid1(VALU_DEP_2)
	v_cmp_lt_u32_e32 vcc_lo, 63, v5
	v_mov_b32_e32 v19, v3
	v_cndmask_b32_e64 v7, 0, 0xffffffc0, vcc_lo
	v_mad_nc_u64_u32 v[2:3], 0xa2f9836e, v2, v[18:19]
	v_dual_cndmask_b32 v9, v16, v12, vcc_lo :: v_dual_cndmask_b32 v11, v14, v10, vcc_lo
	s_delay_alu instid0(VALU_DEP_3) | instskip(NEXT) | instid1(VALU_DEP_1)
	v_dual_cndmask_b32 v6, v10, v6 :: v_dual_add_nc_u32 v5, v7, v5
	v_cmp_lt_u32_e64 s0, 31, v5
	s_delay_alu instid0(VALU_DEP_4) | instskip(NEXT) | instid1(VALU_DEP_2)
	v_dual_cndmask_b32 v2, v2, v14 :: v_dual_cndmask_b32 v3, v3, v16
	v_cndmask_b32_e64 v7, 0, 0xffffffe0, s0
	s_delay_alu instid0(VALU_DEP_1) | instskip(NEXT) | instid1(VALU_DEP_1)
	v_add_nc_u32_e32 v5, v7, v5
	v_cmp_lt_u32_e64 s1, 31, v5
	s_delay_alu instid0(VALU_DEP_1) | instskip(NEXT) | instid1(VALU_DEP_1)
	v_cndmask_b32_e64 v7, 0, 0xffffffe0, s1
	v_dual_add_nc_u32 v5, v7, v5 :: v_dual_cndmask_b32 v7, v12, v8, vcc_lo
	v_dual_cndmask_b32 v8, v2, v9, s0 :: v_dual_cndmask_b32 v2, v3, v2, s0
	s_delay_alu instid0(VALU_DEP_2) | instskip(NEXT) | instid1(VALU_DEP_3)
	v_dual_cndmask_b32 v3, v9, v11, s0 :: v_dual_sub_nc_u32 v9, 32, v5
	v_cndmask_b32_e64 v11, v11, v7, s0
	v_cmp_eq_u32_e32 vcc_lo, 0, v5
	s_delay_alu instid0(VALU_DEP_3) | instskip(SKIP_1) | instid1(VALU_DEP_4)
	v_dual_cndmask_b32 v2, v2, v8, s1 :: v_dual_cndmask_b32 v8, v8, v3, s1
	v_cndmask_b32_e64 v5, v7, v6, s0
	v_cndmask_b32_e64 v3, v3, v11, s1
	s_delay_alu instid0(VALU_DEP_3) | instskip(NEXT) | instid1(VALU_DEP_2)
	v_alignbit_b32 v12, v2, v8, v9
	v_alignbit_b32 v10, v8, v3, v9
	s_delay_alu instid0(VALU_DEP_1) | instskip(NEXT) | instid1(VALU_DEP_1)
	v_dual_cndmask_b32 v2, v12, v2, vcc_lo :: v_dual_cndmask_b32 v6, v10, v8, vcc_lo
	v_bfe_u32 v7, v2, 29, 1
	s_delay_alu instid0(VALU_DEP_2) | instskip(NEXT) | instid1(VALU_DEP_2)
	v_alignbit_b32 v8, v2, v6, 30
	v_dual_sub_nc_u32 v10, 0, v7 :: v_dual_cndmask_b32 v5, v11, v5, s1
	s_delay_alu instid0(VALU_DEP_1) | instskip(NEXT) | instid1(VALU_DEP_2)
	v_xor_b32_e32 v8, v8, v10
	v_alignbit_b32 v9, v3, v5, v9
	s_delay_alu instid0(VALU_DEP_1) | instskip(NEXT) | instid1(VALU_DEP_3)
	v_cndmask_b32_e32 v3, v9, v3, vcc_lo
	v_clz_i32_u32_e32 v9, v8
	s_delay_alu instid0(VALU_DEP_2) | instskip(NEXT) | instid1(VALU_DEP_2)
	v_alignbit_b32 v6, v6, v3, 30
	v_min_u32_e32 v9, 32, v9
	v_alignbit_b32 v3, v3, v5, 30
	s_delay_alu instid0(VALU_DEP_2) | instskip(NEXT) | instid1(VALU_DEP_2)
	v_dual_sub_nc_u32 v6, 31, v9 :: v_dual_bitop2_b32 v5, v6, v10 bitop3:0x14
	v_xor_b32_e32 v3, v3, v10
	v_dual_lshrrev_b32 v10, 29, v2 :: v_dual_lshlrev_b32 v11, 23, v9
	s_delay_alu instid0(VALU_DEP_3) | instskip(NEXT) | instid1(VALU_DEP_3)
	v_alignbit_b32 v8, v8, v5, v6
	v_alignbit_b32 v3, v5, v3, v6
	s_delay_alu instid0(VALU_DEP_3) | instskip(NEXT) | instid1(VALU_DEP_2)
	v_lshlrev_b32_e32 v5, 31, v10
	v_alignbit_b32 v6, v8, v3, 9
	s_delay_alu instid0(VALU_DEP_2) | instskip(NEXT) | instid1(VALU_DEP_2)
	v_dual_lshrrev_b32 v8, 9, v8 :: v_dual_bitop2_b32 v10, 0.5, v5 bitop3:0x54
	v_clz_i32_u32_e32 v12, v6
	s_delay_alu instid0(VALU_DEP_2) | instskip(SKIP_1) | instid1(VALU_DEP_3)
	v_sub_nc_u32_e32 v10, v10, v11
	v_or_b32_e32 v5, 0x33000000, v5
	v_min_u32_e32 v11, 32, v12
	s_delay_alu instid0(VALU_DEP_1) | instskip(NEXT) | instid1(VALU_DEP_4)
	v_add_lshl_u32 v9, v11, v9, 23
	v_or_b32_e32 v8, v8, v10
	v_not_b32_e32 v10, v11
	s_delay_alu instid0(VALU_DEP_3) | instskip(NEXT) | instid1(VALU_DEP_2)
	v_sub_nc_u32_e32 v5, v5, v9
	v_alignbit_b32 v3, v6, v3, v10
	s_delay_alu instid0(VALU_DEP_1) | instskip(NEXT) | instid1(VALU_DEP_1)
	v_dual_mul_f32 v12, 0x3fc90fda, v8 :: v_dual_lshrrev_b32 v3, 9, v3
	v_fma_f32 v6, 0x3fc90fda, v8, -v12
	s_delay_alu instid0(VALU_DEP_2) | instskip(NEXT) | instid1(VALU_DEP_2)
	v_or_b32_e32 v3, v5, v3
	v_fmamk_f32 v6, v8, 0x33a22168, v6
	s_delay_alu instid0(VALU_DEP_1) | instskip(NEXT) | instid1(VALU_DEP_1)
	v_dual_fmac_f32 v6, 0x3fc90fda, v3 :: v_dual_lshrrev_b32 v3, 30, v2
	v_dual_add_f32 v2, v12, v6 :: v_dual_add_nc_u32 v3, v7, v3
.LBB24_272:
	s_and_not1_saveexec_b32 s0, s17
; %bb.273:
	v_mul_f32_e64 v2, 0x3f22f983, |v0|
	s_delay_alu instid0(VALU_DEP_1) | instskip(NEXT) | instid1(VALU_DEP_1)
	v_rndne_f32_e32 v3, v2
	v_fma_f32 v2, 0xbfc90fda, v3, |v0|
	s_delay_alu instid0(VALU_DEP_1) | instskip(NEXT) | instid1(VALU_DEP_1)
	v_fmamk_f32 v2, v3, 0xb3a22168, v2
	v_fmamk_f32 v2, v3, 0xa7c234c4, v2
	v_cvt_i32_f32_e32 v3, v3
; %bb.274:
	s_or_b32 exec_lo, exec_lo, s0
	s_delay_alu instid0(VALU_DEP_1) | instskip(SKIP_3) | instid1(VALU_DEP_1)
	v_dual_mul_f32 v5, v2, v2 :: v_dual_bitop2_b32 v8, 1, v3 bitop3:0x40
	s_mov_b32 s0, 0xb94c1982
	s_mov_b32 s1, 0x37d75334
	;; [unrolled: 1-line block ×3, first 2 shown]
	v_dual_fmaak_f32 v6, s0, v5, 0x3c0881c4 :: v_dual_lshlrev_b32 v3, 30, v3
	v_cmp_eq_u32_e32 vcc_lo, 0, v8
	s_mov_b32 s17, -1
	s_mov_b32 s0, s12
	s_delay_alu instid0(VALU_DEP_2) | instskip(SKIP_3) | instid1(SALU_CYCLE_1)
	v_fmaak_f32 v6, v5, v6, 0xbe2aaa9d
	v_fmaak_f32 v7, s1, v5, 0xbab64f3b
	v_and_b32_e32 v3, 0x80000000, v3
	s_and_b32 s1, s8, 0xff
	s_cmp_lt_i32 s1, 11
	s_delay_alu instid0(VALU_DEP_2) | instskip(NEXT) | instid1(VALU_DEP_1)
	v_dual_mul_f32 v6, v5, v6 :: v_dual_fmaak_f32 v7, v5, v7, 0x3d2aabf7
	v_dual_fmac_f32 v2, v2, v6 :: v_dual_fmaak_f32 v7, v5, v7, 0xbf000004
	v_mul_lo_u32 v6, v4, s2
	v_xor_b32_e32 v1, v1, v0
	s_delay_alu instid0(VALU_DEP_3) | instskip(NEXT) | instid1(VALU_DEP_1)
	v_fma_f32 v5, v5, v7, 1.0
	v_cndmask_b32_e32 v2, v5, v2, vcc_lo
	v_cmp_class_f32_e64 vcc_lo, v0, 0x1f8
	v_ashrrev_i32_e32 v7, 31, v6
	s_delay_alu instid0(VALU_DEP_3) | instskip(NEXT) | instid1(VALU_DEP_1)
	v_xor3_b32 v1, v1, v3, v2
	v_cndmask_b32_e32 v2, 0x7fc00000, v1, vcc_lo
	s_delay_alu instid0(VALU_DEP_3) | instskip(NEXT) | instid1(VALU_DEP_2)
	v_add_nc_u64_e32 v[0:1], s[4:5], v[6:7]
	v_cvt_f16_f32_e32 v2, v2
	s_cbranch_scc1 .LBB24_281
; %bb.275:
	s_and_b32 s17, 0xffff, s1
	s_delay_alu instid0(SALU_CYCLE_1)
	s_cmp_gt_i32 s17, 25
	s_cbranch_scc0 .LBB24_323
; %bb.276:
	s_cmp_gt_i32 s17, 28
	s_cbranch_scc0 .LBB24_325
; %bb.277:
	;; [unrolled: 3-line block ×4, first 2 shown]
	s_mov_b32 s20, 0
	s_mov_b32 s0, -1
	s_cmp_eq_u32 s17, 46
	s_cbranch_scc0 .LBB24_338
; %bb.280:
	v_cvt_f32_f16_e32 v3, v2
	v_cmp_o_f16_e32 vcc_lo, v2, v2
	s_mov_b32 s19, -1
	s_mov_b32 s0, 0
	s_delay_alu instid0(VALU_DEP_2) | instskip(NEXT) | instid1(VALU_DEP_1)
	v_bfe_u32 v5, v3, 16, 1
	v_add3_u32 v3, v3, v5, 0x7fff
	s_delay_alu instid0(VALU_DEP_1) | instskip(NEXT) | instid1(VALU_DEP_1)
	v_lshrrev_b32_e32 v3, 16, v3
	v_cndmask_b32_e32 v3, 0x7fc0, v3, vcc_lo
	global_store_b32 v[0:1], v3, off
	s_branch .LBB24_338
.LBB24_281:
	s_and_b32 vcc_lo, exec_lo, s17
	s_cbranch_vccz .LBB24_407
; %bb.282:
	s_and_b32 s1, 0xffff, s1
	s_mov_b32 s17, -1
	s_cmp_lt_i32 s1, 5
	s_cbranch_scc1 .LBB24_303
; %bb.283:
	s_cmp_lt_i32 s1, 8
	s_cbranch_scc1 .LBB24_293
; %bb.284:
	;; [unrolled: 3-line block ×3, first 2 shown]
	s_cmp_gt_i32 s1, 9
	s_cbranch_scc0 .LBB24_287
; %bb.286:
	s_wait_xcnt 0x0
	v_cvt_f32_f16_e32 v3, v2
	v_mov_b32_e32 v8, 0
	s_mov_b32 s17, 0
	s_delay_alu instid0(VALU_DEP_2) | instskip(NEXT) | instid1(VALU_DEP_2)
	v_cvt_f64_f32_e32 v[6:7], v3
	v_mov_b32_e32 v9, v8
	global_store_b128 v[0:1], v[6:9], off
.LBB24_287:
	s_and_not1_b32 vcc_lo, exec_lo, s17
	s_cbranch_vccnz .LBB24_289
; %bb.288:
	s_wait_xcnt 0x0
	v_cvt_f32_f16_e32 v6, v2
	v_mov_b32_e32 v7, 0
	global_store_b64 v[0:1], v[6:7], off
.LBB24_289:
	s_mov_b32 s17, 0
.LBB24_290:
	s_delay_alu instid0(SALU_CYCLE_1)
	s_and_not1_b32 vcc_lo, exec_lo, s17
	s_cbranch_vccnz .LBB24_292
; %bb.291:
	s_wait_xcnt 0x0
	v_and_b32_e32 v3, 0xffff, v2
	global_store_b32 v[0:1], v3, off
.LBB24_292:
	s_mov_b32 s17, 0
.LBB24_293:
	s_delay_alu instid0(SALU_CYCLE_1)
	s_and_not1_b32 vcc_lo, exec_lo, s17
	s_cbranch_vccnz .LBB24_302
; %bb.294:
	s_cmp_lt_i32 s1, 6
	s_mov_b32 s17, -1
	s_cbranch_scc1 .LBB24_300
; %bb.295:
	s_cmp_gt_i32 s1, 6
	s_cbranch_scc0 .LBB24_297
; %bb.296:
	s_wait_xcnt 0x0
	v_cvt_f32_f16_e32 v3, v2
	s_mov_b32 s17, 0
	s_delay_alu instid0(VALU_DEP_1)
	v_cvt_f64_f32_e32 v[6:7], v3
	global_store_b64 v[0:1], v[6:7], off
.LBB24_297:
	s_and_not1_b32 vcc_lo, exec_lo, s17
	s_cbranch_vccnz .LBB24_299
; %bb.298:
	s_wait_xcnt 0x0
	v_cvt_f32_f16_e32 v3, v2
	global_store_b32 v[0:1], v3, off
.LBB24_299:
	s_mov_b32 s17, 0
.LBB24_300:
	s_delay_alu instid0(SALU_CYCLE_1)
	s_and_not1_b32 vcc_lo, exec_lo, s17
	s_cbranch_vccnz .LBB24_302
; %bb.301:
	global_store_b16 v[0:1], v2, off
.LBB24_302:
	s_mov_b32 s17, 0
.LBB24_303:
	s_delay_alu instid0(SALU_CYCLE_1)
	s_and_not1_b32 vcc_lo, exec_lo, s17
	s_cbranch_vccnz .LBB24_319
; %bb.304:
	s_cmp_lt_i32 s1, 2
	s_mov_b32 s17, -1
	s_cbranch_scc1 .LBB24_314
; %bb.305:
	s_cmp_lt_i32 s1, 3
	s_cbranch_scc1 .LBB24_311
; %bb.306:
	s_cmp_gt_i32 s1, 3
	s_cbranch_scc0 .LBB24_308
; %bb.307:
	s_wait_xcnt 0x0
	v_cvt_f32_f16_e32 v3, v2
	s_mov_b32 s17, 0
	s_delay_alu instid0(VALU_DEP_1) | instskip(NEXT) | instid1(VALU_DEP_1)
	v_cvt_i32_f32_e32 v6, v3
	v_ashrrev_i32_e32 v7, 31, v6
	global_store_b64 v[0:1], v[6:7], off
.LBB24_308:
	s_and_not1_b32 vcc_lo, exec_lo, s17
	s_cbranch_vccnz .LBB24_310
; %bb.309:
	s_wait_xcnt 0x0
	v_cvt_f32_f16_e32 v3, v2
	s_delay_alu instid0(VALU_DEP_1)
	v_cvt_i32_f32_e32 v3, v3
	global_store_b32 v[0:1], v3, off
.LBB24_310:
	s_mov_b32 s17, 0
.LBB24_311:
	s_delay_alu instid0(SALU_CYCLE_1)
	s_and_not1_b32 vcc_lo, exec_lo, s17
	s_cbranch_vccnz .LBB24_313
; %bb.312:
	s_wait_xcnt 0x0
	v_cvt_i16_f16_e32 v3, v2
	global_store_b16 v[0:1], v3, off
.LBB24_313:
	s_mov_b32 s17, 0
.LBB24_314:
	s_delay_alu instid0(SALU_CYCLE_1)
	s_and_not1_b32 vcc_lo, exec_lo, s17
	s_cbranch_vccnz .LBB24_319
; %bb.315:
	s_cmp_gt_i32 s1, 0
	s_mov_b32 s1, -1
	s_cbranch_scc0 .LBB24_317
; %bb.316:
	s_wait_xcnt 0x0
	v_cvt_i16_f16_e32 v3, v2
	s_mov_b32 s1, 0
	global_store_b8 v[0:1], v3, off
.LBB24_317:
	s_and_not1_b32 vcc_lo, exec_lo, s1
	s_cbranch_vccnz .LBB24_319
; %bb.318:
	s_wait_xcnt 0x0
	v_cvt_f32_f16_e32 v2, v2
	s_delay_alu instid0(VALU_DEP_1)
	v_cvt_i32_f32_e32 v2, v2
	global_store_b8 v[0:1], v2, off
.LBB24_319:
	s_branch .LBB24_408
.LBB24_320:
	s_mov_b32 s1, 0
	s_branch .LBB24_520
.LBB24_321:
	s_mov_b32 s17, -1
	s_mov_b32 s1, 0
	s_mov_b32 s16, s14
                                        ; implicit-def: $vgpr2
	s_branch .LBB24_435
.LBB24_322:
	s_mov_b32 s17, -1
	s_mov_b32 s1, 0
	s_mov_b32 s16, s14
                                        ; implicit-def: $vgpr2
	s_branch .LBB24_416
.LBB24_323:
	s_mov_b32 s20, -1
	s_mov_b32 s0, s12
	s_branch .LBB24_365
.LBB24_324:
	s_mov_b32 s17, -1
	s_mov_b32 s1, 0
	s_mov_b32 s16, s14
                                        ; implicit-def: $vgpr2
	s_branch .LBB24_411
.LBB24_325:
	s_mov_b32 s20, -1
	s_mov_b32 s0, s12
	s_branch .LBB24_348
.LBB24_326:
	s_and_not1_saveexec_b32 s19, s19
	s_cbranch_execz .LBB24_95
.LBB24_327:
	v_add_f32_e64 v5, 0x46000000, |v3|
	s_and_not1_b32 s18, s18, exec_lo
	s_delay_alu instid0(VALU_DEP_1) | instskip(NEXT) | instid1(VALU_DEP_1)
	v_and_b32_e32 v5, 0xff, v5
	v_cmp_ne_u32_e32 vcc_lo, 0, v5
	s_and_b32 s20, vcc_lo, exec_lo
	s_delay_alu instid0(SALU_CYCLE_1)
	s_or_b32 s18, s18, s20
	s_or_b32 exec_lo, exec_lo, s19
	v_mov_b32_e32 v6, 0
	s_and_saveexec_b32 s19, s18
	s_cbranch_execnz .LBB24_96
	s_branch .LBB24_97
.LBB24_328:
	s_mov_b32 s17, -1
	s_mov_b32 s1, 0
	s_mov_b32 s16, s14
	s_branch .LBB24_333
.LBB24_329:
	s_mov_b32 s20, -1
	s_mov_b32 s0, s12
	s_branch .LBB24_344
.LBB24_330:
	s_and_not1_saveexec_b32 s19, s19
	s_cbranch_execz .LBB24_108
.LBB24_331:
	v_add_f32_e64 v5, 0x42800000, |v3|
	s_and_not1_b32 s18, s18, exec_lo
	s_delay_alu instid0(VALU_DEP_1) | instskip(NEXT) | instid1(VALU_DEP_1)
	v_and_b32_e32 v5, 0xff, v5
	v_cmp_ne_u32_e32 vcc_lo, 0, v5
	s_and_b32 s20, vcc_lo, exec_lo
	s_delay_alu instid0(SALU_CYCLE_1)
	s_or_b32 s18, s18, s20
	s_or_b32 exec_lo, exec_lo, s19
	v_mov_b32_e32 v6, 0
	s_and_saveexec_b32 s19, s18
	s_cbranch_execnz .LBB24_109
	s_branch .LBB24_110
.LBB24_332:
	s_mov_b32 s16, -1
	s_mov_b32 s1, 0
.LBB24_333:
                                        ; implicit-def: $vgpr2
.LBB24_334:
	s_and_b32 vcc_lo, exec_lo, s17
	s_cbranch_vccz .LBB24_410
; %bb.335:
	s_cmp_eq_u32 s0, 44
	s_cbranch_scc0 .LBB24_409
; %bb.336:
	s_wait_loadcnt 0x0
	global_load_u8 v2, v[0:1], off
	s_mov_b32 s16, 0
	s_mov_b32 s1, -1
	s_wait_loadcnt 0x0
	v_lshlrev_b32_e32 v3, 23, v2
	v_cmp_ne_u32_e32 vcc_lo, 0xff, v2
	s_delay_alu instid0(VALU_DEP_2) | instskip(NEXT) | instid1(VALU_DEP_1)
	v_cvt_f16_f32_e32 v3, v3
	v_cndmask_b32_e32 v3, 0x7e00, v3, vcc_lo
	v_cmp_ne_u32_e32 vcc_lo, 0, v2
	s_delay_alu instid0(VALU_DEP_2)
	v_cndmask_b32_e32 v2, 0, v3, vcc_lo
	s_branch .LBB24_410
.LBB24_337:
	s_mov_b32 s20, -1
	s_mov_b32 s0, s12
.LBB24_338:
	s_and_b32 vcc_lo, exec_lo, s20
	s_cbranch_vccz .LBB24_343
; %bb.339:
	s_cmp_eq_u32 s17, 44
	s_mov_b32 s0, -1
	s_cbranch_scc0 .LBB24_343
; %bb.340:
	s_wait_xcnt 0x0
	v_cvt_f32_f16_e32 v3, v2
	v_mov_b32_e32 v5, 0xff
	s_mov_b32 s19, exec_lo
	s_delay_alu instid0(VALU_DEP_2) | instskip(NEXT) | instid1(VALU_DEP_1)
	v_bfe_u32 v6, v3, 23, 8
	v_cmpx_ne_u32_e32 0xff, v6
	s_cbranch_execz .LBB24_342
; %bb.341:
	v_and_b32_e32 v5, 0x400000, v3
	v_and_or_b32 v6, 0x3fffff, v3, v6
	v_lshrrev_b32_e32 v3, 23, v3
	s_delay_alu instid0(VALU_DEP_3) | instskip(NEXT) | instid1(VALU_DEP_3)
	v_cmp_ne_u32_e32 vcc_lo, 0, v5
	v_cmp_ne_u32_e64 s0, 0, v6
	s_and_b32 s0, vcc_lo, s0
	s_delay_alu instid0(SALU_CYCLE_1) | instskip(NEXT) | instid1(VALU_DEP_1)
	v_cndmask_b32_e64 v5, 0, 1, s0
	v_add_nc_u32_e32 v5, v3, v5
.LBB24_342:
	s_or_b32 exec_lo, exec_lo, s19
	s_mov_b32 s19, -1
	s_mov_b32 s0, 0
	global_store_b8 v[0:1], v5, off
.LBB24_343:
	s_mov_b32 s20, 0
.LBB24_344:
	s_delay_alu instid0(SALU_CYCLE_1)
	s_and_b32 vcc_lo, exec_lo, s20
	s_cbranch_vccz .LBB24_347
; %bb.345:
	s_cmp_eq_u32 s17, 29
	s_mov_b32 s0, -1
	s_cbranch_scc0 .LBB24_347
; %bb.346:
	s_wait_xcnt 0x0
	v_cvt_f32_f16_e32 v3, v2
	v_mov_b32_e32 v7, 0
	s_mov_b32 s19, -1
	s_mov_b32 s0, 0
	s_mov_b32 s20, 0
	v_cvt_u32_f32_e32 v6, v3
	global_store_b64 v[0:1], v[6:7], off
	s_branch .LBB24_348
.LBB24_347:
	s_mov_b32 s20, 0
.LBB24_348:
	s_delay_alu instid0(SALU_CYCLE_1)
	s_and_b32 vcc_lo, exec_lo, s20
	s_cbranch_vccz .LBB24_364
; %bb.349:
	s_cmp_lt_i32 s17, 27
	s_mov_b32 s19, -1
	s_cbranch_scc1 .LBB24_355
; %bb.350:
	s_cmp_gt_i32 s17, 27
	s_cbranch_scc0 .LBB24_352
; %bb.351:
	s_wait_xcnt 0x0
	v_cvt_f32_f16_e32 v3, v2
	s_mov_b32 s19, 0
	s_delay_alu instid0(VALU_DEP_1)
	v_cvt_u32_f32_e32 v3, v3
	global_store_b32 v[0:1], v3, off
.LBB24_352:
	s_and_not1_b32 vcc_lo, exec_lo, s19
	s_cbranch_vccnz .LBB24_354
; %bb.353:
	s_wait_xcnt 0x0
	v_cvt_u16_f16_e32 v3, v2
	global_store_b16 v[0:1], v3, off
.LBB24_354:
	s_mov_b32 s19, 0
.LBB24_355:
	s_delay_alu instid0(SALU_CYCLE_1)
	s_and_not1_b32 vcc_lo, exec_lo, s19
	s_cbranch_vccnz .LBB24_363
; %bb.356:
	s_wait_xcnt 0x0
	v_cvt_f32_f16_e32 v3, v2
	v_mov_b32_e32 v6, 0x80
	s_mov_b32 s19, exec_lo
	s_delay_alu instid0(VALU_DEP_2) | instskip(NEXT) | instid1(VALU_DEP_1)
	v_and_b32_e32 v5, 0x7fffffff, v3
	v_cmpx_gt_u32_e32 0x43800000, v5
	s_cbranch_execz .LBB24_362
; %bb.357:
	v_cmp_lt_u32_e32 vcc_lo, 0x3bffffff, v5
	s_mov_b32 s20, 0
                                        ; implicit-def: $vgpr5
	s_and_saveexec_b32 s21, vcc_lo
	s_delay_alu instid0(SALU_CYCLE_1)
	s_xor_b32 s21, exec_lo, s21
	s_cbranch_execz .LBB24_535
; %bb.358:
	v_bfe_u32 v5, v3, 20, 1
	s_mov_b32 s20, exec_lo
	s_delay_alu instid0(VALU_DEP_1) | instskip(NEXT) | instid1(VALU_DEP_1)
	v_add3_u32 v5, v3, v5, 0x487ffff
	v_lshrrev_b32_e32 v5, 20, v5
	s_and_not1_saveexec_b32 s21, s21
	s_cbranch_execnz .LBB24_536
.LBB24_359:
	s_or_b32 exec_lo, exec_lo, s21
	v_mov_b32_e32 v6, 0
	s_and_saveexec_b32 s21, s20
.LBB24_360:
	v_lshrrev_b32_e32 v3, 24, v3
	s_delay_alu instid0(VALU_DEP_1)
	v_and_or_b32 v6, 0x80, v3, v5
.LBB24_361:
	s_or_b32 exec_lo, exec_lo, s21
.LBB24_362:
	s_delay_alu instid0(SALU_CYCLE_1)
	s_or_b32 exec_lo, exec_lo, s19
	global_store_b8 v[0:1], v6, off
.LBB24_363:
	s_mov_b32 s19, -1
.LBB24_364:
	s_mov_b32 s20, 0
.LBB24_365:
	s_delay_alu instid0(SALU_CYCLE_1)
	s_and_b32 vcc_lo, exec_lo, s20
	s_cbranch_vccz .LBB24_406
; %bb.366:
	s_cmp_gt_i32 s17, 22
	s_mov_b32 s20, -1
	s_cbranch_scc0 .LBB24_398
; %bb.367:
	s_cmp_lt_i32 s17, 24
	s_mov_b32 s19, -1
	s_cbranch_scc1 .LBB24_387
; %bb.368:
	s_cmp_gt_i32 s17, 24
	s_cbranch_scc0 .LBB24_376
; %bb.369:
	s_wait_xcnt 0x0
	v_cvt_f32_f16_e32 v3, v2
	v_mov_b32_e32 v6, 0x80
	s_mov_b32 s19, exec_lo
	s_delay_alu instid0(VALU_DEP_2) | instskip(NEXT) | instid1(VALU_DEP_1)
	v_and_b32_e32 v5, 0x7fffffff, v3
	v_cmpx_gt_u32_e32 0x47800000, v5
	s_cbranch_execz .LBB24_375
; %bb.370:
	v_cmp_lt_u32_e32 vcc_lo, 0x37ffffff, v5
	s_mov_b32 s20, 0
                                        ; implicit-def: $vgpr5
	s_and_saveexec_b32 s21, vcc_lo
	s_delay_alu instid0(SALU_CYCLE_1)
	s_xor_b32 s21, exec_lo, s21
	s_cbranch_execz .LBB24_538
; %bb.371:
	v_bfe_u32 v5, v3, 21, 1
	s_mov_b32 s20, exec_lo
	s_delay_alu instid0(VALU_DEP_1) | instskip(NEXT) | instid1(VALU_DEP_1)
	v_add3_u32 v5, v3, v5, 0x88fffff
	v_lshrrev_b32_e32 v5, 21, v5
	s_and_not1_saveexec_b32 s21, s21
	s_cbranch_execnz .LBB24_539
.LBB24_372:
	s_or_b32 exec_lo, exec_lo, s21
	v_mov_b32_e32 v6, 0
	s_and_saveexec_b32 s21, s20
.LBB24_373:
	v_lshrrev_b32_e32 v3, 24, v3
	s_delay_alu instid0(VALU_DEP_1)
	v_and_or_b32 v6, 0x80, v3, v5
.LBB24_374:
	s_or_b32 exec_lo, exec_lo, s21
.LBB24_375:
	s_delay_alu instid0(SALU_CYCLE_1)
	s_or_b32 exec_lo, exec_lo, s19
	s_mov_b32 s19, 0
	global_store_b8 v[0:1], v6, off
.LBB24_376:
	s_and_b32 vcc_lo, exec_lo, s19
	s_cbranch_vccz .LBB24_386
; %bb.377:
	s_wait_xcnt 0x0
	v_cvt_f32_f16_e32 v3, v2
	s_mov_b32 s19, exec_lo
                                        ; implicit-def: $vgpr5
	s_delay_alu instid0(VALU_DEP_1) | instskip(NEXT) | instid1(VALU_DEP_1)
	v_and_b32_e32 v6, 0x7fffffff, v3
	v_cmpx_gt_u32_e32 0x43f00000, v6
	s_xor_b32 s19, exec_lo, s19
	s_cbranch_execz .LBB24_383
; %bb.378:
	s_mov_b32 s20, exec_lo
                                        ; implicit-def: $vgpr5
	v_cmpx_lt_u32_e32 0x3c7fffff, v6
	s_xor_b32 s20, exec_lo, s20
; %bb.379:
	v_bfe_u32 v5, v3, 20, 1
	s_delay_alu instid0(VALU_DEP_1) | instskip(NEXT) | instid1(VALU_DEP_1)
	v_add3_u32 v5, v3, v5, 0x407ffff
	v_and_b32_e32 v6, 0xff00000, v5
	v_lshrrev_b32_e32 v5, 20, v5
	s_delay_alu instid0(VALU_DEP_2) | instskip(NEXT) | instid1(VALU_DEP_2)
	v_cmp_ne_u32_e32 vcc_lo, 0x7f00000, v6
	v_cndmask_b32_e32 v5, 0x7e, v5, vcc_lo
; %bb.380:
	s_and_not1_saveexec_b32 s20, s20
; %bb.381:
	v_add_f32_e64 v5, 0x46800000, |v3|
; %bb.382:
	s_or_b32 exec_lo, exec_lo, s20
                                        ; implicit-def: $vgpr6
.LBB24_383:
	s_and_not1_saveexec_b32 s19, s19
; %bb.384:
	v_mov_b32_e32 v5, 0x7f
	v_cmp_lt_u32_e32 vcc_lo, 0x7f800000, v6
	s_delay_alu instid0(VALU_DEP_2)
	v_cndmask_b32_e32 v5, 0x7e, v5, vcc_lo
; %bb.385:
	s_or_b32 exec_lo, exec_lo, s19
	v_lshrrev_b32_e32 v3, 24, v3
	s_delay_alu instid0(VALU_DEP_1)
	v_and_or_b32 v3, 0x80, v3, v5
	global_store_b8 v[0:1], v3, off
.LBB24_386:
	s_mov_b32 s19, 0
.LBB24_387:
	s_delay_alu instid0(SALU_CYCLE_1)
	s_and_not1_b32 vcc_lo, exec_lo, s19
	s_cbranch_vccnz .LBB24_397
; %bb.388:
	s_wait_xcnt 0x0
	v_cvt_f32_f16_e32 v3, v2
	s_mov_b32 s19, exec_lo
                                        ; implicit-def: $vgpr5
	s_delay_alu instid0(VALU_DEP_1) | instskip(NEXT) | instid1(VALU_DEP_1)
	v_and_b32_e32 v6, 0x7fffffff, v3
	v_cmpx_gt_u32_e32 0x47800000, v6
	s_xor_b32 s19, exec_lo, s19
	s_cbranch_execz .LBB24_394
; %bb.389:
	s_mov_b32 s20, exec_lo
                                        ; implicit-def: $vgpr5
	v_cmpx_lt_u32_e32 0x387fffff, v6
	s_xor_b32 s20, exec_lo, s20
; %bb.390:
	v_bfe_u32 v5, v3, 21, 1
	s_delay_alu instid0(VALU_DEP_1) | instskip(NEXT) | instid1(VALU_DEP_1)
	v_add3_u32 v5, v3, v5, 0x80fffff
	v_lshrrev_b32_e32 v5, 21, v5
; %bb.391:
	s_and_not1_saveexec_b32 s20, s20
; %bb.392:
	v_add_f32_e64 v5, 0x43000000, |v3|
; %bb.393:
	s_or_b32 exec_lo, exec_lo, s20
                                        ; implicit-def: $vgpr6
.LBB24_394:
	s_and_not1_saveexec_b32 s19, s19
; %bb.395:
	v_mov_b32_e32 v5, 0x7f
	v_cmp_lt_u32_e32 vcc_lo, 0x7f800000, v6
	s_delay_alu instid0(VALU_DEP_2)
	v_cndmask_b32_e32 v5, 0x7c, v5, vcc_lo
; %bb.396:
	s_or_b32 exec_lo, exec_lo, s19
	v_lshrrev_b32_e32 v3, 24, v3
	s_delay_alu instid0(VALU_DEP_1)
	v_and_or_b32 v3, 0x80, v3, v5
	global_store_b8 v[0:1], v3, off
.LBB24_397:
	s_mov_b32 s20, 0
	s_mov_b32 s19, -1
.LBB24_398:
	s_and_not1_b32 vcc_lo, exec_lo, s20
	s_cbranch_vccnz .LBB24_406
; %bb.399:
	s_cmp_gt_i32 s17, 14
	s_mov_b32 s20, -1
	s_cbranch_scc0 .LBB24_403
; %bb.400:
	s_cmp_eq_u32 s17, 15
	s_mov_b32 s0, -1
	s_cbranch_scc0 .LBB24_402
; %bb.401:
	s_wait_xcnt 0x0
	v_cvt_f32_f16_e32 v3, v2
	v_cmp_o_f16_e32 vcc_lo, v2, v2
	s_mov_b32 s19, -1
	s_mov_b32 s0, 0
	s_delay_alu instid0(VALU_DEP_2) | instskip(NEXT) | instid1(VALU_DEP_1)
	v_bfe_u32 v5, v3, 16, 1
	v_add3_u32 v3, v3, v5, 0x7fff
	s_delay_alu instid0(VALU_DEP_1) | instskip(NEXT) | instid1(VALU_DEP_1)
	v_lshrrev_b32_e32 v3, 16, v3
	v_cndmask_b32_e32 v3, 0x7fc0, v3, vcc_lo
	global_store_b16 v[0:1], v3, off
.LBB24_402:
	s_mov_b32 s20, 0
.LBB24_403:
	s_delay_alu instid0(SALU_CYCLE_1)
	s_and_b32 vcc_lo, exec_lo, s20
	s_cbranch_vccz .LBB24_406
; %bb.404:
	s_cmp_eq_u32 s17, 11
	s_mov_b32 s0, -1
	s_cbranch_scc0 .LBB24_406
; %bb.405:
	v_cmp_neq_f16_e32 vcc_lo, 0, v2
	s_mov_b32 s0, 0
	s_mov_b32 s19, -1
	s_wait_xcnt 0x0
	v_cndmask_b32_e64 v3, 0, 1, vcc_lo
	global_store_b8 v[0:1], v3, off
.LBB24_406:
.LBB24_407:
	s_and_not1_b32 vcc_lo, exec_lo, s19
	s_cbranch_vccnz .LBB24_320
.LBB24_408:
	v_add_nc_u32_e32 v4, 0x80, v4
	s_mov_b32 s1, -1
	s_branch .LBB24_521
.LBB24_409:
	s_mov_b32 s16, -1
                                        ; implicit-def: $vgpr2
.LBB24_410:
	s_mov_b32 s17, 0
.LBB24_411:
	s_delay_alu instid0(SALU_CYCLE_1)
	s_and_b32 vcc_lo, exec_lo, s17
	s_cbranch_vccz .LBB24_415
; %bb.412:
	s_cmp_eq_u32 s0, 29
	s_cbranch_scc0 .LBB24_414
; %bb.413:
	s_wait_loadcnt 0x0
	global_load_b64 v[2:3], v[0:1], off
	s_mov_b32 s1, -1
	s_mov_b32 s16, 0
	s_mov_b32 s17, 0
	s_wait_loadcnt 0x0
	v_clz_i32_u32_e32 v5, v3
	s_delay_alu instid0(VALU_DEP_1) | instskip(NEXT) | instid1(VALU_DEP_1)
	v_min_u32_e32 v5, 32, v5
	v_lshlrev_b64_e32 v[2:3], v5, v[2:3]
	s_delay_alu instid0(VALU_DEP_1) | instskip(NEXT) | instid1(VALU_DEP_1)
	v_min_u32_e32 v2, 1, v2
	v_dual_sub_nc_u32 v3, 32, v5 :: v_dual_bitop2_b32 v2, v3, v2 bitop3:0x54
	s_delay_alu instid0(VALU_DEP_1) | instskip(NEXT) | instid1(VALU_DEP_1)
	v_cvt_f32_u32_e32 v2, v2
	v_ldexp_f32 v2, v2, v3
	s_delay_alu instid0(VALU_DEP_1)
	v_cvt_f16_f32_e32 v2, v2
	s_branch .LBB24_416
.LBB24_414:
	s_mov_b32 s16, -1
                                        ; implicit-def: $vgpr2
.LBB24_415:
	s_mov_b32 s17, 0
.LBB24_416:
	s_delay_alu instid0(SALU_CYCLE_1)
	s_and_b32 vcc_lo, exec_lo, s17
	s_cbranch_vccz .LBB24_434
; %bb.417:
	s_cmp_lt_i32 s0, 27
	s_cbranch_scc1 .LBB24_420
; %bb.418:
	s_cmp_gt_i32 s0, 27
	s_cbranch_scc0 .LBB24_421
; %bb.419:
	s_wait_loadcnt 0x0
	global_load_b32 v2, v[0:1], off
	s_mov_b32 s1, 0
	s_wait_loadcnt 0x0
	v_cvt_f32_u32_e32 v2, v2
	s_delay_alu instid0(VALU_DEP_1)
	v_cvt_f16_f32_e32 v2, v2
	s_branch .LBB24_422
.LBB24_420:
	s_mov_b32 s1, -1
                                        ; implicit-def: $vgpr2
	s_branch .LBB24_425
.LBB24_421:
	s_mov_b32 s1, -1
                                        ; implicit-def: $vgpr2
.LBB24_422:
	s_delay_alu instid0(SALU_CYCLE_1)
	s_and_not1_b32 vcc_lo, exec_lo, s1
	s_cbranch_vccnz .LBB24_424
; %bb.423:
	s_wait_loadcnt 0x0
	global_load_u16 v2, v[0:1], off
	s_wait_loadcnt 0x0
	v_cvt_f16_u16_e32 v2, v2
.LBB24_424:
	s_mov_b32 s1, 0
.LBB24_425:
	s_delay_alu instid0(SALU_CYCLE_1)
	s_and_not1_b32 vcc_lo, exec_lo, s1
	s_cbranch_vccnz .LBB24_433
; %bb.426:
	global_load_u8 v3, v[0:1], off
	s_mov_b32 s1, 0
	s_mov_b32 s17, exec_lo
	s_wait_loadcnt 0x0
	v_cmpx_lt_i16_e32 0x7f, v3
	s_xor_b32 s17, exec_lo, s17
	s_cbranch_execz .LBB24_447
; %bb.427:
	s_mov_b32 s1, -1
	s_mov_b32 s19, exec_lo
	v_cmpx_eq_u16_e32 0x80, v3
; %bb.428:
	s_xor_b32 s1, exec_lo, -1
; %bb.429:
	s_or_b32 exec_lo, exec_lo, s19
	s_delay_alu instid0(SALU_CYCLE_1)
	s_and_b32 s1, s1, exec_lo
	s_or_saveexec_b32 s17, s17
	v_mov_b32_e32 v2, 0x7e00
	s_xor_b32 exec_lo, exec_lo, s17
	s_cbranch_execnz .LBB24_448
.LBB24_430:
	s_or_b32 exec_lo, exec_lo, s17
	s_and_saveexec_b32 s17, s1
	s_cbranch_execz .LBB24_432
.LBB24_431:
	v_and_b32_e32 v2, 0xffff, v3
	s_delay_alu instid0(VALU_DEP_1) | instskip(SKIP_1) | instid1(VALU_DEP_2)
	v_dual_lshlrev_b32 v3, 24, v3 :: v_dual_bitop2_b32 v5, 7, v2 bitop3:0x40
	v_bfe_u32 v8, v2, 3, 4
	v_and_b32_e32 v3, 0x80000000, v3
	s_delay_alu instid0(VALU_DEP_3) | instskip(NEXT) | instid1(VALU_DEP_3)
	v_clz_i32_u32_e32 v6, v5
	v_cmp_eq_u32_e32 vcc_lo, 0, v8
	s_delay_alu instid0(VALU_DEP_2) | instskip(NEXT) | instid1(VALU_DEP_1)
	v_min_u32_e32 v6, 32, v6
	v_subrev_nc_u32_e32 v7, 28, v6
	v_sub_nc_u32_e32 v6, 29, v6
	s_delay_alu instid0(VALU_DEP_2) | instskip(NEXT) | instid1(VALU_DEP_2)
	v_lshlrev_b32_e32 v2, v7, v2
	v_cndmask_b32_e32 v6, v8, v6, vcc_lo
	s_delay_alu instid0(VALU_DEP_2) | instskip(NEXT) | instid1(VALU_DEP_1)
	v_and_b32_e32 v2, 7, v2
	v_cndmask_b32_e32 v2, v5, v2, vcc_lo
	s_delay_alu instid0(VALU_DEP_3) | instskip(NEXT) | instid1(VALU_DEP_2)
	v_lshl_add_u32 v5, v6, 23, 0x3b800000
	v_lshlrev_b32_e32 v2, 20, v2
	s_delay_alu instid0(VALU_DEP_1) | instskip(NEXT) | instid1(VALU_DEP_1)
	v_or3_b32 v2, v3, v5, v2
	v_cvt_f16_f32_e32 v2, v2
.LBB24_432:
	s_or_b32 exec_lo, exec_lo, s17
.LBB24_433:
	s_mov_b32 s1, -1
.LBB24_434:
	s_mov_b32 s17, 0
.LBB24_435:
	s_delay_alu instid0(SALU_CYCLE_1)
	s_and_b32 vcc_lo, exec_lo, s17
	s_cbranch_vccz .LBB24_470
; %bb.436:
	s_cmp_gt_i32 s0, 22
	s_cbranch_scc0 .LBB24_446
; %bb.437:
	s_cmp_lt_i32 s0, 24
	s_cbranch_scc1 .LBB24_449
; %bb.438:
	s_cmp_gt_i32 s0, 24
	s_cbranch_scc0 .LBB24_450
; %bb.439:
	global_load_u8 v3, v[0:1], off
	s_mov_b32 s1, 0
	s_mov_b32 s17, exec_lo
	s_wait_loadcnt 0x0
	v_cmpx_lt_i16_e32 0x7f, v3
	s_xor_b32 s17, exec_lo, s17
	s_cbranch_execz .LBB24_462
; %bb.440:
	s_mov_b32 s1, -1
	s_mov_b32 s19, exec_lo
	v_cmpx_eq_u16_e32 0x80, v3
; %bb.441:
	s_xor_b32 s1, exec_lo, -1
; %bb.442:
	s_or_b32 exec_lo, exec_lo, s19
	s_delay_alu instid0(SALU_CYCLE_1)
	s_and_b32 s1, s1, exec_lo
	s_or_saveexec_b32 s17, s17
	v_mov_b32_e32 v2, 0x7e00
	s_xor_b32 exec_lo, exec_lo, s17
	s_cbranch_execnz .LBB24_463
.LBB24_443:
	s_or_b32 exec_lo, exec_lo, s17
	s_and_saveexec_b32 s17, s1
	s_cbranch_execz .LBB24_445
.LBB24_444:
	v_and_b32_e32 v2, 0xffff, v3
	s_delay_alu instid0(VALU_DEP_1) | instskip(SKIP_1) | instid1(VALU_DEP_2)
	v_dual_lshlrev_b32 v3, 24, v3 :: v_dual_bitop2_b32 v5, 3, v2 bitop3:0x40
	v_bfe_u32 v8, v2, 2, 5
	v_and_b32_e32 v3, 0x80000000, v3
	s_delay_alu instid0(VALU_DEP_3) | instskip(NEXT) | instid1(VALU_DEP_3)
	v_clz_i32_u32_e32 v6, v5
	v_cmp_eq_u32_e32 vcc_lo, 0, v8
	s_delay_alu instid0(VALU_DEP_2) | instskip(NEXT) | instid1(VALU_DEP_1)
	v_min_u32_e32 v6, 32, v6
	v_subrev_nc_u32_e32 v7, 29, v6
	v_sub_nc_u32_e32 v6, 30, v6
	s_delay_alu instid0(VALU_DEP_2) | instskip(NEXT) | instid1(VALU_DEP_2)
	v_lshlrev_b32_e32 v2, v7, v2
	v_cndmask_b32_e32 v6, v8, v6, vcc_lo
	s_delay_alu instid0(VALU_DEP_2) | instskip(NEXT) | instid1(VALU_DEP_1)
	v_and_b32_e32 v2, 3, v2
	v_cndmask_b32_e32 v2, v5, v2, vcc_lo
	s_delay_alu instid0(VALU_DEP_3) | instskip(NEXT) | instid1(VALU_DEP_2)
	v_lshl_add_u32 v5, v6, 23, 0x37800000
	v_lshlrev_b32_e32 v2, 21, v2
	s_delay_alu instid0(VALU_DEP_1) | instskip(NEXT) | instid1(VALU_DEP_1)
	v_or3_b32 v2, v3, v5, v2
	v_cvt_f16_f32_e32 v2, v2
.LBB24_445:
	s_or_b32 exec_lo, exec_lo, s17
	s_mov_b32 s1, 0
	s_branch .LBB24_451
.LBB24_446:
	s_mov_b32 s17, -1
                                        ; implicit-def: $vgpr2
	s_branch .LBB24_457
.LBB24_447:
	s_or_saveexec_b32 s17, s17
	v_mov_b32_e32 v2, 0x7e00
	s_xor_b32 exec_lo, exec_lo, s17
	s_cbranch_execz .LBB24_430
.LBB24_448:
	v_cmp_ne_u16_e32 vcc_lo, 0, v3
	v_mov_b32_e32 v2, v3
	s_and_not1_b32 s1, s1, exec_lo
	s_and_b32 s19, vcc_lo, exec_lo
	s_delay_alu instid0(SALU_CYCLE_1)
	s_or_b32 s1, s1, s19
	s_or_b32 exec_lo, exec_lo, s17
	s_and_saveexec_b32 s17, s1
	s_cbranch_execnz .LBB24_431
	s_branch .LBB24_432
.LBB24_449:
	s_mov_b32 s1, -1
                                        ; implicit-def: $vgpr2
	s_branch .LBB24_454
.LBB24_450:
	s_mov_b32 s1, -1
                                        ; implicit-def: $vgpr2
.LBB24_451:
	s_delay_alu instid0(SALU_CYCLE_1)
	s_and_b32 vcc_lo, exec_lo, s1
	s_cbranch_vccz .LBB24_453
; %bb.452:
	s_wait_loadcnt 0x0
	global_load_u8 v2, v[0:1], off
	s_wait_loadcnt 0x0
	v_lshlrev_b32_e32 v2, 24, v2
	s_delay_alu instid0(VALU_DEP_1) | instskip(NEXT) | instid1(VALU_DEP_1)
	v_and_b32_e32 v3, 0x7f000000, v2
	v_clz_i32_u32_e32 v5, v3
	v_add_nc_u32_e32 v7, 0x1000000, v3
	v_cmp_ne_u32_e32 vcc_lo, 0, v3
	s_delay_alu instid0(VALU_DEP_3) | instskip(NEXT) | instid1(VALU_DEP_1)
	v_min_u32_e32 v5, 32, v5
	v_sub_nc_u32_e64 v5, v5, 4 clamp
	s_delay_alu instid0(VALU_DEP_1) | instskip(NEXT) | instid1(VALU_DEP_1)
	v_dual_lshlrev_b32 v6, v5, v3 :: v_dual_lshlrev_b32 v5, 23, v5
	v_lshrrev_b32_e32 v6, 4, v6
	s_delay_alu instid0(VALU_DEP_1) | instskip(NEXT) | instid1(VALU_DEP_1)
	v_dual_sub_nc_u32 v5, v6, v5 :: v_dual_ashrrev_i32 v6, 8, v7
	v_add_nc_u32_e32 v5, 0x3c000000, v5
	s_delay_alu instid0(VALU_DEP_1) | instskip(NEXT) | instid1(VALU_DEP_1)
	v_and_or_b32 v5, 0x7f800000, v6, v5
	v_cndmask_b32_e32 v3, 0, v5, vcc_lo
	s_delay_alu instid0(VALU_DEP_1) | instskip(NEXT) | instid1(VALU_DEP_1)
	v_and_or_b32 v2, 0x80000000, v2, v3
	v_cvt_f16_f32_e32 v2, v2
.LBB24_453:
	s_mov_b32 s1, 0
.LBB24_454:
	s_delay_alu instid0(SALU_CYCLE_1)
	s_and_not1_b32 vcc_lo, exec_lo, s1
	s_cbranch_vccnz .LBB24_456
; %bb.455:
	s_wait_loadcnt 0x0
	global_load_u8 v2, v[0:1], off
	s_wait_loadcnt 0x0
	v_lshlrev_b32_e32 v3, 25, v2
	v_lshlrev_b16 v2, 8, v2
	s_delay_alu instid0(VALU_DEP_2) | instskip(NEXT) | instid1(VALU_DEP_2)
	v_cmp_gt_u32_e32 vcc_lo, 0x8000000, v3
	v_and_or_b32 v6, 0x7f00, v2, 0.5
	v_lshrrev_b32_e32 v5, 4, v3
	v_bfe_i32 v2, v2, 0, 16
	s_delay_alu instid0(VALU_DEP_3) | instskip(NEXT) | instid1(VALU_DEP_3)
	v_add_f32_e32 v6, -0.5, v6
	v_or_b32_e32 v5, 0x70000000, v5
	s_delay_alu instid0(VALU_DEP_1) | instskip(NEXT) | instid1(VALU_DEP_1)
	v_mul_f32_e32 v5, 0x7800000, v5
	v_cndmask_b32_e32 v3, v5, v6, vcc_lo
	s_delay_alu instid0(VALU_DEP_1) | instskip(NEXT) | instid1(VALU_DEP_1)
	v_and_or_b32 v2, 0x80000000, v2, v3
	v_cvt_f16_f32_e32 v2, v2
.LBB24_456:
	s_mov_b32 s17, 0
	s_mov_b32 s1, -1
.LBB24_457:
	s_and_not1_b32 vcc_lo, exec_lo, s17
	s_cbranch_vccnz .LBB24_470
; %bb.458:
	s_cmp_gt_i32 s0, 14
	s_cbranch_scc0 .LBB24_461
; %bb.459:
	s_cmp_eq_u32 s0, 15
	s_cbranch_scc0 .LBB24_464
; %bb.460:
	s_wait_loadcnt 0x0
	global_load_u16 v2, v[0:1], off
	s_mov_b32 s1, -1
	s_mov_b32 s16, 0
	s_wait_loadcnt 0x0
	v_lshlrev_b32_e32 v2, 16, v2
	s_delay_alu instid0(VALU_DEP_1)
	v_cvt_f16_f32_e32 v2, v2
	s_branch .LBB24_465
.LBB24_461:
	s_mov_b32 s17, -1
                                        ; implicit-def: $vgpr2
	s_branch .LBB24_466
.LBB24_462:
	s_or_saveexec_b32 s17, s17
	v_mov_b32_e32 v2, 0x7e00
	s_xor_b32 exec_lo, exec_lo, s17
	s_cbranch_execz .LBB24_443
.LBB24_463:
	v_cmp_ne_u16_e32 vcc_lo, 0, v3
	v_mov_b32_e32 v2, v3
	s_and_not1_b32 s1, s1, exec_lo
	s_and_b32 s19, vcc_lo, exec_lo
	s_delay_alu instid0(SALU_CYCLE_1)
	s_or_b32 s1, s1, s19
	s_or_b32 exec_lo, exec_lo, s17
	s_and_saveexec_b32 s17, s1
	s_cbranch_execnz .LBB24_444
	s_branch .LBB24_445
.LBB24_464:
	s_mov_b32 s16, -1
                                        ; implicit-def: $vgpr2
.LBB24_465:
	s_mov_b32 s17, 0
.LBB24_466:
	s_delay_alu instid0(SALU_CYCLE_1)
	s_and_b32 vcc_lo, exec_lo, s17
	s_cbranch_vccz .LBB24_470
; %bb.467:
	s_cmp_eq_u32 s0, 11
	s_cbranch_scc0 .LBB24_469
; %bb.468:
	s_wait_loadcnt 0x0
	global_load_u8 v2, v[0:1], off
	s_mov_b32 s16, 0
	s_mov_b32 s1, -1
	s_wait_loadcnt 0x0
	v_cmp_ne_u16_e32 vcc_lo, 0, v2
	v_cndmask_b32_e64 v2, 0, 0x3c00, vcc_lo
	s_branch .LBB24_470
.LBB24_469:
	s_mov_b32 s16, -1
                                        ; implicit-def: $vgpr2
.LBB24_470:
	s_branch .LBB24_269
.LBB24_471:
	s_cmp_lt_i32 s0, 5
	s_cbranch_scc1 .LBB24_476
; %bb.472:
	s_cmp_lt_i32 s0, 8
	s_cbranch_scc1 .LBB24_477
; %bb.473:
	s_cmp_lt_i32 s0, 9
	s_cbranch_scc1 .LBB24_478
; %bb.474:
	s_cmp_gt_i32 s0, 9
	s_cbranch_scc0 .LBB24_479
; %bb.475:
	s_wait_loadcnt 0x0
	global_load_b64 v[2:3], v[0:1], off
	s_mov_b32 s1, 0
	s_wait_loadcnt 0x0
	v_and_or_b32 v2, 0x1ff, v3, v2
	v_lshrrev_b32_e32 v5, 8, v3
	v_bfe_u32 v6, v3, 20, 11
	v_lshrrev_b32_e32 v3, 16, v3
	s_delay_alu instid0(VALU_DEP_4) | instskip(NEXT) | instid1(VALU_DEP_3)
	v_cmp_ne_u32_e32 vcc_lo, 0, v2
	v_sub_nc_u32_e32 v7, 0x3f1, v6
	v_add_nc_u32_e32 v6, 0xfffffc10, v6
	v_cndmask_b32_e64 v2, 0, 1, vcc_lo
	s_delay_alu instid0(VALU_DEP_1) | instskip(NEXT) | instid1(VALU_DEP_4)
	v_and_or_b32 v2, 0xffe, v5, v2
	v_med3_i32 v5, v7, 0, 13
	s_delay_alu instid0(VALU_DEP_2) | instskip(NEXT) | instid1(VALU_DEP_1)
	v_or_b32_e32 v7, 0x1000, v2
	v_lshrrev_b32_e32 v8, v5, v7
	s_delay_alu instid0(VALU_DEP_1) | instskip(NEXT) | instid1(VALU_DEP_1)
	v_lshlrev_b32_e32 v5, v5, v8
	v_cmp_ne_u32_e32 vcc_lo, v5, v7
	v_lshl_or_b32 v7, v6, 12, v2
	v_cndmask_b32_e64 v5, 0, 1, vcc_lo
	v_cmp_gt_i32_e32 vcc_lo, 1, v6
	s_delay_alu instid0(VALU_DEP_2) | instskip(NEXT) | instid1(VALU_DEP_1)
	v_or_b32_e32 v5, v8, v5
	v_cndmask_b32_e32 v5, v7, v5, vcc_lo
	s_delay_alu instid0(VALU_DEP_1) | instskip(NEXT) | instid1(VALU_DEP_1)
	v_dual_lshrrev_b32 v5, 2, v5 :: v_dual_bitop2_b32 v7, 7, v5 bitop3:0x40
	v_cmp_lt_i32_e32 vcc_lo, 5, v7
	v_cndmask_b32_e64 v8, 0, 1, vcc_lo
	v_cmp_eq_u32_e32 vcc_lo, 3, v7
	v_cndmask_b32_e64 v7, 0, 1, vcc_lo
	v_cmp_ne_u32_e32 vcc_lo, 0, v2
	s_delay_alu instid0(VALU_DEP_2) | instskip(NEXT) | instid1(VALU_DEP_1)
	v_or_b32_e32 v7, v7, v8
	v_dual_mov_b32 v8, 0x7e00 :: v_dual_add_nc_u32 v5, v5, v7
	s_delay_alu instid0(VALU_DEP_1) | instskip(SKIP_1) | instid1(VALU_DEP_3)
	v_cndmask_b32_e32 v2, 0x7c00, v8, vcc_lo
	v_cmp_gt_i32_e32 vcc_lo, 31, v6
	v_cndmask_b32_e32 v5, 0x7c00, v5, vcc_lo
	v_cmp_eq_u32_e32 vcc_lo, 0x40f, v6
	s_delay_alu instid0(VALU_DEP_2) | instskip(NEXT) | instid1(VALU_DEP_1)
	v_cndmask_b32_e32 v2, v5, v2, vcc_lo
	v_and_or_b32 v2, 0x8000, v3, v2
	s_branch .LBB24_480
.LBB24_476:
	s_mov_b32 s1, -1
                                        ; implicit-def: $vgpr2
	s_branch .LBB24_498
.LBB24_477:
	s_mov_b32 s1, -1
                                        ; implicit-def: $vgpr2
	s_branch .LBB24_486
.LBB24_478:
	s_mov_b32 s1, -1
                                        ; implicit-def: $vgpr2
	s_branch .LBB24_483
.LBB24_479:
	s_mov_b32 s1, -1
                                        ; implicit-def: $vgpr2
.LBB24_480:
	s_delay_alu instid0(SALU_CYCLE_1)
	s_and_not1_b32 vcc_lo, exec_lo, s1
	s_cbranch_vccnz .LBB24_482
; %bb.481:
	s_wait_loadcnt 0x0
	global_load_b32 v2, v[0:1], off
	s_wait_loadcnt 0x0
	v_cvt_f16_f32_e32 v2, v2
.LBB24_482:
	s_mov_b32 s1, 0
.LBB24_483:
	s_delay_alu instid0(SALU_CYCLE_1)
	s_and_not1_b32 vcc_lo, exec_lo, s1
	s_cbranch_vccnz .LBB24_485
; %bb.484:
	s_wait_loadcnt 0x0
	global_load_b32 v2, v[0:1], off
.LBB24_485:
	s_mov_b32 s1, 0
.LBB24_486:
	s_delay_alu instid0(SALU_CYCLE_1)
	s_and_not1_b32 vcc_lo, exec_lo, s1
	s_cbranch_vccnz .LBB24_497
; %bb.487:
	s_cmp_lt_i32 s0, 6
	s_cbranch_scc1 .LBB24_490
; %bb.488:
	s_cmp_gt_i32 s0, 6
	s_cbranch_scc0 .LBB24_491
; %bb.489:
	s_wait_loadcnt 0x0
	global_load_b64 v[2:3], v[0:1], off
	s_mov_b32 s1, 0
	s_wait_loadcnt 0x0
	v_and_or_b32 v2, 0x1ff, v3, v2
	v_lshrrev_b32_e32 v5, 8, v3
	v_bfe_u32 v6, v3, 20, 11
	v_lshrrev_b32_e32 v3, 16, v3
	s_delay_alu instid0(VALU_DEP_4) | instskip(NEXT) | instid1(VALU_DEP_3)
	v_cmp_ne_u32_e32 vcc_lo, 0, v2
	v_sub_nc_u32_e32 v7, 0x3f1, v6
	v_add_nc_u32_e32 v6, 0xfffffc10, v6
	v_cndmask_b32_e64 v2, 0, 1, vcc_lo
	s_delay_alu instid0(VALU_DEP_1) | instskip(NEXT) | instid1(VALU_DEP_4)
	v_and_or_b32 v2, 0xffe, v5, v2
	v_med3_i32 v5, v7, 0, 13
	s_delay_alu instid0(VALU_DEP_2) | instskip(NEXT) | instid1(VALU_DEP_1)
	v_or_b32_e32 v7, 0x1000, v2
	v_lshrrev_b32_e32 v8, v5, v7
	s_delay_alu instid0(VALU_DEP_1) | instskip(NEXT) | instid1(VALU_DEP_1)
	v_lshlrev_b32_e32 v5, v5, v8
	v_cmp_ne_u32_e32 vcc_lo, v5, v7
	v_lshl_or_b32 v7, v6, 12, v2
	v_cndmask_b32_e64 v5, 0, 1, vcc_lo
	v_cmp_gt_i32_e32 vcc_lo, 1, v6
	s_delay_alu instid0(VALU_DEP_2) | instskip(NEXT) | instid1(VALU_DEP_1)
	v_or_b32_e32 v5, v8, v5
	v_cndmask_b32_e32 v5, v7, v5, vcc_lo
	s_delay_alu instid0(VALU_DEP_1) | instskip(NEXT) | instid1(VALU_DEP_1)
	v_dual_lshrrev_b32 v5, 2, v5 :: v_dual_bitop2_b32 v7, 7, v5 bitop3:0x40
	v_cmp_lt_i32_e32 vcc_lo, 5, v7
	v_cndmask_b32_e64 v8, 0, 1, vcc_lo
	v_cmp_eq_u32_e32 vcc_lo, 3, v7
	v_cndmask_b32_e64 v7, 0, 1, vcc_lo
	v_cmp_ne_u32_e32 vcc_lo, 0, v2
	s_delay_alu instid0(VALU_DEP_2) | instskip(NEXT) | instid1(VALU_DEP_1)
	v_or_b32_e32 v7, v7, v8
	v_dual_mov_b32 v8, 0x7e00 :: v_dual_add_nc_u32 v5, v5, v7
	s_delay_alu instid0(VALU_DEP_1) | instskip(SKIP_1) | instid1(VALU_DEP_3)
	v_cndmask_b32_e32 v2, 0x7c00, v8, vcc_lo
	v_cmp_gt_i32_e32 vcc_lo, 31, v6
	v_cndmask_b32_e32 v5, 0x7c00, v5, vcc_lo
	v_cmp_eq_u32_e32 vcc_lo, 0x40f, v6
	s_delay_alu instid0(VALU_DEP_2) | instskip(NEXT) | instid1(VALU_DEP_1)
	v_cndmask_b32_e32 v2, v5, v2, vcc_lo
	v_and_or_b32 v2, 0x8000, v3, v2
	s_branch .LBB24_492
.LBB24_490:
	s_mov_b32 s1, -1
                                        ; implicit-def: $vgpr2
	s_branch .LBB24_495
.LBB24_491:
	s_mov_b32 s1, -1
                                        ; implicit-def: $vgpr2
.LBB24_492:
	s_delay_alu instid0(SALU_CYCLE_1)
	s_and_not1_b32 vcc_lo, exec_lo, s1
	s_cbranch_vccnz .LBB24_494
; %bb.493:
	s_wait_loadcnt 0x0
	global_load_b32 v2, v[0:1], off
	s_wait_loadcnt 0x0
	v_cvt_f16_f32_e32 v2, v2
.LBB24_494:
	s_mov_b32 s1, 0
.LBB24_495:
	s_delay_alu instid0(SALU_CYCLE_1)
	s_and_not1_b32 vcc_lo, exec_lo, s1
	s_cbranch_vccnz .LBB24_497
; %bb.496:
	s_wait_loadcnt 0x0
	global_load_u16 v2, v[0:1], off
.LBB24_497:
	s_mov_b32 s1, 0
.LBB24_498:
	s_delay_alu instid0(SALU_CYCLE_1)
	s_and_not1_b32 vcc_lo, exec_lo, s1
	s_cbranch_vccnz .LBB24_518
; %bb.499:
	s_cmp_lt_i32 s0, 2
	s_cbranch_scc1 .LBB24_503
; %bb.500:
	s_cmp_lt_i32 s0, 3
	s_cbranch_scc1 .LBB24_504
; %bb.501:
	s_cmp_gt_i32 s0, 3
	s_cbranch_scc0 .LBB24_505
; %bb.502:
	s_wait_loadcnt 0x0
	global_load_b64 v[2:3], v[0:1], off
	s_mov_b32 s1, 0
	s_wait_loadcnt 0x0
	v_xor_b32_e32 v5, v2, v3
	v_cls_i32_e32 v6, v3
	s_delay_alu instid0(VALU_DEP_2) | instskip(NEXT) | instid1(VALU_DEP_1)
	v_ashrrev_i32_e32 v5, 31, v5
	v_add_nc_u32_e32 v5, 32, v5
	s_delay_alu instid0(VALU_DEP_1) | instskip(NEXT) | instid1(VALU_DEP_1)
	v_add_min_u32_e64 v5, v6, -1, v5
	v_lshlrev_b64_e32 v[2:3], v5, v[2:3]
	s_delay_alu instid0(VALU_DEP_1) | instskip(NEXT) | instid1(VALU_DEP_1)
	v_min_u32_e32 v2, 1, v2
	v_dual_sub_nc_u32 v3, 32, v5 :: v_dual_bitop2_b32 v2, v3, v2 bitop3:0x54
	s_delay_alu instid0(VALU_DEP_1) | instskip(NEXT) | instid1(VALU_DEP_1)
	v_cvt_f32_i32_e32 v2, v2
	v_ldexp_f32 v2, v2, v3
	s_delay_alu instid0(VALU_DEP_1)
	v_cvt_f16_f32_e32 v2, v2
	s_branch .LBB24_506
.LBB24_503:
	s_mov_b32 s1, -1
                                        ; implicit-def: $vgpr2
	s_branch .LBB24_512
.LBB24_504:
	s_mov_b32 s1, -1
                                        ; implicit-def: $vgpr2
	s_branch .LBB24_509
.LBB24_505:
	s_mov_b32 s1, -1
                                        ; implicit-def: $vgpr2
.LBB24_506:
	s_delay_alu instid0(SALU_CYCLE_1)
	s_and_not1_b32 vcc_lo, exec_lo, s1
	s_cbranch_vccnz .LBB24_508
; %bb.507:
	s_wait_loadcnt 0x0
	global_load_b32 v2, v[0:1], off
	s_wait_loadcnt 0x0
	v_cvt_f32_i32_e32 v2, v2
	s_delay_alu instid0(VALU_DEP_1)
	v_cvt_f16_f32_e32 v2, v2
.LBB24_508:
	s_mov_b32 s1, 0
.LBB24_509:
	s_delay_alu instid0(SALU_CYCLE_1)
	s_and_not1_b32 vcc_lo, exec_lo, s1
	s_cbranch_vccnz .LBB24_511
; %bb.510:
	s_wait_loadcnt 0x0
	global_load_u16 v2, v[0:1], off
	s_wait_loadcnt 0x0
	v_cvt_f16_i16_e32 v2, v2
.LBB24_511:
	s_mov_b32 s1, 0
.LBB24_512:
	s_delay_alu instid0(SALU_CYCLE_1)
	s_and_not1_b32 vcc_lo, exec_lo, s1
	s_cbranch_vccnz .LBB24_518
; %bb.513:
	s_cmp_gt_i32 s0, 0
	s_mov_b32 s0, 0
	s_cbranch_scc0 .LBB24_515
; %bb.514:
	s_wait_loadcnt 0x0
	global_load_i8 v2, v[0:1], off
	s_wait_loadcnt 0x0
	v_cvt_f16_i16_e32 v2, v2
	s_branch .LBB24_516
.LBB24_515:
	s_mov_b32 s0, -1
                                        ; implicit-def: $vgpr2
.LBB24_516:
	s_delay_alu instid0(SALU_CYCLE_1)
	s_and_not1_b32 vcc_lo, exec_lo, s0
	s_cbranch_vccnz .LBB24_518
; %bb.517:
	global_load_u8 v0, v[0:1], off
	s_wait_loadcnt 0x0
	v_cvt_f16_u16_e32 v2, v0
.LBB24_518:
	s_branch .LBB24_270
.LBB24_519:
	s_mov_b32 s1, 0
	s_mov_b32 s0, s12
.LBB24_520:
                                        ; implicit-def: $vgpr4
.LBB24_521:
	s_and_not1_b32 s17, s12, exec_lo
	s_and_b32 s0, s0, exec_lo
	s_and_not1_b32 s19, s14, exec_lo
	s_and_b32 s16, s16, exec_lo
	s_or_b32 s17, s17, s0
	s_or_b32 s16, s19, s16
	s_or_not1_b32 s0, s1, exec_lo
.LBB24_522:
	s_wait_xcnt 0x0
	s_or_b32 exec_lo, exec_lo, s18
	s_mov_b32 s1, 0
	s_mov_b32 s19, 0
	;; [unrolled: 1-line block ×3, first 2 shown]
                                        ; implicit-def: $vgpr0_vgpr1
                                        ; implicit-def: $vgpr3
	s_and_saveexec_b32 s18, s0
	s_cbranch_execz .LBB24_872
; %bb.523:
	s_mov_b32 s20, -1
	s_mov_b32 s0, s16
	s_mov_b32 s1, s17
	s_mov_b32 s19, exec_lo
	v_cmpx_gt_i32_e64 s13, v4
	s_cbranch_execz .LBB24_786
; %bb.524:
	v_mul_lo_u32 v0, v4, s3
	s_and_b32 s0, 0xffff, s10
	s_delay_alu instid0(SALU_CYCLE_1) | instskip(NEXT) | instid1(VALU_DEP_1)
	s_cmp_lt_i32 s0, 11
	v_ashrrev_i32_e32 v1, 31, v0
	s_delay_alu instid0(VALU_DEP_1)
	v_add_nc_u64_e32 v[0:1], s[6:7], v[0:1]
	s_cbranch_scc1 .LBB24_531
; %bb.525:
	s_cmp_gt_i32 s0, 25
	s_cbranch_scc0 .LBB24_532
; %bb.526:
	s_cmp_gt_i32 s0, 28
	s_cbranch_scc0 .LBB24_533
	;; [unrolled: 3-line block ×4, first 2 shown]
; %bb.529:
	s_cmp_eq_u32 s0, 46
	s_mov_b32 s21, 0
	s_cbranch_scc0 .LBB24_540
; %bb.530:
	s_wait_loadcnt 0x0
	global_load_b32 v2, v[0:1], off
	s_mov_b32 s1, -1
	s_mov_b32 s20, 0
	s_wait_loadcnt 0x0
	v_lshlrev_b32_e32 v2, 16, v2
	s_delay_alu instid0(VALU_DEP_1)
	v_cvt_f16_f32_e32 v2, v2
	s_branch .LBB24_542
.LBB24_531:
	s_mov_b32 s21, -1
	s_mov_b32 s1, 0
	s_mov_b32 s20, s16
                                        ; implicit-def: $vgpr2
	s_branch .LBB24_607
.LBB24_532:
	s_mov_b32 s21, -1
	s_mov_b32 s1, 0
	s_mov_b32 s20, s16
                                        ; implicit-def: $vgpr2
	s_branch .LBB24_571
.LBB24_533:
	s_mov_b32 s21, -1
	s_mov_b32 s1, 0
	s_mov_b32 s20, s16
                                        ; implicit-def: $vgpr2
	s_branch .LBB24_552
.LBB24_534:
	s_mov_b32 s21, -1
	s_mov_b32 s1, 0
	s_mov_b32 s20, s16
                                        ; implicit-def: $vgpr2
	s_branch .LBB24_547
.LBB24_535:
	s_and_not1_saveexec_b32 s21, s21
	s_cbranch_execz .LBB24_359
.LBB24_536:
	v_add_f32_e64 v5, 0x46000000, |v3|
	s_and_not1_b32 s20, s20, exec_lo
	s_delay_alu instid0(VALU_DEP_1) | instskip(NEXT) | instid1(VALU_DEP_1)
	v_and_b32_e32 v5, 0xff, v5
	v_cmp_ne_u32_e32 vcc_lo, 0, v5
	s_and_b32 s22, vcc_lo, exec_lo
	s_delay_alu instid0(SALU_CYCLE_1)
	s_or_b32 s20, s20, s22
	s_or_b32 exec_lo, exec_lo, s21
	v_mov_b32_e32 v6, 0
	s_and_saveexec_b32 s21, s20
	s_cbranch_execnz .LBB24_360
	s_branch .LBB24_361
.LBB24_537:
	s_mov_b32 s21, -1
	s_mov_b32 s1, 0
	s_mov_b32 s20, s16
	s_branch .LBB24_541
.LBB24_538:
	s_and_not1_saveexec_b32 s21, s21
	s_cbranch_execz .LBB24_372
.LBB24_539:
	v_add_f32_e64 v5, 0x42800000, |v3|
	s_and_not1_b32 s20, s20, exec_lo
	s_delay_alu instid0(VALU_DEP_1) | instskip(NEXT) | instid1(VALU_DEP_1)
	v_and_b32_e32 v5, 0xff, v5
	v_cmp_ne_u32_e32 vcc_lo, 0, v5
	s_and_b32 s22, vcc_lo, exec_lo
	s_delay_alu instid0(SALU_CYCLE_1)
	s_or_b32 s20, s20, s22
	s_or_b32 exec_lo, exec_lo, s21
	v_mov_b32_e32 v6, 0
	s_and_saveexec_b32 s21, s20
	s_cbranch_execnz .LBB24_373
	s_branch .LBB24_374
.LBB24_540:
	s_mov_b32 s1, 0
.LBB24_541:
                                        ; implicit-def: $vgpr2
.LBB24_542:
	s_and_b32 vcc_lo, exec_lo, s21
	s_cbranch_vccz .LBB24_546
; %bb.543:
	s_cmp_eq_u32 s0, 44
	s_cbranch_scc0 .LBB24_545
; %bb.544:
	s_wait_loadcnt 0x0
	global_load_u8 v2, v[0:1], off
	s_mov_b32 s20, 0
	s_mov_b32 s1, -1
	s_wait_loadcnt 0x0
	v_lshlrev_b32_e32 v3, 23, v2
	v_cmp_ne_u32_e32 vcc_lo, 0xff, v2
	s_delay_alu instid0(VALU_DEP_2) | instskip(NEXT) | instid1(VALU_DEP_1)
	v_cvt_f16_f32_e32 v3, v3
	v_cndmask_b32_e32 v3, 0x7e00, v3, vcc_lo
	v_cmp_ne_u32_e32 vcc_lo, 0, v2
	s_delay_alu instid0(VALU_DEP_2)
	v_cndmask_b32_e32 v2, 0, v3, vcc_lo
	s_branch .LBB24_546
.LBB24_545:
	s_mov_b32 s20, -1
                                        ; implicit-def: $vgpr2
.LBB24_546:
	s_mov_b32 s21, 0
.LBB24_547:
	s_delay_alu instid0(SALU_CYCLE_1)
	s_and_b32 vcc_lo, exec_lo, s21
	s_cbranch_vccz .LBB24_551
; %bb.548:
	s_cmp_eq_u32 s0, 29
	s_cbranch_scc0 .LBB24_550
; %bb.549:
	s_wait_loadcnt 0x0
	global_load_b64 v[2:3], v[0:1], off
	s_mov_b32 s1, -1
	s_mov_b32 s20, 0
	s_mov_b32 s21, 0
	s_wait_loadcnt 0x0
	v_clz_i32_u32_e32 v5, v3
	s_delay_alu instid0(VALU_DEP_1) | instskip(NEXT) | instid1(VALU_DEP_1)
	v_min_u32_e32 v5, 32, v5
	v_lshlrev_b64_e32 v[2:3], v5, v[2:3]
	s_delay_alu instid0(VALU_DEP_1) | instskip(NEXT) | instid1(VALU_DEP_1)
	v_min_u32_e32 v2, 1, v2
	v_dual_sub_nc_u32 v3, 32, v5 :: v_dual_bitop2_b32 v2, v3, v2 bitop3:0x54
	s_delay_alu instid0(VALU_DEP_1) | instskip(NEXT) | instid1(VALU_DEP_1)
	v_cvt_f32_u32_e32 v2, v2
	v_ldexp_f32 v2, v2, v3
	s_delay_alu instid0(VALU_DEP_1)
	v_cvt_f16_f32_e32 v2, v2
	s_branch .LBB24_552
.LBB24_550:
	s_mov_b32 s20, -1
                                        ; implicit-def: $vgpr2
.LBB24_551:
	s_mov_b32 s21, 0
.LBB24_552:
	s_delay_alu instid0(SALU_CYCLE_1)
	s_and_b32 vcc_lo, exec_lo, s21
	s_cbranch_vccz .LBB24_570
; %bb.553:
	s_cmp_lt_i32 s0, 27
	s_cbranch_scc1 .LBB24_556
; %bb.554:
	s_cmp_gt_i32 s0, 27
	s_cbranch_scc0 .LBB24_557
; %bb.555:
	s_wait_loadcnt 0x0
	global_load_b32 v2, v[0:1], off
	s_mov_b32 s1, 0
	s_wait_loadcnt 0x0
	v_cvt_f32_u32_e32 v2, v2
	s_delay_alu instid0(VALU_DEP_1)
	v_cvt_f16_f32_e32 v2, v2
	s_branch .LBB24_558
.LBB24_556:
	s_mov_b32 s1, -1
                                        ; implicit-def: $vgpr2
	s_branch .LBB24_561
.LBB24_557:
	s_mov_b32 s1, -1
                                        ; implicit-def: $vgpr2
.LBB24_558:
	s_delay_alu instid0(SALU_CYCLE_1)
	s_and_not1_b32 vcc_lo, exec_lo, s1
	s_cbranch_vccnz .LBB24_560
; %bb.559:
	s_wait_loadcnt 0x0
	global_load_u16 v2, v[0:1], off
	s_wait_loadcnt 0x0
	v_cvt_f16_u16_e32 v2, v2
.LBB24_560:
	s_mov_b32 s1, 0
.LBB24_561:
	s_delay_alu instid0(SALU_CYCLE_1)
	s_and_not1_b32 vcc_lo, exec_lo, s1
	s_cbranch_vccnz .LBB24_569
; %bb.562:
	global_load_u8 v3, v[0:1], off
	s_mov_b32 s1, 0
	s_mov_b32 s21, exec_lo
	s_wait_loadcnt 0x0
	v_cmpx_lt_i16_e32 0x7f, v3
	s_xor_b32 s21, exec_lo, s21
	s_cbranch_execz .LBB24_583
; %bb.563:
	s_mov_b32 s1, -1
	s_mov_b32 s22, exec_lo
	v_cmpx_eq_u16_e32 0x80, v3
; %bb.564:
	s_xor_b32 s1, exec_lo, -1
; %bb.565:
	s_or_b32 exec_lo, exec_lo, s22
	s_delay_alu instid0(SALU_CYCLE_1)
	s_and_b32 s1, s1, exec_lo
	s_or_saveexec_b32 s21, s21
	v_mov_b32_e32 v2, 0x7e00
	s_xor_b32 exec_lo, exec_lo, s21
	s_cbranch_execnz .LBB24_584
.LBB24_566:
	s_or_b32 exec_lo, exec_lo, s21
	s_and_saveexec_b32 s21, s1
	s_cbranch_execz .LBB24_568
.LBB24_567:
	v_and_b32_e32 v2, 0xffff, v3
	s_delay_alu instid0(VALU_DEP_1) | instskip(SKIP_1) | instid1(VALU_DEP_2)
	v_dual_lshlrev_b32 v3, 24, v3 :: v_dual_bitop2_b32 v5, 7, v2 bitop3:0x40
	v_bfe_u32 v8, v2, 3, 4
	v_and_b32_e32 v3, 0x80000000, v3
	s_delay_alu instid0(VALU_DEP_3) | instskip(NEXT) | instid1(VALU_DEP_3)
	v_clz_i32_u32_e32 v6, v5
	v_cmp_eq_u32_e32 vcc_lo, 0, v8
	s_delay_alu instid0(VALU_DEP_2) | instskip(NEXT) | instid1(VALU_DEP_1)
	v_min_u32_e32 v6, 32, v6
	v_subrev_nc_u32_e32 v7, 28, v6
	v_sub_nc_u32_e32 v6, 29, v6
	s_delay_alu instid0(VALU_DEP_2) | instskip(NEXT) | instid1(VALU_DEP_2)
	v_lshlrev_b32_e32 v2, v7, v2
	v_cndmask_b32_e32 v6, v8, v6, vcc_lo
	s_delay_alu instid0(VALU_DEP_2) | instskip(NEXT) | instid1(VALU_DEP_1)
	v_and_b32_e32 v2, 7, v2
	v_cndmask_b32_e32 v2, v5, v2, vcc_lo
	s_delay_alu instid0(VALU_DEP_3) | instskip(NEXT) | instid1(VALU_DEP_2)
	v_lshl_add_u32 v5, v6, 23, 0x3b800000
	v_lshlrev_b32_e32 v2, 20, v2
	s_delay_alu instid0(VALU_DEP_1) | instskip(NEXT) | instid1(VALU_DEP_1)
	v_or3_b32 v2, v3, v5, v2
	v_cvt_f16_f32_e32 v2, v2
.LBB24_568:
	s_or_b32 exec_lo, exec_lo, s21
.LBB24_569:
	s_mov_b32 s1, -1
.LBB24_570:
	s_mov_b32 s21, 0
.LBB24_571:
	s_delay_alu instid0(SALU_CYCLE_1)
	s_and_b32 vcc_lo, exec_lo, s21
	s_cbranch_vccz .LBB24_606
; %bb.572:
	s_cmp_gt_i32 s0, 22
	s_cbranch_scc0 .LBB24_582
; %bb.573:
	s_cmp_lt_i32 s0, 24
	s_cbranch_scc1 .LBB24_585
; %bb.574:
	s_cmp_gt_i32 s0, 24
	s_cbranch_scc0 .LBB24_586
; %bb.575:
	global_load_u8 v3, v[0:1], off
	s_mov_b32 s1, 0
	s_mov_b32 s21, exec_lo
	s_wait_loadcnt 0x0
	v_cmpx_lt_i16_e32 0x7f, v3
	s_xor_b32 s21, exec_lo, s21
	s_cbranch_execz .LBB24_598
; %bb.576:
	s_mov_b32 s1, -1
	s_mov_b32 s22, exec_lo
	v_cmpx_eq_u16_e32 0x80, v3
; %bb.577:
	s_xor_b32 s1, exec_lo, -1
; %bb.578:
	s_or_b32 exec_lo, exec_lo, s22
	s_delay_alu instid0(SALU_CYCLE_1)
	s_and_b32 s1, s1, exec_lo
	s_or_saveexec_b32 s21, s21
	v_mov_b32_e32 v2, 0x7e00
	s_xor_b32 exec_lo, exec_lo, s21
	s_cbranch_execnz .LBB24_599
.LBB24_579:
	s_or_b32 exec_lo, exec_lo, s21
	s_and_saveexec_b32 s21, s1
	s_cbranch_execz .LBB24_581
.LBB24_580:
	v_and_b32_e32 v2, 0xffff, v3
	s_delay_alu instid0(VALU_DEP_1) | instskip(SKIP_1) | instid1(VALU_DEP_2)
	v_dual_lshlrev_b32 v3, 24, v3 :: v_dual_bitop2_b32 v5, 3, v2 bitop3:0x40
	v_bfe_u32 v8, v2, 2, 5
	v_and_b32_e32 v3, 0x80000000, v3
	s_delay_alu instid0(VALU_DEP_3) | instskip(NEXT) | instid1(VALU_DEP_3)
	v_clz_i32_u32_e32 v6, v5
	v_cmp_eq_u32_e32 vcc_lo, 0, v8
	s_delay_alu instid0(VALU_DEP_2) | instskip(NEXT) | instid1(VALU_DEP_1)
	v_min_u32_e32 v6, 32, v6
	v_subrev_nc_u32_e32 v7, 29, v6
	v_sub_nc_u32_e32 v6, 30, v6
	s_delay_alu instid0(VALU_DEP_2) | instskip(NEXT) | instid1(VALU_DEP_2)
	v_lshlrev_b32_e32 v2, v7, v2
	v_cndmask_b32_e32 v6, v8, v6, vcc_lo
	s_delay_alu instid0(VALU_DEP_2) | instskip(NEXT) | instid1(VALU_DEP_1)
	v_and_b32_e32 v2, 3, v2
	v_cndmask_b32_e32 v2, v5, v2, vcc_lo
	s_delay_alu instid0(VALU_DEP_3) | instskip(NEXT) | instid1(VALU_DEP_2)
	v_lshl_add_u32 v5, v6, 23, 0x37800000
	v_lshlrev_b32_e32 v2, 21, v2
	s_delay_alu instid0(VALU_DEP_1) | instskip(NEXT) | instid1(VALU_DEP_1)
	v_or3_b32 v2, v3, v5, v2
	v_cvt_f16_f32_e32 v2, v2
.LBB24_581:
	s_or_b32 exec_lo, exec_lo, s21
	s_mov_b32 s1, 0
	s_branch .LBB24_587
.LBB24_582:
	s_mov_b32 s21, -1
                                        ; implicit-def: $vgpr2
	s_branch .LBB24_593
.LBB24_583:
	s_or_saveexec_b32 s21, s21
	v_mov_b32_e32 v2, 0x7e00
	s_xor_b32 exec_lo, exec_lo, s21
	s_cbranch_execz .LBB24_566
.LBB24_584:
	v_cmp_ne_u16_e32 vcc_lo, 0, v3
	v_mov_b32_e32 v2, v3
	s_and_not1_b32 s1, s1, exec_lo
	s_and_b32 s22, vcc_lo, exec_lo
	s_delay_alu instid0(SALU_CYCLE_1)
	s_or_b32 s1, s1, s22
	s_or_b32 exec_lo, exec_lo, s21
	s_and_saveexec_b32 s21, s1
	s_cbranch_execnz .LBB24_567
	s_branch .LBB24_568
.LBB24_585:
	s_mov_b32 s1, -1
                                        ; implicit-def: $vgpr2
	s_branch .LBB24_590
.LBB24_586:
	s_mov_b32 s1, -1
                                        ; implicit-def: $vgpr2
.LBB24_587:
	s_delay_alu instid0(SALU_CYCLE_1)
	s_and_b32 vcc_lo, exec_lo, s1
	s_cbranch_vccz .LBB24_589
; %bb.588:
	s_wait_loadcnt 0x0
	global_load_u8 v2, v[0:1], off
	s_wait_loadcnt 0x0
	v_lshlrev_b32_e32 v2, 24, v2
	s_delay_alu instid0(VALU_DEP_1) | instskip(NEXT) | instid1(VALU_DEP_1)
	v_and_b32_e32 v3, 0x7f000000, v2
	v_clz_i32_u32_e32 v5, v3
	v_add_nc_u32_e32 v7, 0x1000000, v3
	v_cmp_ne_u32_e32 vcc_lo, 0, v3
	s_delay_alu instid0(VALU_DEP_3) | instskip(NEXT) | instid1(VALU_DEP_1)
	v_min_u32_e32 v5, 32, v5
	v_sub_nc_u32_e64 v5, v5, 4 clamp
	s_delay_alu instid0(VALU_DEP_1) | instskip(NEXT) | instid1(VALU_DEP_1)
	v_dual_lshlrev_b32 v6, v5, v3 :: v_dual_lshlrev_b32 v5, 23, v5
	v_lshrrev_b32_e32 v6, 4, v6
	s_delay_alu instid0(VALU_DEP_1) | instskip(NEXT) | instid1(VALU_DEP_1)
	v_dual_sub_nc_u32 v5, v6, v5 :: v_dual_ashrrev_i32 v6, 8, v7
	v_add_nc_u32_e32 v5, 0x3c000000, v5
	s_delay_alu instid0(VALU_DEP_1) | instskip(NEXT) | instid1(VALU_DEP_1)
	v_and_or_b32 v5, 0x7f800000, v6, v5
	v_cndmask_b32_e32 v3, 0, v5, vcc_lo
	s_delay_alu instid0(VALU_DEP_1) | instskip(NEXT) | instid1(VALU_DEP_1)
	v_and_or_b32 v2, 0x80000000, v2, v3
	v_cvt_f16_f32_e32 v2, v2
.LBB24_589:
	s_mov_b32 s1, 0
.LBB24_590:
	s_delay_alu instid0(SALU_CYCLE_1)
	s_and_not1_b32 vcc_lo, exec_lo, s1
	s_cbranch_vccnz .LBB24_592
; %bb.591:
	s_wait_loadcnt 0x0
	global_load_u8 v2, v[0:1], off
	s_wait_loadcnt 0x0
	v_lshlrev_b32_e32 v3, 25, v2
	v_lshlrev_b16 v2, 8, v2
	s_delay_alu instid0(VALU_DEP_2) | instskip(NEXT) | instid1(VALU_DEP_2)
	v_cmp_gt_u32_e32 vcc_lo, 0x8000000, v3
	v_and_or_b32 v6, 0x7f00, v2, 0.5
	v_lshrrev_b32_e32 v5, 4, v3
	v_bfe_i32 v2, v2, 0, 16
	s_delay_alu instid0(VALU_DEP_3) | instskip(NEXT) | instid1(VALU_DEP_3)
	v_add_f32_e32 v6, -0.5, v6
	v_or_b32_e32 v5, 0x70000000, v5
	s_delay_alu instid0(VALU_DEP_1) | instskip(NEXT) | instid1(VALU_DEP_1)
	v_mul_f32_e32 v5, 0x7800000, v5
	v_cndmask_b32_e32 v3, v5, v6, vcc_lo
	s_delay_alu instid0(VALU_DEP_1) | instskip(NEXT) | instid1(VALU_DEP_1)
	v_and_or_b32 v2, 0x80000000, v2, v3
	v_cvt_f16_f32_e32 v2, v2
.LBB24_592:
	s_mov_b32 s21, 0
	s_mov_b32 s1, -1
.LBB24_593:
	s_and_not1_b32 vcc_lo, exec_lo, s21
	s_cbranch_vccnz .LBB24_606
; %bb.594:
	s_cmp_gt_i32 s0, 14
	s_cbranch_scc0 .LBB24_597
; %bb.595:
	s_cmp_eq_u32 s0, 15
	s_cbranch_scc0 .LBB24_600
; %bb.596:
	s_wait_loadcnt 0x0
	global_load_u16 v2, v[0:1], off
	s_mov_b32 s1, -1
	s_mov_b32 s20, 0
	s_wait_loadcnt 0x0
	v_lshlrev_b32_e32 v2, 16, v2
	s_delay_alu instid0(VALU_DEP_1)
	v_cvt_f16_f32_e32 v2, v2
	s_branch .LBB24_601
.LBB24_597:
	s_mov_b32 s21, -1
                                        ; implicit-def: $vgpr2
	s_branch .LBB24_602
.LBB24_598:
	s_or_saveexec_b32 s21, s21
	v_mov_b32_e32 v2, 0x7e00
	s_xor_b32 exec_lo, exec_lo, s21
	s_cbranch_execz .LBB24_579
.LBB24_599:
	v_cmp_ne_u16_e32 vcc_lo, 0, v3
	v_mov_b32_e32 v2, v3
	s_and_not1_b32 s1, s1, exec_lo
	s_and_b32 s22, vcc_lo, exec_lo
	s_delay_alu instid0(SALU_CYCLE_1)
	s_or_b32 s1, s1, s22
	s_or_b32 exec_lo, exec_lo, s21
	s_and_saveexec_b32 s21, s1
	s_cbranch_execnz .LBB24_580
	s_branch .LBB24_581
.LBB24_600:
	s_mov_b32 s20, -1
                                        ; implicit-def: $vgpr2
.LBB24_601:
	s_mov_b32 s21, 0
.LBB24_602:
	s_delay_alu instid0(SALU_CYCLE_1)
	s_and_b32 vcc_lo, exec_lo, s21
	s_cbranch_vccz .LBB24_606
; %bb.603:
	s_cmp_eq_u32 s0, 11
	s_cbranch_scc0 .LBB24_605
; %bb.604:
	s_wait_loadcnt 0x0
	global_load_u8 v2, v[0:1], off
	s_mov_b32 s20, 0
	s_mov_b32 s1, -1
	s_wait_loadcnt 0x0
	v_cmp_ne_u16_e32 vcc_lo, 0, v2
	v_cndmask_b32_e64 v2, 0, 0x3c00, vcc_lo
	s_branch .LBB24_606
.LBB24_605:
	s_mov_b32 s20, -1
                                        ; implicit-def: $vgpr2
.LBB24_606:
	s_mov_b32 s21, 0
.LBB24_607:
	s_delay_alu instid0(SALU_CYCLE_1)
	s_and_b32 vcc_lo, exec_lo, s21
	s_cbranch_vccz .LBB24_656
; %bb.608:
	s_cmp_lt_i32 s0, 5
	s_cbranch_scc1 .LBB24_613
; %bb.609:
	s_cmp_lt_i32 s0, 8
	s_cbranch_scc1 .LBB24_614
; %bb.610:
	s_cmp_lt_i32 s0, 9
	s_cbranch_scc1 .LBB24_615
; %bb.611:
	s_cmp_gt_i32 s0, 9
	s_cbranch_scc0 .LBB24_616
; %bb.612:
	s_wait_loadcnt 0x0
	global_load_b64 v[2:3], v[0:1], off
	s_mov_b32 s1, 0
	s_wait_loadcnt 0x0
	v_and_or_b32 v2, 0x1ff, v3, v2
	v_lshrrev_b32_e32 v5, 8, v3
	v_bfe_u32 v6, v3, 20, 11
	v_lshrrev_b32_e32 v3, 16, v3
	s_delay_alu instid0(VALU_DEP_4) | instskip(NEXT) | instid1(VALU_DEP_3)
	v_cmp_ne_u32_e32 vcc_lo, 0, v2
	v_sub_nc_u32_e32 v7, 0x3f1, v6
	v_add_nc_u32_e32 v6, 0xfffffc10, v6
	v_cndmask_b32_e64 v2, 0, 1, vcc_lo
	s_delay_alu instid0(VALU_DEP_1) | instskip(NEXT) | instid1(VALU_DEP_4)
	v_and_or_b32 v2, 0xffe, v5, v2
	v_med3_i32 v5, v7, 0, 13
	s_delay_alu instid0(VALU_DEP_2) | instskip(NEXT) | instid1(VALU_DEP_1)
	v_or_b32_e32 v7, 0x1000, v2
	v_lshrrev_b32_e32 v8, v5, v7
	s_delay_alu instid0(VALU_DEP_1) | instskip(NEXT) | instid1(VALU_DEP_1)
	v_lshlrev_b32_e32 v5, v5, v8
	v_cmp_ne_u32_e32 vcc_lo, v5, v7
	v_lshl_or_b32 v7, v6, 12, v2
	v_cndmask_b32_e64 v5, 0, 1, vcc_lo
	v_cmp_gt_i32_e32 vcc_lo, 1, v6
	s_delay_alu instid0(VALU_DEP_2) | instskip(NEXT) | instid1(VALU_DEP_1)
	v_or_b32_e32 v5, v8, v5
	v_cndmask_b32_e32 v5, v7, v5, vcc_lo
	s_delay_alu instid0(VALU_DEP_1) | instskip(NEXT) | instid1(VALU_DEP_1)
	v_dual_lshrrev_b32 v5, 2, v5 :: v_dual_bitop2_b32 v7, 7, v5 bitop3:0x40
	v_cmp_lt_i32_e32 vcc_lo, 5, v7
	v_cndmask_b32_e64 v8, 0, 1, vcc_lo
	v_cmp_eq_u32_e32 vcc_lo, 3, v7
	v_cndmask_b32_e64 v7, 0, 1, vcc_lo
	v_cmp_ne_u32_e32 vcc_lo, 0, v2
	s_delay_alu instid0(VALU_DEP_2) | instskip(NEXT) | instid1(VALU_DEP_1)
	v_or_b32_e32 v7, v7, v8
	v_dual_mov_b32 v8, 0x7e00 :: v_dual_add_nc_u32 v5, v5, v7
	s_delay_alu instid0(VALU_DEP_1) | instskip(SKIP_1) | instid1(VALU_DEP_3)
	v_cndmask_b32_e32 v2, 0x7c00, v8, vcc_lo
	v_cmp_gt_i32_e32 vcc_lo, 31, v6
	v_cndmask_b32_e32 v5, 0x7c00, v5, vcc_lo
	v_cmp_eq_u32_e32 vcc_lo, 0x40f, v6
	s_delay_alu instid0(VALU_DEP_2) | instskip(NEXT) | instid1(VALU_DEP_1)
	v_cndmask_b32_e32 v2, v5, v2, vcc_lo
	v_and_or_b32 v2, 0x8000, v3, v2
	s_branch .LBB24_617
.LBB24_613:
	s_mov_b32 s1, -1
                                        ; implicit-def: $vgpr2
	s_branch .LBB24_635
.LBB24_614:
	s_mov_b32 s1, -1
                                        ; implicit-def: $vgpr2
	s_branch .LBB24_623
.LBB24_615:
	s_mov_b32 s1, -1
                                        ; implicit-def: $vgpr2
	s_branch .LBB24_620
.LBB24_616:
	s_mov_b32 s1, -1
                                        ; implicit-def: $vgpr2
.LBB24_617:
	s_delay_alu instid0(SALU_CYCLE_1)
	s_and_not1_b32 vcc_lo, exec_lo, s1
	s_cbranch_vccnz .LBB24_619
; %bb.618:
	s_wait_loadcnt 0x0
	global_load_b32 v2, v[0:1], off
	s_wait_loadcnt 0x0
	v_cvt_f16_f32_e32 v2, v2
.LBB24_619:
	s_mov_b32 s1, 0
.LBB24_620:
	s_delay_alu instid0(SALU_CYCLE_1)
	s_and_not1_b32 vcc_lo, exec_lo, s1
	s_cbranch_vccnz .LBB24_622
; %bb.621:
	s_wait_loadcnt 0x0
	global_load_b32 v2, v[0:1], off
.LBB24_622:
	s_mov_b32 s1, 0
.LBB24_623:
	s_delay_alu instid0(SALU_CYCLE_1)
	s_and_not1_b32 vcc_lo, exec_lo, s1
	s_cbranch_vccnz .LBB24_634
; %bb.624:
	s_cmp_lt_i32 s0, 6
	s_cbranch_scc1 .LBB24_627
; %bb.625:
	s_cmp_gt_i32 s0, 6
	s_cbranch_scc0 .LBB24_628
; %bb.626:
	s_wait_loadcnt 0x0
	global_load_b64 v[2:3], v[0:1], off
	s_mov_b32 s1, 0
	s_wait_loadcnt 0x0
	v_and_or_b32 v2, 0x1ff, v3, v2
	v_lshrrev_b32_e32 v5, 8, v3
	v_bfe_u32 v6, v3, 20, 11
	v_lshrrev_b32_e32 v3, 16, v3
	s_delay_alu instid0(VALU_DEP_4) | instskip(NEXT) | instid1(VALU_DEP_3)
	v_cmp_ne_u32_e32 vcc_lo, 0, v2
	v_sub_nc_u32_e32 v7, 0x3f1, v6
	v_add_nc_u32_e32 v6, 0xfffffc10, v6
	v_cndmask_b32_e64 v2, 0, 1, vcc_lo
	s_delay_alu instid0(VALU_DEP_1) | instskip(NEXT) | instid1(VALU_DEP_4)
	v_and_or_b32 v2, 0xffe, v5, v2
	v_med3_i32 v5, v7, 0, 13
	s_delay_alu instid0(VALU_DEP_2) | instskip(NEXT) | instid1(VALU_DEP_1)
	v_or_b32_e32 v7, 0x1000, v2
	v_lshrrev_b32_e32 v8, v5, v7
	s_delay_alu instid0(VALU_DEP_1) | instskip(NEXT) | instid1(VALU_DEP_1)
	v_lshlrev_b32_e32 v5, v5, v8
	v_cmp_ne_u32_e32 vcc_lo, v5, v7
	v_lshl_or_b32 v7, v6, 12, v2
	v_cndmask_b32_e64 v5, 0, 1, vcc_lo
	v_cmp_gt_i32_e32 vcc_lo, 1, v6
	s_delay_alu instid0(VALU_DEP_2) | instskip(NEXT) | instid1(VALU_DEP_1)
	v_or_b32_e32 v5, v8, v5
	v_cndmask_b32_e32 v5, v7, v5, vcc_lo
	s_delay_alu instid0(VALU_DEP_1) | instskip(NEXT) | instid1(VALU_DEP_1)
	v_dual_lshrrev_b32 v5, 2, v5 :: v_dual_bitop2_b32 v7, 7, v5 bitop3:0x40
	v_cmp_lt_i32_e32 vcc_lo, 5, v7
	v_cndmask_b32_e64 v8, 0, 1, vcc_lo
	v_cmp_eq_u32_e32 vcc_lo, 3, v7
	v_cndmask_b32_e64 v7, 0, 1, vcc_lo
	v_cmp_ne_u32_e32 vcc_lo, 0, v2
	s_delay_alu instid0(VALU_DEP_2) | instskip(NEXT) | instid1(VALU_DEP_1)
	v_or_b32_e32 v7, v7, v8
	v_dual_mov_b32 v8, 0x7e00 :: v_dual_add_nc_u32 v5, v5, v7
	s_delay_alu instid0(VALU_DEP_1) | instskip(SKIP_1) | instid1(VALU_DEP_3)
	v_cndmask_b32_e32 v2, 0x7c00, v8, vcc_lo
	v_cmp_gt_i32_e32 vcc_lo, 31, v6
	v_cndmask_b32_e32 v5, 0x7c00, v5, vcc_lo
	v_cmp_eq_u32_e32 vcc_lo, 0x40f, v6
	s_delay_alu instid0(VALU_DEP_2) | instskip(NEXT) | instid1(VALU_DEP_1)
	v_cndmask_b32_e32 v2, v5, v2, vcc_lo
	v_and_or_b32 v2, 0x8000, v3, v2
	s_branch .LBB24_629
.LBB24_627:
	s_mov_b32 s1, -1
                                        ; implicit-def: $vgpr2
	s_branch .LBB24_632
.LBB24_628:
	s_mov_b32 s1, -1
                                        ; implicit-def: $vgpr2
.LBB24_629:
	s_delay_alu instid0(SALU_CYCLE_1)
	s_and_not1_b32 vcc_lo, exec_lo, s1
	s_cbranch_vccnz .LBB24_631
; %bb.630:
	s_wait_loadcnt 0x0
	global_load_b32 v2, v[0:1], off
	s_wait_loadcnt 0x0
	v_cvt_f16_f32_e32 v2, v2
.LBB24_631:
	s_mov_b32 s1, 0
.LBB24_632:
	s_delay_alu instid0(SALU_CYCLE_1)
	s_and_not1_b32 vcc_lo, exec_lo, s1
	s_cbranch_vccnz .LBB24_634
; %bb.633:
	s_wait_loadcnt 0x0
	global_load_u16 v2, v[0:1], off
.LBB24_634:
	s_mov_b32 s1, 0
.LBB24_635:
	s_delay_alu instid0(SALU_CYCLE_1)
	s_and_not1_b32 vcc_lo, exec_lo, s1
	s_cbranch_vccnz .LBB24_655
; %bb.636:
	s_cmp_lt_i32 s0, 2
	s_cbranch_scc1 .LBB24_640
; %bb.637:
	s_cmp_lt_i32 s0, 3
	s_cbranch_scc1 .LBB24_641
; %bb.638:
	s_cmp_gt_i32 s0, 3
	s_cbranch_scc0 .LBB24_642
; %bb.639:
	s_wait_loadcnt 0x0
	global_load_b64 v[2:3], v[0:1], off
	s_mov_b32 s1, 0
	s_wait_loadcnt 0x0
	v_xor_b32_e32 v5, v2, v3
	v_cls_i32_e32 v6, v3
	s_delay_alu instid0(VALU_DEP_2) | instskip(NEXT) | instid1(VALU_DEP_1)
	v_ashrrev_i32_e32 v5, 31, v5
	v_add_nc_u32_e32 v5, 32, v5
	s_delay_alu instid0(VALU_DEP_1) | instskip(NEXT) | instid1(VALU_DEP_1)
	v_add_min_u32_e64 v5, v6, -1, v5
	v_lshlrev_b64_e32 v[2:3], v5, v[2:3]
	s_delay_alu instid0(VALU_DEP_1) | instskip(NEXT) | instid1(VALU_DEP_1)
	v_min_u32_e32 v2, 1, v2
	v_dual_sub_nc_u32 v3, 32, v5 :: v_dual_bitop2_b32 v2, v3, v2 bitop3:0x54
	s_delay_alu instid0(VALU_DEP_1) | instskip(NEXT) | instid1(VALU_DEP_1)
	v_cvt_f32_i32_e32 v2, v2
	v_ldexp_f32 v2, v2, v3
	s_delay_alu instid0(VALU_DEP_1)
	v_cvt_f16_f32_e32 v2, v2
	s_branch .LBB24_643
.LBB24_640:
	s_mov_b32 s1, -1
                                        ; implicit-def: $vgpr2
	s_branch .LBB24_649
.LBB24_641:
	s_mov_b32 s1, -1
                                        ; implicit-def: $vgpr2
	s_branch .LBB24_646
.LBB24_642:
	s_mov_b32 s1, -1
                                        ; implicit-def: $vgpr2
.LBB24_643:
	s_delay_alu instid0(SALU_CYCLE_1)
	s_and_not1_b32 vcc_lo, exec_lo, s1
	s_cbranch_vccnz .LBB24_645
; %bb.644:
	s_wait_loadcnt 0x0
	global_load_b32 v2, v[0:1], off
	s_wait_loadcnt 0x0
	v_cvt_f32_i32_e32 v2, v2
	s_delay_alu instid0(VALU_DEP_1)
	v_cvt_f16_f32_e32 v2, v2
.LBB24_645:
	s_mov_b32 s1, 0
.LBB24_646:
	s_delay_alu instid0(SALU_CYCLE_1)
	s_and_not1_b32 vcc_lo, exec_lo, s1
	s_cbranch_vccnz .LBB24_648
; %bb.647:
	s_wait_loadcnt 0x0
	global_load_u16 v2, v[0:1], off
	s_wait_loadcnt 0x0
	v_cvt_f16_i16_e32 v2, v2
.LBB24_648:
	s_mov_b32 s1, 0
.LBB24_649:
	s_delay_alu instid0(SALU_CYCLE_1)
	s_and_not1_b32 vcc_lo, exec_lo, s1
	s_cbranch_vccnz .LBB24_655
; %bb.650:
	s_cmp_gt_i32 s0, 0
	s_mov_b32 s0, 0
	s_cbranch_scc0 .LBB24_652
; %bb.651:
	s_wait_loadcnt 0x0
	global_load_i8 v2, v[0:1], off
	s_wait_loadcnt 0x0
	v_cvt_f16_i16_e32 v2, v2
	s_branch .LBB24_653
.LBB24_652:
	s_mov_b32 s0, -1
                                        ; implicit-def: $vgpr2
.LBB24_653:
	s_delay_alu instid0(SALU_CYCLE_1)
	s_and_not1_b32 vcc_lo, exec_lo, s0
	s_cbranch_vccnz .LBB24_655
; %bb.654:
	global_load_u8 v0, v[0:1], off
	s_wait_loadcnt 0x0
	v_cvt_f16_u16_e32 v2, v0
.LBB24_655:
	s_mov_b32 s1, -1
.LBB24_656:
	s_delay_alu instid0(SALU_CYCLE_1)
	s_and_not1_b32 vcc_lo, exec_lo, s1
	s_cbranch_vccnz .LBB24_668
; %bb.657:
	s_wait_loadcnt 0x0
	v_cvt_f32_f16_e32 v0, v2
                                        ; implicit-def: $vgpr3
                                        ; implicit-def: $vgpr2
	s_mov_b32 s1, exec_lo
	s_delay_alu instid0(VALU_DEP_1)
	v_and_b32_e32 v1, 0x7fffffff, v0
	v_cmpx_ngt_f32_e64 0x48000000, |v0|
	s_xor_b32 s21, exec_lo, s1
	s_cbranch_execz .LBB24_659
; %bb.658:
	s_mov_b32 s0, 0x7fffff
	v_mov_b32_e32 v3, 0
	v_and_or_b32 v2, v1, s0, 0x800000
	s_mov_b64 s[0:1], 0xfe5163ab
	v_lshrrev_b32_e32 v5, 23, v1
	s_delay_alu instid0(VALU_DEP_2) | instskip(NEXT) | instid1(VALU_DEP_1)
	v_mul_u64_e32 v[6:7], s[0:1], v[2:3]
	v_dual_mov_b32 v8, v7 :: v_dual_mov_b32 v9, v3
	v_dual_mov_b32 v11, v3 :: v_dual_mov_b32 v13, v3
	v_mov_b32_e32 v15, v3
	s_delay_alu instid0(VALU_DEP_3) | instskip(NEXT) | instid1(VALU_DEP_1)
	v_mad_nc_u64_u32 v[8:9], 0x3c439041, v2, v[8:9]
	v_mov_b32_e32 v10, v9
	s_delay_alu instid0(VALU_DEP_1) | instskip(NEXT) | instid1(VALU_DEP_1)
	v_mad_nc_u64_u32 v[10:11], 0xdb629599, v2, v[10:11]
	v_mov_b32_e32 v12, v11
	s_delay_alu instid0(VALU_DEP_1) | instskip(NEXT) | instid1(VALU_DEP_1)
	;; [unrolled: 3-line block ×3, first 2 shown]
	v_mad_nc_u64_u32 v[14:15], 0xfc2757d1, v2, v[14:15]
	v_dual_mov_b32 v17, v3 :: v_dual_mov_b32 v16, v15
	s_delay_alu instid0(VALU_DEP_1) | instskip(NEXT) | instid1(VALU_DEP_1)
	v_mad_nc_u64_u32 v[16:17], 0x4e441529, v2, v[16:17]
	v_dual_mov_b32 v18, v17 :: v_dual_add_nc_u32 v5, 0xffffff88, v5
	s_delay_alu instid0(VALU_DEP_1) | instskip(SKIP_2) | instid1(VALU_DEP_2)
	v_cmp_lt_u32_e32 vcc_lo, 63, v5
	v_mov_b32_e32 v19, v3
	v_cndmask_b32_e64 v7, 0, 0xffffffc0, vcc_lo
	v_mad_nc_u64_u32 v[2:3], 0xa2f9836e, v2, v[18:19]
	v_dual_cndmask_b32 v9, v16, v12, vcc_lo :: v_dual_cndmask_b32 v11, v14, v10, vcc_lo
	s_delay_alu instid0(VALU_DEP_3) | instskip(NEXT) | instid1(VALU_DEP_1)
	v_dual_cndmask_b32 v6, v10, v6 :: v_dual_add_nc_u32 v5, v7, v5
	v_cmp_lt_u32_e64 s0, 31, v5
	s_delay_alu instid0(VALU_DEP_4) | instskip(NEXT) | instid1(VALU_DEP_2)
	v_dual_cndmask_b32 v2, v2, v14 :: v_dual_cndmask_b32 v3, v3, v16
	v_cndmask_b32_e64 v7, 0, 0xffffffe0, s0
	s_delay_alu instid0(VALU_DEP_1) | instskip(NEXT) | instid1(VALU_DEP_1)
	v_add_nc_u32_e32 v5, v7, v5
	v_cmp_lt_u32_e64 s1, 31, v5
	s_delay_alu instid0(VALU_DEP_1) | instskip(NEXT) | instid1(VALU_DEP_1)
	v_cndmask_b32_e64 v7, 0, 0xffffffe0, s1
	v_dual_add_nc_u32 v5, v7, v5 :: v_dual_cndmask_b32 v7, v12, v8, vcc_lo
	v_dual_cndmask_b32 v8, v2, v9, s0 :: v_dual_cndmask_b32 v2, v3, v2, s0
	s_delay_alu instid0(VALU_DEP_2) | instskip(NEXT) | instid1(VALU_DEP_3)
	v_dual_cndmask_b32 v3, v9, v11, s0 :: v_dual_sub_nc_u32 v9, 32, v5
	v_cndmask_b32_e64 v11, v11, v7, s0
	v_cmp_eq_u32_e32 vcc_lo, 0, v5
	s_delay_alu instid0(VALU_DEP_3) | instskip(SKIP_1) | instid1(VALU_DEP_4)
	v_dual_cndmask_b32 v2, v2, v8, s1 :: v_dual_cndmask_b32 v8, v8, v3, s1
	v_cndmask_b32_e64 v5, v7, v6, s0
	v_cndmask_b32_e64 v3, v3, v11, s1
	s_delay_alu instid0(VALU_DEP_3) | instskip(NEXT) | instid1(VALU_DEP_2)
	v_alignbit_b32 v12, v2, v8, v9
	v_alignbit_b32 v10, v8, v3, v9
	s_delay_alu instid0(VALU_DEP_1) | instskip(NEXT) | instid1(VALU_DEP_1)
	v_dual_cndmask_b32 v2, v12, v2, vcc_lo :: v_dual_cndmask_b32 v6, v10, v8, vcc_lo
	v_bfe_u32 v7, v2, 29, 1
	s_delay_alu instid0(VALU_DEP_2) | instskip(NEXT) | instid1(VALU_DEP_2)
	v_alignbit_b32 v8, v2, v6, 30
	v_dual_sub_nc_u32 v10, 0, v7 :: v_dual_cndmask_b32 v5, v11, v5, s1
	s_delay_alu instid0(VALU_DEP_1) | instskip(NEXT) | instid1(VALU_DEP_2)
	v_xor_b32_e32 v8, v8, v10
	v_alignbit_b32 v9, v3, v5, v9
	s_delay_alu instid0(VALU_DEP_1) | instskip(NEXT) | instid1(VALU_DEP_3)
	v_cndmask_b32_e32 v3, v9, v3, vcc_lo
	v_clz_i32_u32_e32 v9, v8
	s_delay_alu instid0(VALU_DEP_2) | instskip(NEXT) | instid1(VALU_DEP_2)
	v_alignbit_b32 v6, v6, v3, 30
	v_min_u32_e32 v9, 32, v9
	v_alignbit_b32 v3, v3, v5, 30
	s_delay_alu instid0(VALU_DEP_2) | instskip(NEXT) | instid1(VALU_DEP_2)
	v_dual_sub_nc_u32 v6, 31, v9 :: v_dual_bitop2_b32 v5, v6, v10 bitop3:0x14
	v_xor_b32_e32 v3, v3, v10
	v_dual_lshrrev_b32 v10, 29, v2 :: v_dual_lshlrev_b32 v11, 23, v9
	s_delay_alu instid0(VALU_DEP_3) | instskip(NEXT) | instid1(VALU_DEP_3)
	v_alignbit_b32 v8, v8, v5, v6
	v_alignbit_b32 v3, v5, v3, v6
	s_delay_alu instid0(VALU_DEP_3) | instskip(NEXT) | instid1(VALU_DEP_2)
	v_lshlrev_b32_e32 v5, 31, v10
	v_alignbit_b32 v6, v8, v3, 9
	s_delay_alu instid0(VALU_DEP_2) | instskip(NEXT) | instid1(VALU_DEP_2)
	v_dual_lshrrev_b32 v8, 9, v8 :: v_dual_bitop2_b32 v10, 0.5, v5 bitop3:0x54
	v_clz_i32_u32_e32 v12, v6
	s_delay_alu instid0(VALU_DEP_2) | instskip(SKIP_1) | instid1(VALU_DEP_3)
	v_sub_nc_u32_e32 v10, v10, v11
	v_or_b32_e32 v5, 0x33000000, v5
	v_min_u32_e32 v11, 32, v12
	s_delay_alu instid0(VALU_DEP_1) | instskip(NEXT) | instid1(VALU_DEP_4)
	v_add_lshl_u32 v9, v11, v9, 23
	v_or_b32_e32 v8, v8, v10
	v_not_b32_e32 v10, v11
	s_delay_alu instid0(VALU_DEP_3) | instskip(NEXT) | instid1(VALU_DEP_2)
	v_sub_nc_u32_e32 v5, v5, v9
	v_alignbit_b32 v3, v6, v3, v10
	s_delay_alu instid0(VALU_DEP_1) | instskip(NEXT) | instid1(VALU_DEP_1)
	v_dual_mul_f32 v12, 0x3fc90fda, v8 :: v_dual_lshrrev_b32 v3, 9, v3
	v_fma_f32 v6, 0x3fc90fda, v8, -v12
	s_delay_alu instid0(VALU_DEP_2) | instskip(NEXT) | instid1(VALU_DEP_2)
	v_or_b32_e32 v3, v5, v3
	v_fmamk_f32 v6, v8, 0x33a22168, v6
	s_delay_alu instid0(VALU_DEP_1) | instskip(NEXT) | instid1(VALU_DEP_1)
	v_dual_fmac_f32 v6, 0x3fc90fda, v3 :: v_dual_lshrrev_b32 v3, 30, v2
	v_dual_add_f32 v2, v12, v6 :: v_dual_add_nc_u32 v3, v7, v3
.LBB24_659:
	s_and_not1_saveexec_b32 s0, s21
; %bb.660:
	v_mul_f32_e64 v2, 0x3f22f983, |v0|
	s_delay_alu instid0(VALU_DEP_1) | instskip(NEXT) | instid1(VALU_DEP_1)
	v_rndne_f32_e32 v3, v2
	v_fma_f32 v2, 0xbfc90fda, v3, |v0|
	s_delay_alu instid0(VALU_DEP_1) | instskip(NEXT) | instid1(VALU_DEP_1)
	v_fmamk_f32 v2, v3, 0xb3a22168, v2
	v_fmamk_f32 v2, v3, 0xa7c234c4, v2
	v_cvt_i32_f32_e32 v3, v3
; %bb.661:
	s_or_b32 exec_lo, exec_lo, s0
	s_delay_alu instid0(VALU_DEP_1) | instskip(SKIP_3) | instid1(VALU_DEP_1)
	v_dual_mul_f32 v5, v2, v2 :: v_dual_bitop2_b32 v8, 1, v3 bitop3:0x40
	s_mov_b32 s0, 0xb94c1982
	s_mov_b32 s1, 0x37d75334
	s_mov_b32 s22, 0
	v_dual_fmaak_f32 v6, s0, v5, 0x3c0881c4 :: v_dual_lshlrev_b32 v3, 30, v3
	v_cmp_eq_u32_e32 vcc_lo, 0, v8
	s_mov_b32 s21, -1
	s_mov_b32 s0, s17
	s_delay_alu instid0(VALU_DEP_2) | instskip(SKIP_3) | instid1(SALU_CYCLE_1)
	v_fmaak_f32 v6, v5, v6, 0xbe2aaa9d
	v_fmaak_f32 v7, s1, v5, 0xbab64f3b
	v_and_b32_e32 v3, 0x80000000, v3
	s_and_b32 s1, s8, 0xff
	s_cmp_lt_i32 s1, 11
	s_delay_alu instid0(VALU_DEP_2) | instskip(NEXT) | instid1(VALU_DEP_1)
	v_dual_mul_f32 v6, v5, v6 :: v_dual_fmaak_f32 v7, v5, v7, 0x3d2aabf7
	v_dual_fmac_f32 v2, v2, v6 :: v_dual_fmaak_f32 v7, v5, v7, 0xbf000004
	v_mul_lo_u32 v6, v4, s2
	v_xor_b32_e32 v1, v1, v0
	s_delay_alu instid0(VALU_DEP_3) | instskip(NEXT) | instid1(VALU_DEP_1)
	v_fma_f32 v5, v5, v7, 1.0
	v_cndmask_b32_e32 v2, v5, v2, vcc_lo
	v_cmp_class_f32_e64 vcc_lo, v0, 0x1f8
	v_ashrrev_i32_e32 v7, 31, v6
	s_delay_alu instid0(VALU_DEP_3) | instskip(NEXT) | instid1(VALU_DEP_1)
	v_xor3_b32 v1, v1, v3, v2
	v_cndmask_b32_e32 v2, 0x7fc00000, v1, vcc_lo
	s_delay_alu instid0(VALU_DEP_3) | instskip(NEXT) | instid1(VALU_DEP_2)
	v_add_nc_u64_e32 v[0:1], s[4:5], v[6:7]
	v_cvt_f16_f32_e32 v2, v2
	s_cbranch_scc1 .LBB24_669
; %bb.662:
	s_and_b32 s21, 0xffff, s1
	s_delay_alu instid0(SALU_CYCLE_1)
	s_cmp_gt_i32 s21, 25
	s_cbranch_scc0 .LBB24_710
; %bb.663:
	s_cmp_gt_i32 s21, 28
	s_cbranch_scc0 .LBB24_711
; %bb.664:
	;; [unrolled: 3-line block ×4, first 2 shown]
	s_mov_b32 s23, 0
	s_mov_b32 s0, -1
	s_cmp_eq_u32 s21, 46
	s_cbranch_scc0 .LBB24_714
; %bb.667:
	v_cvt_f32_f16_e32 v3, v2
	v_cmp_o_f16_e32 vcc_lo, v2, v2
	s_mov_b32 s22, -1
	s_mov_b32 s0, 0
	s_delay_alu instid0(VALU_DEP_2) | instskip(NEXT) | instid1(VALU_DEP_1)
	v_bfe_u32 v5, v3, 16, 1
	v_add3_u32 v3, v3, v5, 0x7fff
	s_delay_alu instid0(VALU_DEP_1) | instskip(NEXT) | instid1(VALU_DEP_1)
	v_lshrrev_b32_e32 v3, 16, v3
	v_cndmask_b32_e32 v3, 0x7fc0, v3, vcc_lo
	global_store_b32 v[0:1], v3, off
	s_branch .LBB24_714
.LBB24_668:
	s_mov_b32 s21, 0
	s_mov_b32 s0, s17
	s_branch .LBB24_709
.LBB24_669:
	s_and_b32 vcc_lo, exec_lo, s21
	s_cbranch_vccz .LBB24_783
; %bb.670:
	s_and_b32 s1, 0xffff, s1
	s_mov_b32 s21, -1
	s_cmp_lt_i32 s1, 5
	s_cbranch_scc1 .LBB24_691
; %bb.671:
	s_cmp_lt_i32 s1, 8
	s_cbranch_scc1 .LBB24_681
; %bb.672:
	;; [unrolled: 3-line block ×3, first 2 shown]
	s_cmp_gt_i32 s1, 9
	s_cbranch_scc0 .LBB24_675
; %bb.674:
	s_wait_xcnt 0x0
	v_cvt_f32_f16_e32 v3, v2
	v_mov_b32_e32 v8, 0
	s_mov_b32 s21, 0
	s_delay_alu instid0(VALU_DEP_2) | instskip(NEXT) | instid1(VALU_DEP_2)
	v_cvt_f64_f32_e32 v[6:7], v3
	v_mov_b32_e32 v9, v8
	global_store_b128 v[0:1], v[6:9], off
.LBB24_675:
	s_and_not1_b32 vcc_lo, exec_lo, s21
	s_cbranch_vccnz .LBB24_677
; %bb.676:
	s_wait_xcnt 0x0
	v_cvt_f32_f16_e32 v6, v2
	v_mov_b32_e32 v7, 0
	global_store_b64 v[0:1], v[6:7], off
.LBB24_677:
	s_mov_b32 s21, 0
.LBB24_678:
	s_delay_alu instid0(SALU_CYCLE_1)
	s_and_not1_b32 vcc_lo, exec_lo, s21
	s_cbranch_vccnz .LBB24_680
; %bb.679:
	s_wait_xcnt 0x0
	v_and_b32_e32 v3, 0xffff, v2
	global_store_b32 v[0:1], v3, off
.LBB24_680:
	s_mov_b32 s21, 0
.LBB24_681:
	s_delay_alu instid0(SALU_CYCLE_1)
	s_and_not1_b32 vcc_lo, exec_lo, s21
	s_cbranch_vccnz .LBB24_690
; %bb.682:
	s_cmp_lt_i32 s1, 6
	s_mov_b32 s21, -1
	s_cbranch_scc1 .LBB24_688
; %bb.683:
	s_cmp_gt_i32 s1, 6
	s_cbranch_scc0 .LBB24_685
; %bb.684:
	s_wait_xcnt 0x0
	v_cvt_f32_f16_e32 v3, v2
	s_mov_b32 s21, 0
	s_delay_alu instid0(VALU_DEP_1)
	v_cvt_f64_f32_e32 v[6:7], v3
	global_store_b64 v[0:1], v[6:7], off
.LBB24_685:
	s_and_not1_b32 vcc_lo, exec_lo, s21
	s_cbranch_vccnz .LBB24_687
; %bb.686:
	s_wait_xcnt 0x0
	v_cvt_f32_f16_e32 v3, v2
	global_store_b32 v[0:1], v3, off
.LBB24_687:
	s_mov_b32 s21, 0
.LBB24_688:
	s_delay_alu instid0(SALU_CYCLE_1)
	s_and_not1_b32 vcc_lo, exec_lo, s21
	s_cbranch_vccnz .LBB24_690
; %bb.689:
	global_store_b16 v[0:1], v2, off
.LBB24_690:
	s_mov_b32 s21, 0
.LBB24_691:
	s_delay_alu instid0(SALU_CYCLE_1)
	s_and_not1_b32 vcc_lo, exec_lo, s21
	s_cbranch_vccnz .LBB24_707
; %bb.692:
	s_cmp_lt_i32 s1, 2
	s_mov_b32 s21, -1
	s_cbranch_scc1 .LBB24_702
; %bb.693:
	s_cmp_lt_i32 s1, 3
	s_cbranch_scc1 .LBB24_699
; %bb.694:
	s_cmp_gt_i32 s1, 3
	s_cbranch_scc0 .LBB24_696
; %bb.695:
	s_wait_xcnt 0x0
	v_cvt_f32_f16_e32 v3, v2
	s_mov_b32 s21, 0
	s_delay_alu instid0(VALU_DEP_1) | instskip(NEXT) | instid1(VALU_DEP_1)
	v_cvt_i32_f32_e32 v6, v3
	v_ashrrev_i32_e32 v7, 31, v6
	global_store_b64 v[0:1], v[6:7], off
.LBB24_696:
	s_and_not1_b32 vcc_lo, exec_lo, s21
	s_cbranch_vccnz .LBB24_698
; %bb.697:
	s_wait_xcnt 0x0
	v_cvt_f32_f16_e32 v3, v2
	s_delay_alu instid0(VALU_DEP_1)
	v_cvt_i32_f32_e32 v3, v3
	global_store_b32 v[0:1], v3, off
.LBB24_698:
	s_mov_b32 s21, 0
.LBB24_699:
	s_delay_alu instid0(SALU_CYCLE_1)
	s_and_not1_b32 vcc_lo, exec_lo, s21
	s_cbranch_vccnz .LBB24_701
; %bb.700:
	s_wait_xcnt 0x0
	v_cvt_i16_f16_e32 v3, v2
	global_store_b16 v[0:1], v3, off
.LBB24_701:
	s_mov_b32 s21, 0
.LBB24_702:
	s_delay_alu instid0(SALU_CYCLE_1)
	s_and_not1_b32 vcc_lo, exec_lo, s21
	s_cbranch_vccnz .LBB24_707
; %bb.703:
	s_cmp_gt_i32 s1, 0
	s_mov_b32 s1, -1
	s_cbranch_scc0 .LBB24_705
; %bb.704:
	s_wait_xcnt 0x0
	v_cvt_i16_f16_e32 v3, v2
	s_mov_b32 s1, 0
	global_store_b8 v[0:1], v3, off
.LBB24_705:
	s_and_not1_b32 vcc_lo, exec_lo, s1
	s_cbranch_vccnz .LBB24_707
; %bb.706:
	s_wait_xcnt 0x0
	v_cvt_f32_f16_e32 v2, v2
	s_delay_alu instid0(VALU_DEP_1)
	v_cvt_i32_f32_e32 v2, v2
	global_store_b8 v[0:1], v2, off
.LBB24_707:
	s_branch .LBB24_784
.LBB24_708:
	s_mov_b32 s21, 0
.LBB24_709:
                                        ; implicit-def: $vgpr4
	s_branch .LBB24_785
.LBB24_710:
	s_mov_b32 s23, -1
	s_mov_b32 s0, s17
	s_branch .LBB24_741
.LBB24_711:
	s_mov_b32 s23, -1
	s_mov_b32 s0, s17
	s_branch .LBB24_724
.LBB24_712:
	s_mov_b32 s23, -1
	s_mov_b32 s0, s17
	s_branch .LBB24_720
.LBB24_713:
	s_mov_b32 s23, -1
	s_mov_b32 s0, s17
.LBB24_714:
	s_and_b32 vcc_lo, exec_lo, s23
	s_cbranch_vccz .LBB24_719
; %bb.715:
	s_cmp_eq_u32 s21, 44
	s_mov_b32 s0, -1
	s_cbranch_scc0 .LBB24_719
; %bb.716:
	s_wait_xcnt 0x0
	v_cvt_f32_f16_e32 v3, v2
	v_mov_b32_e32 v5, 0xff
	s_mov_b32 s22, exec_lo
	s_delay_alu instid0(VALU_DEP_2) | instskip(NEXT) | instid1(VALU_DEP_1)
	v_bfe_u32 v6, v3, 23, 8
	v_cmpx_ne_u32_e32 0xff, v6
	s_cbranch_execz .LBB24_718
; %bb.717:
	v_and_b32_e32 v5, 0x400000, v3
	v_and_or_b32 v6, 0x3fffff, v3, v6
	v_lshrrev_b32_e32 v3, 23, v3
	s_delay_alu instid0(VALU_DEP_3) | instskip(NEXT) | instid1(VALU_DEP_3)
	v_cmp_ne_u32_e32 vcc_lo, 0, v5
	v_cmp_ne_u32_e64 s0, 0, v6
	s_and_b32 s0, vcc_lo, s0
	s_delay_alu instid0(SALU_CYCLE_1) | instskip(NEXT) | instid1(VALU_DEP_1)
	v_cndmask_b32_e64 v5, 0, 1, s0
	v_add_nc_u32_e32 v5, v3, v5
.LBB24_718:
	s_or_b32 exec_lo, exec_lo, s22
	s_mov_b32 s22, -1
	s_mov_b32 s0, 0
	global_store_b8 v[0:1], v5, off
.LBB24_719:
	s_mov_b32 s23, 0
.LBB24_720:
	s_delay_alu instid0(SALU_CYCLE_1)
	s_and_b32 vcc_lo, exec_lo, s23
	s_cbranch_vccz .LBB24_723
; %bb.721:
	s_cmp_eq_u32 s21, 29
	s_mov_b32 s0, -1
	s_cbranch_scc0 .LBB24_723
; %bb.722:
	s_wait_xcnt 0x0
	v_cvt_f32_f16_e32 v3, v2
	v_mov_b32_e32 v7, 0
	s_mov_b32 s22, -1
	s_mov_b32 s0, 0
	s_mov_b32 s23, 0
	v_cvt_u32_f32_e32 v6, v3
	global_store_b64 v[0:1], v[6:7], off
	s_branch .LBB24_724
.LBB24_723:
	s_mov_b32 s23, 0
.LBB24_724:
	s_delay_alu instid0(SALU_CYCLE_1)
	s_and_b32 vcc_lo, exec_lo, s23
	s_cbranch_vccz .LBB24_740
; %bb.725:
	s_cmp_lt_i32 s21, 27
	s_mov_b32 s22, -1
	s_cbranch_scc1 .LBB24_731
; %bb.726:
	s_cmp_gt_i32 s21, 27
	s_cbranch_scc0 .LBB24_728
; %bb.727:
	s_wait_xcnt 0x0
	v_cvt_f32_f16_e32 v3, v2
	s_mov_b32 s22, 0
	s_delay_alu instid0(VALU_DEP_1)
	v_cvt_u32_f32_e32 v3, v3
	global_store_b32 v[0:1], v3, off
.LBB24_728:
	s_and_not1_b32 vcc_lo, exec_lo, s22
	s_cbranch_vccnz .LBB24_730
; %bb.729:
	s_wait_xcnt 0x0
	v_cvt_u16_f16_e32 v3, v2
	global_store_b16 v[0:1], v3, off
.LBB24_730:
	s_mov_b32 s22, 0
.LBB24_731:
	s_delay_alu instid0(SALU_CYCLE_1)
	s_and_not1_b32 vcc_lo, exec_lo, s22
	s_cbranch_vccnz .LBB24_739
; %bb.732:
	s_wait_xcnt 0x0
	v_cvt_f32_f16_e32 v3, v2
	v_mov_b32_e32 v6, 0x80
	s_mov_b32 s22, exec_lo
	s_delay_alu instid0(VALU_DEP_2) | instskip(NEXT) | instid1(VALU_DEP_1)
	v_and_b32_e32 v5, 0x7fffffff, v3
	v_cmpx_gt_u32_e32 0x43800000, v5
	s_cbranch_execz .LBB24_738
; %bb.733:
	v_cmp_lt_u32_e32 vcc_lo, 0x3bffffff, v5
	s_mov_b32 s23, 0
                                        ; implicit-def: $vgpr5
	s_and_saveexec_b32 s24, vcc_lo
	s_delay_alu instid0(SALU_CYCLE_1)
	s_xor_b32 s24, exec_lo, s24
	s_cbranch_execz .LBB24_799
; %bb.734:
	v_bfe_u32 v5, v3, 20, 1
	s_mov_b32 s23, exec_lo
	s_delay_alu instid0(VALU_DEP_1) | instskip(NEXT) | instid1(VALU_DEP_1)
	v_add3_u32 v5, v3, v5, 0x487ffff
	v_lshrrev_b32_e32 v5, 20, v5
	s_and_not1_saveexec_b32 s24, s24
	s_cbranch_execnz .LBB24_800
.LBB24_735:
	s_or_b32 exec_lo, exec_lo, s24
	v_mov_b32_e32 v6, 0
	s_and_saveexec_b32 s24, s23
.LBB24_736:
	v_lshrrev_b32_e32 v3, 24, v3
	s_delay_alu instid0(VALU_DEP_1)
	v_and_or_b32 v6, 0x80, v3, v5
.LBB24_737:
	s_or_b32 exec_lo, exec_lo, s24
.LBB24_738:
	s_delay_alu instid0(SALU_CYCLE_1)
	s_or_b32 exec_lo, exec_lo, s22
	global_store_b8 v[0:1], v6, off
.LBB24_739:
	s_mov_b32 s22, -1
.LBB24_740:
	s_mov_b32 s23, 0
.LBB24_741:
	s_delay_alu instid0(SALU_CYCLE_1)
	s_and_b32 vcc_lo, exec_lo, s23
	s_cbranch_vccz .LBB24_782
; %bb.742:
	s_cmp_gt_i32 s21, 22
	s_mov_b32 s23, -1
	s_cbranch_scc0 .LBB24_774
; %bb.743:
	s_cmp_lt_i32 s21, 24
	s_mov_b32 s22, -1
	s_cbranch_scc1 .LBB24_763
; %bb.744:
	s_cmp_gt_i32 s21, 24
	s_cbranch_scc0 .LBB24_752
; %bb.745:
	s_wait_xcnt 0x0
	v_cvt_f32_f16_e32 v3, v2
	v_mov_b32_e32 v6, 0x80
	s_mov_b32 s22, exec_lo
	s_delay_alu instid0(VALU_DEP_2) | instskip(NEXT) | instid1(VALU_DEP_1)
	v_and_b32_e32 v5, 0x7fffffff, v3
	v_cmpx_gt_u32_e32 0x47800000, v5
	s_cbranch_execz .LBB24_751
; %bb.746:
	v_cmp_lt_u32_e32 vcc_lo, 0x37ffffff, v5
	s_mov_b32 s23, 0
                                        ; implicit-def: $vgpr5
	s_and_saveexec_b32 s24, vcc_lo
	s_delay_alu instid0(SALU_CYCLE_1)
	s_xor_b32 s24, exec_lo, s24
	s_cbranch_execz .LBB24_802
; %bb.747:
	v_bfe_u32 v5, v3, 21, 1
	s_mov_b32 s23, exec_lo
	s_delay_alu instid0(VALU_DEP_1) | instskip(NEXT) | instid1(VALU_DEP_1)
	v_add3_u32 v5, v3, v5, 0x88fffff
	v_lshrrev_b32_e32 v5, 21, v5
	s_and_not1_saveexec_b32 s24, s24
	s_cbranch_execnz .LBB24_803
.LBB24_748:
	s_or_b32 exec_lo, exec_lo, s24
	v_mov_b32_e32 v6, 0
	s_and_saveexec_b32 s24, s23
.LBB24_749:
	v_lshrrev_b32_e32 v3, 24, v3
	s_delay_alu instid0(VALU_DEP_1)
	v_and_or_b32 v6, 0x80, v3, v5
.LBB24_750:
	s_or_b32 exec_lo, exec_lo, s24
.LBB24_751:
	s_delay_alu instid0(SALU_CYCLE_1)
	s_or_b32 exec_lo, exec_lo, s22
	s_mov_b32 s22, 0
	global_store_b8 v[0:1], v6, off
.LBB24_752:
	s_and_b32 vcc_lo, exec_lo, s22
	s_cbranch_vccz .LBB24_762
; %bb.753:
	s_wait_xcnt 0x0
	v_cvt_f32_f16_e32 v3, v2
	s_mov_b32 s22, exec_lo
                                        ; implicit-def: $vgpr5
	s_delay_alu instid0(VALU_DEP_1) | instskip(NEXT) | instid1(VALU_DEP_1)
	v_and_b32_e32 v6, 0x7fffffff, v3
	v_cmpx_gt_u32_e32 0x43f00000, v6
	s_xor_b32 s22, exec_lo, s22
	s_cbranch_execz .LBB24_759
; %bb.754:
	s_mov_b32 s23, exec_lo
                                        ; implicit-def: $vgpr5
	v_cmpx_lt_u32_e32 0x3c7fffff, v6
	s_xor_b32 s23, exec_lo, s23
; %bb.755:
	v_bfe_u32 v5, v3, 20, 1
	s_delay_alu instid0(VALU_DEP_1) | instskip(NEXT) | instid1(VALU_DEP_1)
	v_add3_u32 v5, v3, v5, 0x407ffff
	v_and_b32_e32 v6, 0xff00000, v5
	v_lshrrev_b32_e32 v5, 20, v5
	s_delay_alu instid0(VALU_DEP_2) | instskip(NEXT) | instid1(VALU_DEP_2)
	v_cmp_ne_u32_e32 vcc_lo, 0x7f00000, v6
	v_cndmask_b32_e32 v5, 0x7e, v5, vcc_lo
; %bb.756:
	s_and_not1_saveexec_b32 s23, s23
; %bb.757:
	v_add_f32_e64 v5, 0x46800000, |v3|
; %bb.758:
	s_or_b32 exec_lo, exec_lo, s23
                                        ; implicit-def: $vgpr6
.LBB24_759:
	s_and_not1_saveexec_b32 s22, s22
; %bb.760:
	v_mov_b32_e32 v5, 0x7f
	v_cmp_lt_u32_e32 vcc_lo, 0x7f800000, v6
	s_delay_alu instid0(VALU_DEP_2)
	v_cndmask_b32_e32 v5, 0x7e, v5, vcc_lo
; %bb.761:
	s_or_b32 exec_lo, exec_lo, s22
	v_lshrrev_b32_e32 v3, 24, v3
	s_delay_alu instid0(VALU_DEP_1)
	v_and_or_b32 v3, 0x80, v3, v5
	global_store_b8 v[0:1], v3, off
.LBB24_762:
	s_mov_b32 s22, 0
.LBB24_763:
	s_delay_alu instid0(SALU_CYCLE_1)
	s_and_not1_b32 vcc_lo, exec_lo, s22
	s_cbranch_vccnz .LBB24_773
; %bb.764:
	s_wait_xcnt 0x0
	v_cvt_f32_f16_e32 v3, v2
	s_mov_b32 s22, exec_lo
                                        ; implicit-def: $vgpr5
	s_delay_alu instid0(VALU_DEP_1) | instskip(NEXT) | instid1(VALU_DEP_1)
	v_and_b32_e32 v6, 0x7fffffff, v3
	v_cmpx_gt_u32_e32 0x47800000, v6
	s_xor_b32 s22, exec_lo, s22
	s_cbranch_execz .LBB24_770
; %bb.765:
	s_mov_b32 s23, exec_lo
                                        ; implicit-def: $vgpr5
	v_cmpx_lt_u32_e32 0x387fffff, v6
	s_xor_b32 s23, exec_lo, s23
; %bb.766:
	v_bfe_u32 v5, v3, 21, 1
	s_delay_alu instid0(VALU_DEP_1) | instskip(NEXT) | instid1(VALU_DEP_1)
	v_add3_u32 v5, v3, v5, 0x80fffff
	v_lshrrev_b32_e32 v5, 21, v5
; %bb.767:
	s_and_not1_saveexec_b32 s23, s23
; %bb.768:
	v_add_f32_e64 v5, 0x43000000, |v3|
; %bb.769:
	s_or_b32 exec_lo, exec_lo, s23
                                        ; implicit-def: $vgpr6
.LBB24_770:
	s_and_not1_saveexec_b32 s22, s22
; %bb.771:
	v_mov_b32_e32 v5, 0x7f
	v_cmp_lt_u32_e32 vcc_lo, 0x7f800000, v6
	s_delay_alu instid0(VALU_DEP_2)
	v_cndmask_b32_e32 v5, 0x7c, v5, vcc_lo
; %bb.772:
	s_or_b32 exec_lo, exec_lo, s22
	v_lshrrev_b32_e32 v3, 24, v3
	s_delay_alu instid0(VALU_DEP_1)
	v_and_or_b32 v3, 0x80, v3, v5
	global_store_b8 v[0:1], v3, off
.LBB24_773:
	s_mov_b32 s23, 0
	s_mov_b32 s22, -1
.LBB24_774:
	s_and_not1_b32 vcc_lo, exec_lo, s23
	s_cbranch_vccnz .LBB24_782
; %bb.775:
	s_cmp_gt_i32 s21, 14
	s_mov_b32 s23, -1
	s_cbranch_scc0 .LBB24_779
; %bb.776:
	s_cmp_eq_u32 s21, 15
	s_mov_b32 s0, -1
	s_cbranch_scc0 .LBB24_778
; %bb.777:
	s_wait_xcnt 0x0
	v_cvt_f32_f16_e32 v3, v2
	v_cmp_o_f16_e32 vcc_lo, v2, v2
	s_mov_b32 s22, -1
	s_mov_b32 s0, 0
	s_delay_alu instid0(VALU_DEP_2) | instskip(NEXT) | instid1(VALU_DEP_1)
	v_bfe_u32 v5, v3, 16, 1
	v_add3_u32 v3, v3, v5, 0x7fff
	s_delay_alu instid0(VALU_DEP_1) | instskip(NEXT) | instid1(VALU_DEP_1)
	v_lshrrev_b32_e32 v3, 16, v3
	v_cndmask_b32_e32 v3, 0x7fc0, v3, vcc_lo
	global_store_b16 v[0:1], v3, off
.LBB24_778:
	s_mov_b32 s23, 0
.LBB24_779:
	s_delay_alu instid0(SALU_CYCLE_1)
	s_and_b32 vcc_lo, exec_lo, s23
	s_cbranch_vccz .LBB24_782
; %bb.780:
	s_cmp_eq_u32 s21, 11
	s_mov_b32 s0, -1
	s_cbranch_scc0 .LBB24_782
; %bb.781:
	v_cmp_neq_f16_e32 vcc_lo, 0, v2
	s_mov_b32 s0, 0
	s_mov_b32 s22, -1
	s_wait_xcnt 0x0
	v_cndmask_b32_e64 v3, 0, 1, vcc_lo
	global_store_b8 v[0:1], v3, off
.LBB24_782:
.LBB24_783:
	s_and_not1_b32 vcc_lo, exec_lo, s22
	s_cbranch_vccnz .LBB24_708
.LBB24_784:
	v_add_nc_u32_e32 v4, 0x80, v4
	s_mov_b32 s21, -1
.LBB24_785:
	s_and_not1_b32 s1, s17, exec_lo
	s_and_b32 s0, s0, exec_lo
	s_and_not1_b32 s22, s16, exec_lo
	s_and_b32 s20, s20, exec_lo
	s_or_b32 s1, s1, s0
	s_or_b32 s0, s22, s20
	s_or_not1_b32 s20, s21, exec_lo
.LBB24_786:
	s_wait_xcnt 0x0
	s_or_b32 exec_lo, exec_lo, s19
	s_mov_b32 s21, 0
	s_mov_b32 s22, 0
	;; [unrolled: 1-line block ×3, first 2 shown]
                                        ; implicit-def: $vgpr0_vgpr1
                                        ; implicit-def: $vgpr3
	s_and_saveexec_b32 s19, s20
	s_cbranch_execz .LBB24_871
; %bb.787:
	v_cmp_gt_i32_e32 vcc_lo, s13, v4
	s_mov_b32 s20, 0
	s_mov_b32 s21, s0
	;; [unrolled: 1-line block ×3, first 2 shown]
                                        ; implicit-def: $vgpr0_vgpr1
                                        ; implicit-def: $vgpr3
	s_and_saveexec_b32 s13, vcc_lo
	s_cbranch_execz .LBB24_870
; %bb.788:
	v_mul_lo_u32 v0, v4, s3
	s_and_b32 s20, 0xffff, s10
	s_delay_alu instid0(SALU_CYCLE_1) | instskip(NEXT) | instid1(VALU_DEP_1)
	s_cmp_lt_i32 s20, 11
	v_ashrrev_i32_e32 v1, 31, v0
	s_delay_alu instid0(VALU_DEP_1)
	v_add_nc_u64_e32 v[0:1], s[6:7], v[0:1]
	s_cbranch_scc1 .LBB24_795
; %bb.789:
	s_cmp_gt_i32 s20, 25
	s_cbranch_scc0 .LBB24_796
; %bb.790:
	s_cmp_gt_i32 s20, 28
	s_cbranch_scc0 .LBB24_797
	;; [unrolled: 3-line block ×4, first 2 shown]
; %bb.793:
	s_cmp_eq_u32 s20, 46
	s_cbranch_scc0 .LBB24_804
; %bb.794:
	s_wait_loadcnt 0x0
	global_load_b32 v2, v[0:1], off
	s_mov_b32 s21, 0
	s_mov_b32 s23, -1
	s_wait_loadcnt 0x0
	v_lshlrev_b32_e32 v2, 16, v2
	s_delay_alu instid0(VALU_DEP_1)
	v_cvt_f16_f32_e32 v3, v2
	s_branch .LBB24_806
.LBB24_795:
	s_mov_b32 s20, -1
	s_mov_b32 s21, s0
                                        ; implicit-def: $vgpr3
	s_branch .LBB24_869
.LBB24_796:
	s_mov_b32 s24, -1
	s_mov_b32 s21, s0
                                        ; implicit-def: $vgpr3
	s_branch .LBB24_835
.LBB24_797:
	s_mov_b32 s24, -1
	s_mov_b32 s21, s0
                                        ; implicit-def: $vgpr3
	s_branch .LBB24_816
.LBB24_798:
	s_mov_b32 s24, -1
	s_mov_b32 s21, s0
                                        ; implicit-def: $vgpr3
	s_branch .LBB24_811
.LBB24_799:
	s_and_not1_saveexec_b32 s24, s24
	s_cbranch_execz .LBB24_735
.LBB24_800:
	v_add_f32_e64 v5, 0x46000000, |v3|
	s_and_not1_b32 s23, s23, exec_lo
	s_delay_alu instid0(VALU_DEP_1) | instskip(NEXT) | instid1(VALU_DEP_1)
	v_and_b32_e32 v5, 0xff, v5
	v_cmp_ne_u32_e32 vcc_lo, 0, v5
	s_and_b32 s25, vcc_lo, exec_lo
	s_delay_alu instid0(SALU_CYCLE_1)
	s_or_b32 s23, s23, s25
	s_or_b32 exec_lo, exec_lo, s24
	v_mov_b32_e32 v6, 0
	s_and_saveexec_b32 s24, s23
	s_cbranch_execnz .LBB24_736
	s_branch .LBB24_737
.LBB24_801:
	s_mov_b32 s24, -1
	s_mov_b32 s21, s0
	s_branch .LBB24_805
.LBB24_802:
	s_and_not1_saveexec_b32 s24, s24
	s_cbranch_execz .LBB24_748
.LBB24_803:
	v_add_f32_e64 v5, 0x42800000, |v3|
	s_and_not1_b32 s23, s23, exec_lo
	s_delay_alu instid0(VALU_DEP_1) | instskip(NEXT) | instid1(VALU_DEP_1)
	v_and_b32_e32 v5, 0xff, v5
	v_cmp_ne_u32_e32 vcc_lo, 0, v5
	s_and_b32 s25, vcc_lo, exec_lo
	s_delay_alu instid0(SALU_CYCLE_1)
	s_or_b32 s23, s23, s25
	s_or_b32 exec_lo, exec_lo, s24
	v_mov_b32_e32 v6, 0
	s_and_saveexec_b32 s24, s23
	s_cbranch_execnz .LBB24_749
	s_branch .LBB24_750
.LBB24_804:
	s_mov_b32 s21, -1
.LBB24_805:
                                        ; implicit-def: $vgpr3
.LBB24_806:
	s_and_b32 vcc_lo, exec_lo, s24
	s_cbranch_vccz .LBB24_810
; %bb.807:
	s_cmp_eq_u32 s20, 44
	s_cbranch_scc0 .LBB24_809
; %bb.808:
	s_wait_loadcnt 0x0
	global_load_u8 v2, v[0:1], off
	s_mov_b32 s21, 0
	s_mov_b32 s23, -1
	s_wait_loadcnt 0x0
	v_lshlrev_b32_e32 v3, 23, v2
	v_cmp_ne_u32_e32 vcc_lo, 0xff, v2
	s_delay_alu instid0(VALU_DEP_2) | instskip(NEXT) | instid1(VALU_DEP_1)
	v_cvt_f16_f32_e32 v3, v3
	v_cndmask_b32_e32 v3, 0x7e00, v3, vcc_lo
	v_cmp_ne_u32_e32 vcc_lo, 0, v2
	s_delay_alu instid0(VALU_DEP_2)
	v_cndmask_b32_e32 v3, 0, v3, vcc_lo
	s_branch .LBB24_810
.LBB24_809:
	s_mov_b32 s21, -1
                                        ; implicit-def: $vgpr3
.LBB24_810:
	s_mov_b32 s24, 0
.LBB24_811:
	s_delay_alu instid0(SALU_CYCLE_1)
	s_and_b32 vcc_lo, exec_lo, s24
	s_cbranch_vccz .LBB24_815
; %bb.812:
	s_cmp_eq_u32 s20, 29
	s_cbranch_scc0 .LBB24_814
; %bb.813:
	s_wait_loadcnt 0x0
	global_load_b64 v[2:3], v[0:1], off
	s_mov_b32 s21, 0
	s_mov_b32 s23, -1
	s_mov_b32 s24, 0
	s_wait_loadcnt 0x0
	v_clz_i32_u32_e32 v5, v3
	s_delay_alu instid0(VALU_DEP_1) | instskip(NEXT) | instid1(VALU_DEP_1)
	v_min_u32_e32 v5, 32, v5
	v_lshlrev_b64_e32 v[2:3], v5, v[2:3]
	s_delay_alu instid0(VALU_DEP_1) | instskip(NEXT) | instid1(VALU_DEP_1)
	v_min_u32_e32 v2, 1, v2
	v_dual_sub_nc_u32 v3, 32, v5 :: v_dual_bitop2_b32 v2, v3, v2 bitop3:0x54
	s_delay_alu instid0(VALU_DEP_1) | instskip(NEXT) | instid1(VALU_DEP_1)
	v_cvt_f32_u32_e32 v2, v2
	v_ldexp_f32 v2, v2, v3
	s_delay_alu instid0(VALU_DEP_1)
	v_cvt_f16_f32_e32 v3, v2
	s_branch .LBB24_816
.LBB24_814:
	s_mov_b32 s21, -1
                                        ; implicit-def: $vgpr3
.LBB24_815:
	s_mov_b32 s24, 0
.LBB24_816:
	s_delay_alu instid0(SALU_CYCLE_1)
	s_and_b32 vcc_lo, exec_lo, s24
	s_cbranch_vccz .LBB24_834
; %bb.817:
	s_cmp_lt_i32 s20, 27
	s_cbranch_scc1 .LBB24_820
; %bb.818:
	s_cmp_gt_i32 s20, 27
	s_cbranch_scc0 .LBB24_821
; %bb.819:
	s_wait_loadcnt 0x0
	global_load_b32 v2, v[0:1], off
	s_mov_b32 s23, 0
	s_wait_loadcnt 0x0
	v_cvt_f32_u32_e32 v2, v2
	s_delay_alu instid0(VALU_DEP_1)
	v_cvt_f16_f32_e32 v3, v2
	s_branch .LBB24_822
.LBB24_820:
	s_mov_b32 s23, -1
                                        ; implicit-def: $vgpr3
	s_branch .LBB24_825
.LBB24_821:
	s_mov_b32 s23, -1
                                        ; implicit-def: $vgpr3
.LBB24_822:
	s_delay_alu instid0(SALU_CYCLE_1)
	s_and_not1_b32 vcc_lo, exec_lo, s23
	s_cbranch_vccnz .LBB24_824
; %bb.823:
	s_wait_loadcnt 0x0
	global_load_u16 v2, v[0:1], off
	s_wait_loadcnt 0x0
	v_cvt_f16_u16_e32 v3, v2
.LBB24_824:
	s_mov_b32 s23, 0
.LBB24_825:
	s_delay_alu instid0(SALU_CYCLE_1)
	s_and_not1_b32 vcc_lo, exec_lo, s23
	s_cbranch_vccnz .LBB24_833
; %bb.826:
	s_wait_loadcnt 0x0
	global_load_u8 v2, v[0:1], off
	s_mov_b32 s23, 0
	s_mov_b32 s24, exec_lo
	s_wait_loadcnt 0x0
	v_cmpx_lt_i16_e32 0x7f, v2
	s_xor_b32 s24, exec_lo, s24
	s_cbranch_execz .LBB24_847
; %bb.827:
	s_mov_b32 s23, -1
	s_mov_b32 s25, exec_lo
	v_cmpx_eq_u16_e32 0x80, v2
; %bb.828:
	s_xor_b32 s23, exec_lo, -1
; %bb.829:
	s_or_b32 exec_lo, exec_lo, s25
	s_delay_alu instid0(SALU_CYCLE_1)
	s_and_b32 s23, s23, exec_lo
	s_or_saveexec_b32 s24, s24
	v_mov_b32_e32 v3, 0x7e00
	s_xor_b32 exec_lo, exec_lo, s24
	s_cbranch_execnz .LBB24_848
.LBB24_830:
	s_or_b32 exec_lo, exec_lo, s24
	s_and_saveexec_b32 s24, s23
	s_cbranch_execz .LBB24_832
.LBB24_831:
	v_and_b32_e32 v3, 0xffff, v2
	s_delay_alu instid0(VALU_DEP_1) | instskip(SKIP_1) | instid1(VALU_DEP_2)
	v_and_b32_e32 v5, 7, v3
	v_bfe_u32 v8, v3, 3, 4
	v_clz_i32_u32_e32 v6, v5
	s_delay_alu instid0(VALU_DEP_2) | instskip(NEXT) | instid1(VALU_DEP_2)
	v_cmp_eq_u32_e32 vcc_lo, 0, v8
	v_min_u32_e32 v6, 32, v6
	s_delay_alu instid0(VALU_DEP_1) | instskip(NEXT) | instid1(VALU_DEP_1)
	v_subrev_nc_u32_e32 v7, 28, v6
	v_dual_lshlrev_b32 v3, v7, v3 :: v_dual_sub_nc_u32 v6, 29, v6
	s_delay_alu instid0(VALU_DEP_1) | instskip(NEXT) | instid1(VALU_DEP_1)
	v_dual_lshlrev_b32 v2, 24, v2 :: v_dual_bitop2_b32 v3, 7, v3 bitop3:0x40
	v_dual_cndmask_b32 v3, v5, v3 :: v_dual_cndmask_b32 v6, v8, v6
	s_delay_alu instid0(VALU_DEP_2) | instskip(NEXT) | instid1(VALU_DEP_2)
	v_and_b32_e32 v2, 0x80000000, v2
	v_lshlrev_b32_e32 v3, 20, v3
	s_delay_alu instid0(VALU_DEP_3) | instskip(NEXT) | instid1(VALU_DEP_1)
	v_lshl_add_u32 v5, v6, 23, 0x3b800000
	v_or3_b32 v2, v2, v5, v3
	s_delay_alu instid0(VALU_DEP_1)
	v_cvt_f16_f32_e32 v3, v2
.LBB24_832:
	s_or_b32 exec_lo, exec_lo, s24
.LBB24_833:
	s_mov_b32 s23, -1
.LBB24_834:
	s_mov_b32 s24, 0
.LBB24_835:
	s_delay_alu instid0(SALU_CYCLE_1)
	s_and_b32 vcc_lo, exec_lo, s24
	s_cbranch_vccz .LBB24_868
; %bb.836:
	s_cmp_gt_i32 s20, 22
	s_cbranch_scc0 .LBB24_846
; %bb.837:
	s_cmp_lt_i32 s20, 24
	s_cbranch_scc1 .LBB24_849
; %bb.838:
	s_cmp_gt_i32 s20, 24
	s_cbranch_scc0 .LBB24_850
; %bb.839:
	s_wait_loadcnt 0x0
	global_load_u8 v2, v[0:1], off
	s_mov_b32 s23, exec_lo
	s_wait_loadcnt 0x0
	v_cmpx_lt_i16_e32 0x7f, v2
	s_xor_b32 s23, exec_lo, s23
	s_cbranch_execz .LBB24_862
; %bb.840:
	s_mov_b32 s22, -1
	s_mov_b32 s24, exec_lo
	v_cmpx_eq_u16_e32 0x80, v2
; %bb.841:
	s_xor_b32 s22, exec_lo, -1
; %bb.842:
	s_or_b32 exec_lo, exec_lo, s24
	s_delay_alu instid0(SALU_CYCLE_1)
	s_and_b32 s22, s22, exec_lo
	s_or_saveexec_b32 s23, s23
	v_mov_b32_e32 v3, 0x7e00
	s_xor_b32 exec_lo, exec_lo, s23
	s_cbranch_execnz .LBB24_863
.LBB24_843:
	s_or_b32 exec_lo, exec_lo, s23
	s_and_saveexec_b32 s23, s22
	s_cbranch_execz .LBB24_845
.LBB24_844:
	v_and_b32_e32 v3, 0xffff, v2
	s_delay_alu instid0(VALU_DEP_1) | instskip(SKIP_1) | instid1(VALU_DEP_2)
	v_and_b32_e32 v5, 3, v3
	v_bfe_u32 v8, v3, 2, 5
	v_clz_i32_u32_e32 v6, v5
	s_delay_alu instid0(VALU_DEP_2) | instskip(NEXT) | instid1(VALU_DEP_2)
	v_cmp_eq_u32_e32 vcc_lo, 0, v8
	v_min_u32_e32 v6, 32, v6
	s_delay_alu instid0(VALU_DEP_1) | instskip(NEXT) | instid1(VALU_DEP_1)
	v_subrev_nc_u32_e32 v7, 29, v6
	v_dual_lshlrev_b32 v3, v7, v3 :: v_dual_sub_nc_u32 v6, 30, v6
	s_delay_alu instid0(VALU_DEP_1) | instskip(NEXT) | instid1(VALU_DEP_1)
	v_dual_lshlrev_b32 v2, 24, v2 :: v_dual_bitop2_b32 v3, 3, v3 bitop3:0x40
	v_dual_cndmask_b32 v3, v5, v3 :: v_dual_cndmask_b32 v6, v8, v6
	s_delay_alu instid0(VALU_DEP_2) | instskip(NEXT) | instid1(VALU_DEP_2)
	v_and_b32_e32 v2, 0x80000000, v2
	v_lshlrev_b32_e32 v3, 21, v3
	s_delay_alu instid0(VALU_DEP_3) | instskip(NEXT) | instid1(VALU_DEP_1)
	v_lshl_add_u32 v5, v6, 23, 0x37800000
	v_or3_b32 v2, v2, v5, v3
	s_delay_alu instid0(VALU_DEP_1)
	v_cvt_f16_f32_e32 v3, v2
.LBB24_845:
	s_or_b32 exec_lo, exec_lo, s23
	s_mov_b32 s22, 0
	s_branch .LBB24_851
.LBB24_846:
	s_mov_b32 s22, -1
                                        ; implicit-def: $vgpr3
	s_branch .LBB24_857
.LBB24_847:
	s_or_saveexec_b32 s24, s24
	v_mov_b32_e32 v3, 0x7e00
	s_xor_b32 exec_lo, exec_lo, s24
	s_cbranch_execz .LBB24_830
.LBB24_848:
	v_cmp_ne_u16_e32 vcc_lo, 0, v2
	v_mov_b32_e32 v3, v2
	s_and_not1_b32 s23, s23, exec_lo
	s_and_b32 s25, vcc_lo, exec_lo
	s_delay_alu instid0(SALU_CYCLE_1)
	s_or_b32 s23, s23, s25
	s_or_b32 exec_lo, exec_lo, s24
	s_and_saveexec_b32 s24, s23
	s_cbranch_execnz .LBB24_831
	s_branch .LBB24_832
.LBB24_849:
	s_mov_b32 s22, -1
                                        ; implicit-def: $vgpr3
	s_branch .LBB24_854
.LBB24_850:
	s_mov_b32 s22, -1
                                        ; implicit-def: $vgpr3
.LBB24_851:
	s_delay_alu instid0(SALU_CYCLE_1)
	s_and_b32 vcc_lo, exec_lo, s22
	s_cbranch_vccz .LBB24_853
; %bb.852:
	s_wait_loadcnt 0x0
	global_load_u8 v2, v[0:1], off
	s_wait_loadcnt 0x0
	v_lshlrev_b32_e32 v2, 24, v2
	s_delay_alu instid0(VALU_DEP_1) | instskip(NEXT) | instid1(VALU_DEP_1)
	v_and_b32_e32 v3, 0x7f000000, v2
	v_clz_i32_u32_e32 v5, v3
	v_add_nc_u32_e32 v7, 0x1000000, v3
	v_cmp_ne_u32_e32 vcc_lo, 0, v3
	s_delay_alu instid0(VALU_DEP_3) | instskip(NEXT) | instid1(VALU_DEP_1)
	v_min_u32_e32 v5, 32, v5
	v_sub_nc_u32_e64 v5, v5, 4 clamp
	s_delay_alu instid0(VALU_DEP_1) | instskip(NEXT) | instid1(VALU_DEP_1)
	v_dual_lshlrev_b32 v6, v5, v3 :: v_dual_lshlrev_b32 v5, 23, v5
	v_lshrrev_b32_e32 v6, 4, v6
	s_delay_alu instid0(VALU_DEP_1) | instskip(NEXT) | instid1(VALU_DEP_1)
	v_dual_sub_nc_u32 v5, v6, v5 :: v_dual_ashrrev_i32 v6, 8, v7
	v_add_nc_u32_e32 v5, 0x3c000000, v5
	s_delay_alu instid0(VALU_DEP_1) | instskip(NEXT) | instid1(VALU_DEP_1)
	v_and_or_b32 v5, 0x7f800000, v6, v5
	v_cndmask_b32_e32 v3, 0, v5, vcc_lo
	s_delay_alu instid0(VALU_DEP_1) | instskip(NEXT) | instid1(VALU_DEP_1)
	v_and_or_b32 v2, 0x80000000, v2, v3
	v_cvt_f16_f32_e32 v3, v2
.LBB24_853:
	s_mov_b32 s22, 0
.LBB24_854:
	s_delay_alu instid0(SALU_CYCLE_1)
	s_and_not1_b32 vcc_lo, exec_lo, s22
	s_cbranch_vccnz .LBB24_856
; %bb.855:
	s_wait_loadcnt 0x0
	global_load_u8 v2, v[0:1], off
	s_wait_loadcnt 0x0
	v_lshlrev_b32_e32 v3, 25, v2
	v_lshlrev_b16 v2, 8, v2
	s_delay_alu instid0(VALU_DEP_2) | instskip(NEXT) | instid1(VALU_DEP_2)
	v_cmp_gt_u32_e32 vcc_lo, 0x8000000, v3
	v_and_or_b32 v6, 0x7f00, v2, 0.5
	v_lshrrev_b32_e32 v5, 4, v3
	v_bfe_i32 v2, v2, 0, 16
	s_delay_alu instid0(VALU_DEP_3) | instskip(NEXT) | instid1(VALU_DEP_3)
	v_add_f32_e32 v6, -0.5, v6
	v_or_b32_e32 v5, 0x70000000, v5
	s_delay_alu instid0(VALU_DEP_1) | instskip(NEXT) | instid1(VALU_DEP_1)
	v_mul_f32_e32 v5, 0x7800000, v5
	v_cndmask_b32_e32 v3, v5, v6, vcc_lo
	s_delay_alu instid0(VALU_DEP_1) | instskip(NEXT) | instid1(VALU_DEP_1)
	v_and_or_b32 v2, 0x80000000, v2, v3
	v_cvt_f16_f32_e32 v3, v2
.LBB24_856:
	s_mov_b32 s22, 0
	s_mov_b32 s23, -1
.LBB24_857:
	s_and_not1_b32 vcc_lo, exec_lo, s22
	s_mov_b32 s22, 0
	s_cbranch_vccnz .LBB24_868
; %bb.858:
	s_cmp_gt_i32 s20, 14
	s_cbranch_scc0 .LBB24_861
; %bb.859:
	s_cmp_eq_u32 s20, 15
	s_cbranch_scc0 .LBB24_864
; %bb.860:
	s_wait_loadcnt 0x0
	global_load_u16 v2, v[0:1], off
	s_mov_b32 s21, 0
	s_mov_b32 s23, -1
	s_wait_loadcnt 0x0
	v_lshlrev_b32_e32 v2, 16, v2
	s_delay_alu instid0(VALU_DEP_1)
	v_cvt_f16_f32_e32 v3, v2
	s_branch .LBB24_866
.LBB24_861:
	s_mov_b32 s22, -1
	s_branch .LBB24_865
.LBB24_862:
	s_or_saveexec_b32 s23, s23
	v_mov_b32_e32 v3, 0x7e00
	s_xor_b32 exec_lo, exec_lo, s23
	s_cbranch_execz .LBB24_843
.LBB24_863:
	v_cmp_ne_u16_e32 vcc_lo, 0, v2
	v_mov_b32_e32 v3, v2
	s_and_not1_b32 s22, s22, exec_lo
	s_and_b32 s24, vcc_lo, exec_lo
	s_delay_alu instid0(SALU_CYCLE_1)
	s_or_b32 s22, s22, s24
	s_or_b32 exec_lo, exec_lo, s23
	s_and_saveexec_b32 s23, s22
	s_cbranch_execnz .LBB24_844
	s_branch .LBB24_845
.LBB24_864:
	s_mov_b32 s21, -1
.LBB24_865:
                                        ; implicit-def: $vgpr3
.LBB24_866:
	s_and_b32 vcc_lo, exec_lo, s22
	s_mov_b32 s22, 0
	s_cbranch_vccz .LBB24_868
; %bb.867:
	s_cmp_lg_u32 s20, 11
	s_mov_b32 s22, -1
	s_cselect_b32 s20, -1, 0
	s_and_not1_b32 s21, s21, exec_lo
	s_and_b32 s20, s20, exec_lo
	s_delay_alu instid0(SALU_CYCLE_1)
	s_or_b32 s21, s21, s20
.LBB24_868:
	s_mov_b32 s20, 0
.LBB24_869:
	s_and_not1_b32 s25, s0, exec_lo
	s_and_b32 s21, s21, exec_lo
	s_and_b32 s23, s23, exec_lo
	;; [unrolled: 1-line block ×4, first 2 shown]
	s_or_b32 s21, s25, s21
.LBB24_870:
	s_wait_xcnt 0x0
	s_or_b32 exec_lo, exec_lo, s13
	s_delay_alu instid0(SALU_CYCLE_1)
	s_and_not1_b32 s0, s0, exec_lo
	s_and_b32 s13, s21, exec_lo
	s_and_b32 s23, s23, exec_lo
	;; [unrolled: 1-line block ×4, first 2 shown]
	s_or_b32 s0, s0, s13
.LBB24_871:
	s_or_b32 exec_lo, exec_lo, s19
	s_delay_alu instid0(SALU_CYCLE_1)
	s_and_not1_b32 s13, s17, exec_lo
	s_and_b32 s1, s1, exec_lo
	s_and_b32 s0, s0, exec_lo
	s_or_b32 s17, s13, s1
	s_and_not1_b32 s13, s16, exec_lo
	s_and_b32 s20, s23, exec_lo
	s_and_b32 s19, s22, exec_lo
	;; [unrolled: 1-line block ×3, first 2 shown]
	s_or_b32 s16, s13, s0
.LBB24_872:
	s_or_b32 exec_lo, exec_lo, s18
	s_delay_alu instid0(SALU_CYCLE_1)
	s_and_not1_b32 s0, s12, exec_lo
	s_and_b32 s12, s17, exec_lo
	s_and_not1_b32 s13, s14, exec_lo
	s_and_b32 s14, s16, exec_lo
	s_or_b32 s12, s0, s12
	s_and_b32 s0, s20, exec_lo
	s_and_b32 s17, s19, exec_lo
	;; [unrolled: 1-line block ×3, first 2 shown]
	s_or_b32 s14, s13, s14
	s_or_b32 exec_lo, exec_lo, s15
	s_mov_b32 s13, 0
	s_and_saveexec_b32 s1, s14
	s_cbranch_execz .LBB24_266
.LBB24_873:
	s_mov_b32 s13, exec_lo
	s_and_not1_b32 s16, s16, exec_lo
	s_trap 2
	s_or_b32 exec_lo, exec_lo, s1
	s_and_saveexec_b32 s1, s16
	s_delay_alu instid0(SALU_CYCLE_1)
	s_xor_b32 s1, exec_lo, s1
	s_cbranch_execnz .LBB24_267
.LBB24_874:
	s_or_b32 exec_lo, exec_lo, s1
	s_and_saveexec_b32 s1, s17
	s_cbranch_execz .LBB24_920
.LBB24_875:
	s_sext_i32_i16 s14, s10
	s_delay_alu instid0(SALU_CYCLE_1)
	s_cmp_lt_i32 s14, 5
	s_cbranch_scc1 .LBB24_880
; %bb.876:
	s_cmp_lt_i32 s14, 8
	s_cbranch_scc1 .LBB24_881
; %bb.877:
	s_cmp_lt_i32 s14, 9
	s_cbranch_scc1 .LBB24_882
; %bb.878:
	s_cmp_gt_i32 s14, 9
	s_cbranch_scc0 .LBB24_883
; %bb.879:
	s_wait_loadcnt 0x0
	global_load_b64 v[2:3], v[0:1], off
	s_mov_b32 s14, 0
	s_wait_loadcnt 0x0
	v_and_or_b32 v2, 0x1ff, v3, v2
	v_lshrrev_b32_e32 v5, 8, v3
	v_bfe_u32 v6, v3, 20, 11
	v_lshrrev_b32_e32 v3, 16, v3
	s_delay_alu instid0(VALU_DEP_4) | instskip(NEXT) | instid1(VALU_DEP_3)
	v_cmp_ne_u32_e32 vcc_lo, 0, v2
	v_sub_nc_u32_e32 v7, 0x3f1, v6
	v_add_nc_u32_e32 v6, 0xfffffc10, v6
	v_cndmask_b32_e64 v2, 0, 1, vcc_lo
	s_delay_alu instid0(VALU_DEP_1) | instskip(NEXT) | instid1(VALU_DEP_4)
	v_and_or_b32 v2, 0xffe, v5, v2
	v_med3_i32 v5, v7, 0, 13
	s_delay_alu instid0(VALU_DEP_2) | instskip(NEXT) | instid1(VALU_DEP_1)
	v_or_b32_e32 v7, 0x1000, v2
	v_lshrrev_b32_e32 v8, v5, v7
	s_delay_alu instid0(VALU_DEP_1) | instskip(NEXT) | instid1(VALU_DEP_1)
	v_lshlrev_b32_e32 v5, v5, v8
	v_cmp_ne_u32_e32 vcc_lo, v5, v7
	v_lshl_or_b32 v7, v6, 12, v2
	v_cndmask_b32_e64 v5, 0, 1, vcc_lo
	v_cmp_gt_i32_e32 vcc_lo, 1, v6
	s_delay_alu instid0(VALU_DEP_2) | instskip(NEXT) | instid1(VALU_DEP_1)
	v_or_b32_e32 v5, v8, v5
	v_cndmask_b32_e32 v5, v7, v5, vcc_lo
	s_delay_alu instid0(VALU_DEP_1) | instskip(NEXT) | instid1(VALU_DEP_1)
	v_dual_lshrrev_b32 v5, 2, v5 :: v_dual_bitop2_b32 v7, 7, v5 bitop3:0x40
	v_cmp_lt_i32_e32 vcc_lo, 5, v7
	v_cndmask_b32_e64 v8, 0, 1, vcc_lo
	v_cmp_eq_u32_e32 vcc_lo, 3, v7
	v_cndmask_b32_e64 v7, 0, 1, vcc_lo
	v_cmp_ne_u32_e32 vcc_lo, 0, v2
	s_delay_alu instid0(VALU_DEP_2) | instskip(NEXT) | instid1(VALU_DEP_1)
	v_or_b32_e32 v7, v7, v8
	v_dual_mov_b32 v8, 0x7e00 :: v_dual_add_nc_u32 v5, v5, v7
	s_delay_alu instid0(VALU_DEP_1) | instskip(SKIP_1) | instid1(VALU_DEP_3)
	v_cndmask_b32_e32 v2, 0x7c00, v8, vcc_lo
	v_cmp_gt_i32_e32 vcc_lo, 31, v6
	v_cndmask_b32_e32 v5, 0x7c00, v5, vcc_lo
	v_cmp_eq_u32_e32 vcc_lo, 0x40f, v6
	s_delay_alu instid0(VALU_DEP_2) | instskip(NEXT) | instid1(VALU_DEP_1)
	v_cndmask_b32_e32 v2, v5, v2, vcc_lo
	v_and_or_b32 v3, 0x8000, v3, v2
	s_branch .LBB24_884
.LBB24_880:
                                        ; implicit-def: $vgpr3
	s_branch .LBB24_901
.LBB24_881:
                                        ; implicit-def: $vgpr3
	s_branch .LBB24_890
.LBB24_882:
	s_mov_b32 s14, -1
                                        ; implicit-def: $vgpr3
	s_branch .LBB24_887
.LBB24_883:
	s_mov_b32 s14, -1
                                        ; implicit-def: $vgpr3
.LBB24_884:
	s_delay_alu instid0(SALU_CYCLE_1)
	s_and_not1_b32 vcc_lo, exec_lo, s14
	s_cbranch_vccnz .LBB24_886
; %bb.885:
	s_wait_loadcnt 0x0
	global_load_b32 v2, v[0:1], off
	s_wait_loadcnt 0x0
	v_cvt_f16_f32_e32 v3, v2
.LBB24_886:
	s_mov_b32 s14, 0
.LBB24_887:
	s_delay_alu instid0(SALU_CYCLE_1)
	s_and_not1_b32 vcc_lo, exec_lo, s14
	s_cbranch_vccnz .LBB24_889
; %bb.888:
	global_load_b32 v3, v[0:1], off
.LBB24_889:
	s_cbranch_execnz .LBB24_900
.LBB24_890:
	s_sext_i32_i16 s14, s10
	s_delay_alu instid0(SALU_CYCLE_1)
	s_cmp_lt_i32 s14, 6
	s_cbranch_scc1 .LBB24_893
; %bb.891:
	s_cmp_gt_i32 s14, 6
	s_cbranch_scc0 .LBB24_894
; %bb.892:
	s_wait_loadcnt 0x0
	global_load_b64 v[2:3], v[0:1], off
	s_mov_b32 s14, 0
	s_wait_loadcnt 0x0
	v_and_or_b32 v2, 0x1ff, v3, v2
	v_lshrrev_b32_e32 v5, 8, v3
	v_bfe_u32 v6, v3, 20, 11
	v_lshrrev_b32_e32 v3, 16, v3
	s_delay_alu instid0(VALU_DEP_4) | instskip(NEXT) | instid1(VALU_DEP_3)
	v_cmp_ne_u32_e32 vcc_lo, 0, v2
	v_sub_nc_u32_e32 v7, 0x3f1, v6
	v_add_nc_u32_e32 v6, 0xfffffc10, v6
	v_cndmask_b32_e64 v2, 0, 1, vcc_lo
	s_delay_alu instid0(VALU_DEP_1) | instskip(NEXT) | instid1(VALU_DEP_4)
	v_and_or_b32 v2, 0xffe, v5, v2
	v_med3_i32 v5, v7, 0, 13
	s_delay_alu instid0(VALU_DEP_2) | instskip(NEXT) | instid1(VALU_DEP_1)
	v_or_b32_e32 v7, 0x1000, v2
	v_lshrrev_b32_e32 v8, v5, v7
	s_delay_alu instid0(VALU_DEP_1) | instskip(NEXT) | instid1(VALU_DEP_1)
	v_lshlrev_b32_e32 v5, v5, v8
	v_cmp_ne_u32_e32 vcc_lo, v5, v7
	v_lshl_or_b32 v7, v6, 12, v2
	v_cndmask_b32_e64 v5, 0, 1, vcc_lo
	v_cmp_gt_i32_e32 vcc_lo, 1, v6
	s_delay_alu instid0(VALU_DEP_2) | instskip(NEXT) | instid1(VALU_DEP_1)
	v_or_b32_e32 v5, v8, v5
	v_cndmask_b32_e32 v5, v7, v5, vcc_lo
	s_delay_alu instid0(VALU_DEP_1) | instskip(NEXT) | instid1(VALU_DEP_1)
	v_dual_lshrrev_b32 v5, 2, v5 :: v_dual_bitop2_b32 v7, 7, v5 bitop3:0x40
	v_cmp_lt_i32_e32 vcc_lo, 5, v7
	v_cndmask_b32_e64 v8, 0, 1, vcc_lo
	v_cmp_eq_u32_e32 vcc_lo, 3, v7
	v_cndmask_b32_e64 v7, 0, 1, vcc_lo
	v_cmp_ne_u32_e32 vcc_lo, 0, v2
	s_delay_alu instid0(VALU_DEP_2) | instskip(NEXT) | instid1(VALU_DEP_1)
	v_or_b32_e32 v7, v7, v8
	v_dual_mov_b32 v8, 0x7e00 :: v_dual_add_nc_u32 v5, v5, v7
	s_delay_alu instid0(VALU_DEP_1) | instskip(SKIP_1) | instid1(VALU_DEP_3)
	v_cndmask_b32_e32 v2, 0x7c00, v8, vcc_lo
	v_cmp_gt_i32_e32 vcc_lo, 31, v6
	v_cndmask_b32_e32 v5, 0x7c00, v5, vcc_lo
	v_cmp_eq_u32_e32 vcc_lo, 0x40f, v6
	s_delay_alu instid0(VALU_DEP_2) | instskip(NEXT) | instid1(VALU_DEP_1)
	v_cndmask_b32_e32 v2, v5, v2, vcc_lo
	v_and_or_b32 v3, 0x8000, v3, v2
	s_branch .LBB24_895
.LBB24_893:
	s_mov_b32 s14, -1
                                        ; implicit-def: $vgpr3
	s_branch .LBB24_898
.LBB24_894:
	s_mov_b32 s14, -1
                                        ; implicit-def: $vgpr3
.LBB24_895:
	s_delay_alu instid0(SALU_CYCLE_1)
	s_and_not1_b32 vcc_lo, exec_lo, s14
	s_cbranch_vccnz .LBB24_897
; %bb.896:
	s_wait_loadcnt 0x0
	global_load_b32 v2, v[0:1], off
	s_wait_loadcnt 0x0
	v_cvt_f16_f32_e32 v3, v2
.LBB24_897:
	s_mov_b32 s14, 0
.LBB24_898:
	s_delay_alu instid0(SALU_CYCLE_1)
	s_and_not1_b32 vcc_lo, exec_lo, s14
	s_cbranch_vccnz .LBB24_900
; %bb.899:
	s_wait_loadcnt 0x0
	global_load_u16 v3, v[0:1], off
.LBB24_900:
	s_cbranch_execnz .LBB24_919
.LBB24_901:
	s_sext_i32_i16 s14, s10
	s_delay_alu instid0(SALU_CYCLE_1)
	s_cmp_lt_i32 s14, 2
	s_cbranch_scc1 .LBB24_905
; %bb.902:
	s_cmp_lt_i32 s14, 3
	s_cbranch_scc1 .LBB24_906
; %bb.903:
	s_cmp_gt_i32 s14, 3
	s_cbranch_scc0 .LBB24_907
; %bb.904:
	s_wait_loadcnt 0x0
	global_load_b64 v[2:3], v[0:1], off
	s_mov_b32 s14, 0
	s_wait_loadcnt 0x0
	v_xor_b32_e32 v5, v2, v3
	v_cls_i32_e32 v6, v3
	s_delay_alu instid0(VALU_DEP_2) | instskip(NEXT) | instid1(VALU_DEP_1)
	v_ashrrev_i32_e32 v5, 31, v5
	v_add_nc_u32_e32 v5, 32, v5
	s_delay_alu instid0(VALU_DEP_1) | instskip(NEXT) | instid1(VALU_DEP_1)
	v_add_min_u32_e64 v5, v6, -1, v5
	v_lshlrev_b64_e32 v[2:3], v5, v[2:3]
	s_delay_alu instid0(VALU_DEP_1) | instskip(NEXT) | instid1(VALU_DEP_1)
	v_min_u32_e32 v2, 1, v2
	v_dual_sub_nc_u32 v3, 32, v5 :: v_dual_bitop2_b32 v2, v3, v2 bitop3:0x54
	s_delay_alu instid0(VALU_DEP_1) | instskip(NEXT) | instid1(VALU_DEP_1)
	v_cvt_f32_i32_e32 v2, v2
	v_ldexp_f32 v2, v2, v3
	s_delay_alu instid0(VALU_DEP_1)
	v_cvt_f16_f32_e32 v3, v2
	s_branch .LBB24_908
.LBB24_905:
                                        ; implicit-def: $vgpr3
	s_branch .LBB24_914
.LBB24_906:
	s_mov_b32 s14, -1
                                        ; implicit-def: $vgpr3
	s_branch .LBB24_911
.LBB24_907:
	s_mov_b32 s14, -1
                                        ; implicit-def: $vgpr3
.LBB24_908:
	s_delay_alu instid0(SALU_CYCLE_1)
	s_and_not1_b32 vcc_lo, exec_lo, s14
	s_cbranch_vccnz .LBB24_910
; %bb.909:
	s_wait_loadcnt 0x0
	global_load_b32 v2, v[0:1], off
	s_wait_loadcnt 0x0
	v_cvt_f32_i32_e32 v2, v2
	s_delay_alu instid0(VALU_DEP_1)
	v_cvt_f16_f32_e32 v3, v2
.LBB24_910:
	s_mov_b32 s14, 0
.LBB24_911:
	s_delay_alu instid0(SALU_CYCLE_1)
	s_and_not1_b32 vcc_lo, exec_lo, s14
	s_cbranch_vccnz .LBB24_913
; %bb.912:
	s_wait_loadcnt 0x0
	global_load_u16 v2, v[0:1], off
	s_wait_loadcnt 0x0
	v_cvt_f16_i16_e32 v3, v2
.LBB24_913:
	s_cbranch_execnz .LBB24_919
.LBB24_914:
	s_sext_i32_i16 s14, s10
	s_delay_alu instid0(SALU_CYCLE_1)
	s_cmp_gt_i32 s14, 0
	s_mov_b32 s14, 0
	s_cbranch_scc0 .LBB24_916
; %bb.915:
	s_wait_loadcnt 0x0
	global_load_i8 v2, v[0:1], off
	s_wait_loadcnt 0x0
	v_cvt_f16_i16_e32 v3, v2
	s_branch .LBB24_917
.LBB24_916:
	s_mov_b32 s14, -1
                                        ; implicit-def: $vgpr3
.LBB24_917:
	s_delay_alu instid0(SALU_CYCLE_1)
	s_and_not1_b32 vcc_lo, exec_lo, s14
	s_cbranch_vccnz .LBB24_919
; %bb.918:
	global_load_u8 v0, v[0:1], off
	s_wait_loadcnt 0x0
	v_cvt_f16_u16_e32 v3, v0
.LBB24_919:
	s_or_b32 s0, s0, exec_lo
.LBB24_920:
	s_wait_xcnt 0x0
	s_or_b32 exec_lo, exec_lo, s1
	s_mov_b32 s16, 0
	s_mov_b32 s15, 0
                                        ; implicit-def: $sgpr1
                                        ; implicit-def: $vgpr0_vgpr1
                                        ; implicit-def: $vgpr2
	s_and_saveexec_b32 s14, s0
	s_cbranch_execz .LBB24_999
; %bb.921:
	s_wait_loadcnt 0x0
	v_cvt_f32_f16_e32 v0, v3
                                        ; implicit-def: $vgpr3
                                        ; implicit-def: $vgpr2
	s_mov_b32 s1, exec_lo
	s_delay_alu instid0(VALU_DEP_1)
	v_and_b32_e32 v1, 0x7fffffff, v0
	v_cmpx_ngt_f32_e64 0x48000000, |v0|
	s_xor_b32 s15, exec_lo, s1
	s_cbranch_execz .LBB24_923
; %bb.922:
	s_mov_b32 s0, 0x7fffff
	v_mov_b32_e32 v3, 0
	v_and_or_b32 v2, v1, s0, 0x800000
	s_mov_b64 s[0:1], 0xfe5163ab
	v_lshrrev_b32_e32 v5, 23, v1
	s_delay_alu instid0(VALU_DEP_2) | instskip(NEXT) | instid1(VALU_DEP_1)
	v_mul_u64_e32 v[6:7], s[0:1], v[2:3]
	v_dual_mov_b32 v8, v7 :: v_dual_mov_b32 v9, v3
	v_dual_mov_b32 v11, v3 :: v_dual_mov_b32 v13, v3
	v_mov_b32_e32 v15, v3
	s_delay_alu instid0(VALU_DEP_3) | instskip(NEXT) | instid1(VALU_DEP_1)
	v_mad_nc_u64_u32 v[8:9], 0x3c439041, v2, v[8:9]
	v_mov_b32_e32 v10, v9
	s_delay_alu instid0(VALU_DEP_1) | instskip(NEXT) | instid1(VALU_DEP_1)
	v_mad_nc_u64_u32 v[10:11], 0xdb629599, v2, v[10:11]
	v_mov_b32_e32 v12, v11
	s_delay_alu instid0(VALU_DEP_1) | instskip(NEXT) | instid1(VALU_DEP_1)
	;; [unrolled: 3-line block ×3, first 2 shown]
	v_mad_nc_u64_u32 v[14:15], 0xfc2757d1, v2, v[14:15]
	v_dual_mov_b32 v17, v3 :: v_dual_mov_b32 v16, v15
	s_delay_alu instid0(VALU_DEP_1) | instskip(NEXT) | instid1(VALU_DEP_1)
	v_mad_nc_u64_u32 v[16:17], 0x4e441529, v2, v[16:17]
	v_dual_mov_b32 v18, v17 :: v_dual_add_nc_u32 v5, 0xffffff88, v5
	s_delay_alu instid0(VALU_DEP_1) | instskip(SKIP_2) | instid1(VALU_DEP_2)
	v_cmp_lt_u32_e32 vcc_lo, 63, v5
	v_mov_b32_e32 v19, v3
	v_cndmask_b32_e64 v7, 0, 0xffffffc0, vcc_lo
	v_mad_nc_u64_u32 v[2:3], 0xa2f9836e, v2, v[18:19]
	v_dual_cndmask_b32 v9, v16, v12, vcc_lo :: v_dual_cndmask_b32 v11, v14, v10, vcc_lo
	s_delay_alu instid0(VALU_DEP_3) | instskip(NEXT) | instid1(VALU_DEP_1)
	v_dual_cndmask_b32 v6, v10, v6 :: v_dual_add_nc_u32 v5, v7, v5
	v_cmp_lt_u32_e64 s0, 31, v5
	s_delay_alu instid0(VALU_DEP_4) | instskip(NEXT) | instid1(VALU_DEP_2)
	v_dual_cndmask_b32 v2, v2, v14 :: v_dual_cndmask_b32 v3, v3, v16
	v_cndmask_b32_e64 v7, 0, 0xffffffe0, s0
	s_delay_alu instid0(VALU_DEP_1) | instskip(NEXT) | instid1(VALU_DEP_1)
	v_add_nc_u32_e32 v5, v7, v5
	v_cmp_lt_u32_e64 s1, 31, v5
	s_delay_alu instid0(VALU_DEP_1) | instskip(NEXT) | instid1(VALU_DEP_1)
	v_cndmask_b32_e64 v7, 0, 0xffffffe0, s1
	v_dual_add_nc_u32 v5, v7, v5 :: v_dual_cndmask_b32 v7, v12, v8, vcc_lo
	v_dual_cndmask_b32 v8, v2, v9, s0 :: v_dual_cndmask_b32 v2, v3, v2, s0
	s_delay_alu instid0(VALU_DEP_2) | instskip(NEXT) | instid1(VALU_DEP_3)
	v_dual_cndmask_b32 v3, v9, v11, s0 :: v_dual_sub_nc_u32 v9, 32, v5
	v_cndmask_b32_e64 v11, v11, v7, s0
	v_cmp_eq_u32_e32 vcc_lo, 0, v5
	s_delay_alu instid0(VALU_DEP_3) | instskip(SKIP_1) | instid1(VALU_DEP_4)
	v_dual_cndmask_b32 v2, v2, v8, s1 :: v_dual_cndmask_b32 v8, v8, v3, s1
	v_cndmask_b32_e64 v5, v7, v6, s0
	v_cndmask_b32_e64 v3, v3, v11, s1
	s_delay_alu instid0(VALU_DEP_3) | instskip(NEXT) | instid1(VALU_DEP_2)
	v_alignbit_b32 v12, v2, v8, v9
	v_alignbit_b32 v10, v8, v3, v9
	s_delay_alu instid0(VALU_DEP_1) | instskip(NEXT) | instid1(VALU_DEP_1)
	v_dual_cndmask_b32 v2, v12, v2, vcc_lo :: v_dual_cndmask_b32 v6, v10, v8, vcc_lo
	v_bfe_u32 v7, v2, 29, 1
	s_delay_alu instid0(VALU_DEP_2) | instskip(NEXT) | instid1(VALU_DEP_2)
	v_alignbit_b32 v8, v2, v6, 30
	v_dual_sub_nc_u32 v10, 0, v7 :: v_dual_cndmask_b32 v5, v11, v5, s1
	s_delay_alu instid0(VALU_DEP_1) | instskip(NEXT) | instid1(VALU_DEP_2)
	v_xor_b32_e32 v8, v8, v10
	v_alignbit_b32 v9, v3, v5, v9
	s_delay_alu instid0(VALU_DEP_1) | instskip(NEXT) | instid1(VALU_DEP_3)
	v_cndmask_b32_e32 v3, v9, v3, vcc_lo
	v_clz_i32_u32_e32 v9, v8
	s_delay_alu instid0(VALU_DEP_2) | instskip(NEXT) | instid1(VALU_DEP_2)
	v_alignbit_b32 v6, v6, v3, 30
	v_min_u32_e32 v9, 32, v9
	v_alignbit_b32 v3, v3, v5, 30
	s_delay_alu instid0(VALU_DEP_2) | instskip(NEXT) | instid1(VALU_DEP_2)
	v_dual_sub_nc_u32 v6, 31, v9 :: v_dual_bitop2_b32 v5, v6, v10 bitop3:0x14
	v_xor_b32_e32 v3, v3, v10
	v_dual_lshrrev_b32 v10, 29, v2 :: v_dual_lshlrev_b32 v11, 23, v9
	s_delay_alu instid0(VALU_DEP_3) | instskip(NEXT) | instid1(VALU_DEP_3)
	v_alignbit_b32 v8, v8, v5, v6
	v_alignbit_b32 v3, v5, v3, v6
	s_delay_alu instid0(VALU_DEP_3) | instskip(NEXT) | instid1(VALU_DEP_2)
	v_lshlrev_b32_e32 v5, 31, v10
	v_alignbit_b32 v6, v8, v3, 9
	s_delay_alu instid0(VALU_DEP_2) | instskip(NEXT) | instid1(VALU_DEP_2)
	v_dual_lshrrev_b32 v8, 9, v8 :: v_dual_bitop2_b32 v10, 0.5, v5 bitop3:0x54
	v_clz_i32_u32_e32 v12, v6
	s_delay_alu instid0(VALU_DEP_2) | instskip(SKIP_1) | instid1(VALU_DEP_3)
	v_sub_nc_u32_e32 v10, v10, v11
	v_or_b32_e32 v5, 0x33000000, v5
	v_min_u32_e32 v11, 32, v12
	s_delay_alu instid0(VALU_DEP_1) | instskip(NEXT) | instid1(VALU_DEP_4)
	v_add_lshl_u32 v9, v11, v9, 23
	v_or_b32_e32 v8, v8, v10
	v_not_b32_e32 v10, v11
	s_delay_alu instid0(VALU_DEP_3) | instskip(NEXT) | instid1(VALU_DEP_2)
	v_sub_nc_u32_e32 v5, v5, v9
	v_alignbit_b32 v3, v6, v3, v10
	s_delay_alu instid0(VALU_DEP_1) | instskip(NEXT) | instid1(VALU_DEP_1)
	v_dual_mul_f32 v12, 0x3fc90fda, v8 :: v_dual_lshrrev_b32 v3, 9, v3
	v_fma_f32 v6, 0x3fc90fda, v8, -v12
	s_delay_alu instid0(VALU_DEP_2) | instskip(NEXT) | instid1(VALU_DEP_2)
	v_or_b32_e32 v3, v5, v3
	v_fmamk_f32 v6, v8, 0x33a22168, v6
	s_delay_alu instid0(VALU_DEP_1) | instskip(NEXT) | instid1(VALU_DEP_1)
	v_dual_fmac_f32 v6, 0x3fc90fda, v3 :: v_dual_lshrrev_b32 v3, 30, v2
	v_dual_add_f32 v2, v12, v6 :: v_dual_add_nc_u32 v3, v7, v3
.LBB24_923:
	s_and_not1_saveexec_b32 s0, s15
; %bb.924:
	v_mul_f32_e64 v2, 0x3f22f983, |v0|
	s_delay_alu instid0(VALU_DEP_1) | instskip(NEXT) | instid1(VALU_DEP_1)
	v_rndne_f32_e32 v3, v2
	v_fma_f32 v2, 0xbfc90fda, v3, |v0|
	s_delay_alu instid0(VALU_DEP_1) | instskip(NEXT) | instid1(VALU_DEP_1)
	v_fmamk_f32 v2, v3, 0xb3a22168, v2
	v_fmamk_f32 v2, v3, 0xa7c234c4, v2
	v_cvt_i32_f32_e32 v3, v3
; %bb.925:
	s_or_b32 exec_lo, exec_lo, s0
	s_delay_alu instid0(VALU_DEP_1) | instskip(SKIP_3) | instid1(VALU_DEP_2)
	v_dual_mul_f32 v5, v2, v2 :: v_dual_bitop2_b32 v8, 1, v3 bitop3:0x40
	s_mov_b32 s0, 0xb94c1982
	s_mov_b32 s1, 0x37d75334
	v_mul_lo_u32 v4, v4, s2
	v_dual_fmaak_f32 v6, s0, v5, 0x3c0881c4 :: v_dual_lshlrev_b32 v3, 30, v3
	v_cmp_eq_u32_e32 vcc_lo, 0, v8
	v_xor_b32_e32 v1, v1, v0
	s_mov_b32 s17, 0
	s_delay_alu instid0(VALU_DEP_3) | instskip(SKIP_4) | instid1(VALU_DEP_2)
	v_fmaak_f32 v6, v5, v6, 0xbe2aaa9d
	v_fmaak_f32 v7, s1, v5, 0xbab64f3b
	v_and_b32_e32 v3, 0x80000000, v3
	s_and_b32 s1, s8, 0xff
	s_mov_b32 s16, -1
	v_dual_mul_f32 v6, v5, v6 :: v_dual_fmaak_f32 v7, v5, v7, 0x3d2aabf7
	s_cmp_lt_i32 s1, 11
	s_mov_b32 s0, s12
	s_delay_alu instid0(VALU_DEP_1) | instskip(NEXT) | instid1(VALU_DEP_1)
	v_dual_fmac_f32 v2, v2, v6 :: v_dual_fmaak_f32 v7, v5, v7, 0xbf000004
	v_fma_f32 v5, v5, v7, 1.0
	s_delay_alu instid0(VALU_DEP_1) | instskip(SKIP_2) | instid1(VALU_DEP_3)
	v_cndmask_b32_e32 v2, v5, v2, vcc_lo
	v_cmp_class_f32_e64 vcc_lo, v0, 0x1f8
	v_ashrrev_i32_e32 v5, 31, v4
	v_xor3_b32 v1, v1, v3, v2
	s_delay_alu instid0(VALU_DEP_1) | instskip(NEXT) | instid1(VALU_DEP_3)
	v_cndmask_b32_e32 v2, 0x7fc00000, v1, vcc_lo
	v_add_nc_u64_e32 v[0:1], s[4:5], v[4:5]
	s_delay_alu instid0(VALU_DEP_2)
	v_cvt_f16_f32_e32 v2, v2
	s_cbranch_scc1 .LBB24_1003
; %bb.926:
	s_and_b32 s15, 0xffff, s1
	s_mov_b32 s0, s12
	s_cmp_gt_i32 s15, 25
	s_cbranch_scc0 .LBB24_959
; %bb.927:
	s_cmp_gt_i32 s15, 28
	s_mov_b32 s0, s12
	s_cbranch_scc0 .LBB24_943
; %bb.928:
	s_cmp_gt_i32 s15, 43
	s_mov_b32 s0, s12
	;; [unrolled: 4-line block ×3, first 2 shown]
	s_cbranch_scc0 .LBB24_933
; %bb.930:
	s_cmp_eq_u32 s15, 46
	s_mov_b32 s0, -1
	s_cbranch_scc0 .LBB24_932
; %bb.931:
	v_cvt_f32_f16_e32 v3, v2
	v_cmp_o_f16_e32 vcc_lo, v2, v2
	s_mov_b32 s0, 0
	s_delay_alu instid0(VALU_DEP_2) | instskip(NEXT) | instid1(VALU_DEP_1)
	v_bfe_u32 v4, v3, 16, 1
	v_add3_u32 v3, v3, v4, 0x7fff
	s_delay_alu instid0(VALU_DEP_1) | instskip(NEXT) | instid1(VALU_DEP_1)
	v_lshrrev_b32_e32 v3, 16, v3
	v_cndmask_b32_e32 v3, 0x7fc0, v3, vcc_lo
	global_store_b32 v[0:1], v3, off
.LBB24_932:
	s_mov_b32 s16, 0
.LBB24_933:
	s_delay_alu instid0(SALU_CYCLE_1)
	s_and_b32 vcc_lo, exec_lo, s16
	s_cbranch_vccz .LBB24_938
; %bb.934:
	s_cmp_eq_u32 s15, 44
	s_mov_b32 s0, -1
	s_cbranch_scc0 .LBB24_938
; %bb.935:
	s_wait_xcnt 0x0
	v_cvt_f32_f16_e32 v3, v2
	v_mov_b32_e32 v4, 0xff
	s_mov_b32 s16, exec_lo
	s_delay_alu instid0(VALU_DEP_2) | instskip(NEXT) | instid1(VALU_DEP_1)
	v_bfe_u32 v5, v3, 23, 8
	v_cmpx_ne_u32_e32 0xff, v5
	s_cbranch_execz .LBB24_937
; %bb.936:
	v_and_b32_e32 v4, 0x400000, v3
	v_and_or_b32 v5, 0x3fffff, v3, v5
	v_lshrrev_b32_e32 v3, 23, v3
	s_delay_alu instid0(VALU_DEP_3) | instskip(NEXT) | instid1(VALU_DEP_3)
	v_cmp_ne_u32_e32 vcc_lo, 0, v4
	v_cmp_ne_u32_e64 s0, 0, v5
	s_and_b32 s0, vcc_lo, s0
	s_delay_alu instid0(SALU_CYCLE_1) | instskip(NEXT) | instid1(VALU_DEP_1)
	v_cndmask_b32_e64 v4, 0, 1, s0
	v_add_nc_u32_e32 v4, v3, v4
.LBB24_937:
	s_or_b32 exec_lo, exec_lo, s16
	s_mov_b32 s0, 0
	global_store_b8 v[0:1], v4, off
.LBB24_938:
	s_mov_b32 s16, 0
.LBB24_939:
	s_delay_alu instid0(SALU_CYCLE_1)
	s_and_b32 vcc_lo, exec_lo, s16
	s_cbranch_vccz .LBB24_942
; %bb.940:
	s_cmp_eq_u32 s15, 29
	s_mov_b32 s0, -1
	s_cbranch_scc0 .LBB24_942
; %bb.941:
	s_wait_xcnt 0x0
	v_cvt_f32_f16_e32 v3, v2
	v_mov_b32_e32 v5, 0
	s_mov_b32 s0, 0
	s_delay_alu instid0(VALU_DEP_2)
	v_cvt_u32_f32_e32 v4, v3
	global_store_b64 v[0:1], v[4:5], off
.LBB24_942:
	s_mov_b32 s16, 0
.LBB24_943:
	s_delay_alu instid0(SALU_CYCLE_1)
	s_and_b32 vcc_lo, exec_lo, s16
	s_cbranch_vccz .LBB24_958
; %bb.944:
	s_cmp_lt_i32 s15, 27
	s_mov_b32 s16, -1
	s_cbranch_scc1 .LBB24_950
; %bb.945:
	s_cmp_gt_i32 s15, 27
	s_cbranch_scc0 .LBB24_947
; %bb.946:
	s_wait_xcnt 0x0
	v_cvt_f32_f16_e32 v3, v2
	s_mov_b32 s16, 0
	s_delay_alu instid0(VALU_DEP_1)
	v_cvt_u32_f32_e32 v3, v3
	global_store_b32 v[0:1], v3, off
.LBB24_947:
	s_and_not1_b32 vcc_lo, exec_lo, s16
	s_cbranch_vccnz .LBB24_949
; %bb.948:
	s_wait_xcnt 0x0
	v_cvt_u16_f16_e32 v3, v2
	global_store_b16 v[0:1], v3, off
.LBB24_949:
	s_mov_b32 s16, 0
.LBB24_950:
	s_delay_alu instid0(SALU_CYCLE_1)
	s_and_not1_b32 vcc_lo, exec_lo, s16
	s_cbranch_vccnz .LBB24_958
; %bb.951:
	s_wait_xcnt 0x0
	v_cvt_f32_f16_e32 v3, v2
	v_mov_b32_e32 v5, 0x80
	s_mov_b32 s16, exec_lo
	s_delay_alu instid0(VALU_DEP_2) | instskip(NEXT) | instid1(VALU_DEP_1)
	v_and_b32_e32 v4, 0x7fffffff, v3
	v_cmpx_gt_u32_e32 0x43800000, v4
	s_cbranch_execz .LBB24_957
; %bb.952:
	v_cmp_lt_u32_e32 vcc_lo, 0x3bffffff, v4
                                        ; implicit-def: $vgpr4
	s_and_saveexec_b32 s18, vcc_lo
	s_delay_alu instid0(SALU_CYCLE_1)
	s_xor_b32 s18, exec_lo, s18
	s_cbranch_execz .LBB24_1058
; %bb.953:
	v_bfe_u32 v4, v3, 20, 1
	s_mov_b32 s17, exec_lo
	s_delay_alu instid0(VALU_DEP_1) | instskip(NEXT) | instid1(VALU_DEP_1)
	v_add3_u32 v4, v3, v4, 0x487ffff
	v_lshrrev_b32_e32 v4, 20, v4
	s_and_not1_saveexec_b32 s18, s18
	s_cbranch_execnz .LBB24_1059
.LBB24_954:
	s_or_b32 exec_lo, exec_lo, s18
	v_mov_b32_e32 v5, 0
	s_and_saveexec_b32 s18, s17
.LBB24_955:
	v_lshrrev_b32_e32 v3, 24, v3
	s_delay_alu instid0(VALU_DEP_1)
	v_and_or_b32 v5, 0x80, v3, v4
.LBB24_956:
	s_or_b32 exec_lo, exec_lo, s18
.LBB24_957:
	s_delay_alu instid0(SALU_CYCLE_1)
	s_or_b32 exec_lo, exec_lo, s16
	global_store_b8 v[0:1], v5, off
.LBB24_958:
	s_mov_b32 s16, 0
.LBB24_959:
	s_delay_alu instid0(SALU_CYCLE_1)
	s_and_b32 vcc_lo, exec_lo, s16
	s_mov_b32 s16, 0
	s_cbranch_vccz .LBB24_1002
; %bb.960:
	s_cmp_gt_i32 s15, 22
	s_mov_b32 s17, -1
	s_cbranch_scc0 .LBB24_992
; %bb.961:
	s_cmp_lt_i32 s15, 24
	s_cbranch_scc1 .LBB24_981
; %bb.962:
	s_cmp_gt_i32 s15, 24
	s_cbranch_scc0 .LBB24_970
; %bb.963:
	s_wait_xcnt 0x0
	v_cvt_f32_f16_e32 v3, v2
	v_mov_b32_e32 v5, 0x80
	s_mov_b32 s17, exec_lo
	s_delay_alu instid0(VALU_DEP_2) | instskip(NEXT) | instid1(VALU_DEP_1)
	v_and_b32_e32 v4, 0x7fffffff, v3
	v_cmpx_gt_u32_e32 0x47800000, v4
	s_cbranch_execz .LBB24_969
; %bb.964:
	v_cmp_lt_u32_e32 vcc_lo, 0x37ffffff, v4
	s_mov_b32 s18, 0
                                        ; implicit-def: $vgpr4
	s_and_saveexec_b32 s19, vcc_lo
	s_delay_alu instid0(SALU_CYCLE_1)
	s_xor_b32 s19, exec_lo, s19
	s_cbranch_execz .LBB24_1188
; %bb.965:
	v_bfe_u32 v4, v3, 21, 1
	s_mov_b32 s18, exec_lo
	s_delay_alu instid0(VALU_DEP_1) | instskip(NEXT) | instid1(VALU_DEP_1)
	v_add3_u32 v4, v3, v4, 0x88fffff
	v_lshrrev_b32_e32 v4, 21, v4
	s_and_not1_saveexec_b32 s19, s19
	s_cbranch_execnz .LBB24_1189
.LBB24_966:
	s_or_b32 exec_lo, exec_lo, s19
	v_mov_b32_e32 v5, 0
	s_and_saveexec_b32 s19, s18
.LBB24_967:
	v_lshrrev_b32_e32 v3, 24, v3
	s_delay_alu instid0(VALU_DEP_1)
	v_and_or_b32 v5, 0x80, v3, v4
.LBB24_968:
	s_or_b32 exec_lo, exec_lo, s19
.LBB24_969:
	s_delay_alu instid0(SALU_CYCLE_1)
	s_or_b32 exec_lo, exec_lo, s17
	s_mov_b32 s17, 0
	global_store_b8 v[0:1], v5, off
.LBB24_970:
	s_and_b32 vcc_lo, exec_lo, s17
	s_cbranch_vccz .LBB24_980
; %bb.971:
	s_wait_xcnt 0x0
	v_cvt_f32_f16_e32 v3, v2
	s_mov_b32 s17, exec_lo
                                        ; implicit-def: $vgpr4
	s_delay_alu instid0(VALU_DEP_1) | instskip(NEXT) | instid1(VALU_DEP_1)
	v_and_b32_e32 v5, 0x7fffffff, v3
	v_cmpx_gt_u32_e32 0x43f00000, v5
	s_xor_b32 s17, exec_lo, s17
	s_cbranch_execz .LBB24_977
; %bb.972:
	s_mov_b32 s18, exec_lo
                                        ; implicit-def: $vgpr4
	v_cmpx_lt_u32_e32 0x3c7fffff, v5
	s_xor_b32 s18, exec_lo, s18
; %bb.973:
	v_bfe_u32 v4, v3, 20, 1
	s_delay_alu instid0(VALU_DEP_1) | instskip(NEXT) | instid1(VALU_DEP_1)
	v_add3_u32 v4, v3, v4, 0x407ffff
	v_and_b32_e32 v5, 0xff00000, v4
	v_lshrrev_b32_e32 v4, 20, v4
	s_delay_alu instid0(VALU_DEP_2) | instskip(NEXT) | instid1(VALU_DEP_2)
	v_cmp_ne_u32_e32 vcc_lo, 0x7f00000, v5
	v_cndmask_b32_e32 v4, 0x7e, v4, vcc_lo
; %bb.974:
	s_and_not1_saveexec_b32 s18, s18
; %bb.975:
	v_add_f32_e64 v4, 0x46800000, |v3|
; %bb.976:
	s_or_b32 exec_lo, exec_lo, s18
                                        ; implicit-def: $vgpr5
.LBB24_977:
	s_and_not1_saveexec_b32 s17, s17
; %bb.978:
	v_mov_b32_e32 v4, 0x7f
	v_cmp_lt_u32_e32 vcc_lo, 0x7f800000, v5
	s_delay_alu instid0(VALU_DEP_2)
	v_cndmask_b32_e32 v4, 0x7e, v4, vcc_lo
; %bb.979:
	s_or_b32 exec_lo, exec_lo, s17
	v_lshrrev_b32_e32 v3, 24, v3
	s_delay_alu instid0(VALU_DEP_1)
	v_and_or_b32 v3, 0x80, v3, v4
	global_store_b8 v[0:1], v3, off
.LBB24_980:
	s_mov_b32 s17, 0
.LBB24_981:
	s_delay_alu instid0(SALU_CYCLE_1)
	s_and_not1_b32 vcc_lo, exec_lo, s17
	s_cbranch_vccnz .LBB24_991
; %bb.982:
	s_wait_xcnt 0x0
	v_cvt_f32_f16_e32 v3, v2
	s_mov_b32 s17, exec_lo
                                        ; implicit-def: $vgpr4
	s_delay_alu instid0(VALU_DEP_1) | instskip(NEXT) | instid1(VALU_DEP_1)
	v_and_b32_e32 v5, 0x7fffffff, v3
	v_cmpx_gt_u32_e32 0x47800000, v5
	s_xor_b32 s17, exec_lo, s17
	s_cbranch_execz .LBB24_988
; %bb.983:
	s_mov_b32 s18, exec_lo
                                        ; implicit-def: $vgpr4
	v_cmpx_lt_u32_e32 0x387fffff, v5
	s_xor_b32 s18, exec_lo, s18
; %bb.984:
	v_bfe_u32 v4, v3, 21, 1
	s_delay_alu instid0(VALU_DEP_1) | instskip(NEXT) | instid1(VALU_DEP_1)
	v_add3_u32 v4, v3, v4, 0x80fffff
	v_lshrrev_b32_e32 v4, 21, v4
; %bb.985:
	s_and_not1_saveexec_b32 s18, s18
; %bb.986:
	v_add_f32_e64 v4, 0x43000000, |v3|
; %bb.987:
	s_or_b32 exec_lo, exec_lo, s18
                                        ; implicit-def: $vgpr5
.LBB24_988:
	s_and_not1_saveexec_b32 s17, s17
; %bb.989:
	v_mov_b32_e32 v4, 0x7f
	v_cmp_lt_u32_e32 vcc_lo, 0x7f800000, v5
	s_delay_alu instid0(VALU_DEP_2)
	v_cndmask_b32_e32 v4, 0x7c, v4, vcc_lo
; %bb.990:
	s_or_b32 exec_lo, exec_lo, s17
	v_lshrrev_b32_e32 v3, 24, v3
	s_delay_alu instid0(VALU_DEP_1)
	v_and_or_b32 v3, 0x80, v3, v4
	global_store_b8 v[0:1], v3, off
.LBB24_991:
	s_mov_b32 s17, 0
.LBB24_992:
	s_delay_alu instid0(SALU_CYCLE_1)
	s_and_not1_b32 vcc_lo, exec_lo, s17
	s_mov_b32 s17, 0
	s_cbranch_vccnz .LBB24_1003
; %bb.993:
	s_cmp_gt_i32 s15, 14
	s_mov_b32 s17, -1
	s_cbranch_scc0 .LBB24_997
; %bb.994:
	s_cmp_eq_u32 s15, 15
	s_mov_b32 s0, -1
	s_cbranch_scc0 .LBB24_996
; %bb.995:
	s_wait_xcnt 0x0
	v_cvt_f32_f16_e32 v3, v2
	v_cmp_o_f16_e32 vcc_lo, v2, v2
	s_mov_b32 s0, 0
	s_delay_alu instid0(VALU_DEP_2) | instskip(NEXT) | instid1(VALU_DEP_1)
	v_bfe_u32 v4, v3, 16, 1
	v_add3_u32 v3, v3, v4, 0x7fff
	s_delay_alu instid0(VALU_DEP_1) | instskip(NEXT) | instid1(VALU_DEP_1)
	v_lshrrev_b32_e32 v3, 16, v3
	v_cndmask_b32_e32 v3, 0x7fc0, v3, vcc_lo
	global_store_b16 v[0:1], v3, off
.LBB24_996:
	s_mov_b32 s17, 0
.LBB24_997:
	s_delay_alu instid0(SALU_CYCLE_1)
	s_and_b32 vcc_lo, exec_lo, s17
	s_mov_b32 s17, 0
	s_cbranch_vccz .LBB24_1003
; %bb.998:
	s_cmp_lg_u32 s15, 11
	s_mov_b32 s17, -1
	s_cselect_b32 s15, -1, 0
	s_and_not1_b32 s0, s0, exec_lo
	s_and_b32 s15, s15, exec_lo
	s_delay_alu instid0(SALU_CYCLE_1)
	s_or_b32 s0, s0, s15
	s_branch .LBB24_1003
.LBB24_999:
	s_or_b32 exec_lo, exec_lo, s14
	s_and_saveexec_b32 s0, s12
	s_cbranch_execnz .LBB24_1004
.LBB24_1000:
	s_or_b32 exec_lo, exec_lo, s0
	s_and_saveexec_b32 s0, s16
	s_delay_alu instid0(SALU_CYCLE_1)
	s_xor_b32 s0, exec_lo, s0
	s_cbranch_execz .LBB24_1005
.LBB24_1001:
	s_wait_loadcnt 0x0
	v_cmp_neq_f16_e32 vcc_lo, 0, v2
	v_cndmask_b32_e64 v3, 0, 1, vcc_lo
	global_store_b8 v[0:1], v3, off
	s_wait_xcnt 0x0
	s_or_b32 exec_lo, exec_lo, s0
	s_and_saveexec_b32 s0, s15
	s_delay_alu instid0(SALU_CYCLE_1)
	s_xor_b32 s0, exec_lo, s0
	s_cbranch_execz .LBB24_1043
	s_branch .LBB24_1006
.LBB24_1002:
	s_mov_b32 s17, 0
.LBB24_1003:
	s_and_not1_b32 s12, s12, exec_lo
	s_and_b32 s0, s0, exec_lo
	s_and_b32 s15, s16, exec_lo
	;; [unrolled: 1-line block ×3, first 2 shown]
	s_or_b32 s12, s12, s0
	s_wait_xcnt 0x0
	s_or_b32 exec_lo, exec_lo, s14
	s_and_saveexec_b32 s0, s12
	s_cbranch_execz .LBB24_1000
.LBB24_1004:
	s_or_b32 s13, s13, exec_lo
	s_and_not1_b32 s16, s16, exec_lo
	s_trap 2
	s_or_b32 exec_lo, exec_lo, s0
	s_and_saveexec_b32 s0, s16
	s_delay_alu instid0(SALU_CYCLE_1)
	s_xor_b32 s0, exec_lo, s0
	s_cbranch_execnz .LBB24_1001
.LBB24_1005:
	s_or_b32 exec_lo, exec_lo, s0
	s_and_saveexec_b32 s0, s15
	s_delay_alu instid0(SALU_CYCLE_1)
	s_xor_b32 s0, exec_lo, s0
	s_cbranch_execz .LBB24_1043
.LBB24_1006:
	s_sext_i32_i16 s14, s1
	s_mov_b32 s12, -1
	s_cmp_lt_i32 s14, 5
	s_cbranch_scc1 .LBB24_1027
; %bb.1007:
	s_cmp_lt_i32 s14, 8
	s_cbranch_scc1 .LBB24_1017
; %bb.1008:
	;; [unrolled: 3-line block ×3, first 2 shown]
	s_cmp_gt_i32 s14, 9
	s_cbranch_scc0 .LBB24_1011
; %bb.1010:
	s_wait_loadcnt 0x0
	v_cvt_f32_f16_e32 v3, v2
	v_mov_b32_e32 v6, 0
	s_mov_b32 s12, 0
	s_delay_alu instid0(VALU_DEP_2) | instskip(NEXT) | instid1(VALU_DEP_2)
	v_cvt_f64_f32_e32 v[4:5], v3
	v_mov_b32_e32 v7, v6
	global_store_b128 v[0:1], v[4:7], off
.LBB24_1011:
	s_and_not1_b32 vcc_lo, exec_lo, s12
	s_cbranch_vccnz .LBB24_1013
; %bb.1012:
	s_wait_loadcnt 0x0
	v_cvt_f32_f16_e32 v4, v2
	v_mov_b32_e32 v5, 0
	global_store_b64 v[0:1], v[4:5], off
.LBB24_1013:
	s_mov_b32 s12, 0
.LBB24_1014:
	s_delay_alu instid0(SALU_CYCLE_1)
	s_and_not1_b32 vcc_lo, exec_lo, s12
	s_cbranch_vccnz .LBB24_1016
; %bb.1015:
	s_wait_loadcnt 0x0
	v_and_b32_e32 v3, 0xffff, v2
	global_store_b32 v[0:1], v3, off
.LBB24_1016:
	s_mov_b32 s12, 0
.LBB24_1017:
	s_delay_alu instid0(SALU_CYCLE_1)
	s_and_not1_b32 vcc_lo, exec_lo, s12
	s_cbranch_vccnz .LBB24_1026
; %bb.1018:
	s_sext_i32_i16 s14, s1
	s_mov_b32 s12, -1
	s_cmp_lt_i32 s14, 6
	s_cbranch_scc1 .LBB24_1024
; %bb.1019:
	s_cmp_gt_i32 s14, 6
	s_cbranch_scc0 .LBB24_1021
; %bb.1020:
	s_wait_loadcnt 0x0
	v_cvt_f32_f16_e32 v3, v2
	s_mov_b32 s12, 0
	s_delay_alu instid0(VALU_DEP_1)
	v_cvt_f64_f32_e32 v[4:5], v3
	global_store_b64 v[0:1], v[4:5], off
.LBB24_1021:
	s_and_not1_b32 vcc_lo, exec_lo, s12
	s_cbranch_vccnz .LBB24_1023
; %bb.1022:
	s_wait_loadcnt 0x0
	v_cvt_f32_f16_e32 v3, v2
	global_store_b32 v[0:1], v3, off
.LBB24_1023:
	s_mov_b32 s12, 0
.LBB24_1024:
	s_delay_alu instid0(SALU_CYCLE_1)
	s_and_not1_b32 vcc_lo, exec_lo, s12
	s_cbranch_vccnz .LBB24_1026
; %bb.1025:
	s_wait_loadcnt 0x0
	global_store_b16 v[0:1], v2, off
.LBB24_1026:
	s_mov_b32 s12, 0
.LBB24_1027:
	s_delay_alu instid0(SALU_CYCLE_1)
	s_and_not1_b32 vcc_lo, exec_lo, s12
	s_cbranch_vccnz .LBB24_1043
; %bb.1028:
	s_sext_i32_i16 s14, s1
	s_mov_b32 s12, -1
	s_cmp_lt_i32 s14, 2
	s_cbranch_scc1 .LBB24_1038
; %bb.1029:
	s_cmp_lt_i32 s14, 3
	s_cbranch_scc1 .LBB24_1035
; %bb.1030:
	s_cmp_gt_i32 s14, 3
	s_cbranch_scc0 .LBB24_1032
; %bb.1031:
	s_wait_loadcnt 0x0
	v_cvt_f32_f16_e32 v3, v2
	s_mov_b32 s12, 0
	s_delay_alu instid0(VALU_DEP_1) | instskip(NEXT) | instid1(VALU_DEP_1)
	v_cvt_i32_f32_e32 v4, v3
	v_ashrrev_i32_e32 v5, 31, v4
	global_store_b64 v[0:1], v[4:5], off
.LBB24_1032:
	s_and_not1_b32 vcc_lo, exec_lo, s12
	s_cbranch_vccnz .LBB24_1034
; %bb.1033:
	s_wait_loadcnt 0x0
	v_cvt_f32_f16_e32 v3, v2
	s_delay_alu instid0(VALU_DEP_1)
	v_cvt_i32_f32_e32 v3, v3
	global_store_b32 v[0:1], v3, off
.LBB24_1034:
	s_mov_b32 s12, 0
.LBB24_1035:
	s_delay_alu instid0(SALU_CYCLE_1)
	s_and_not1_b32 vcc_lo, exec_lo, s12
	s_cbranch_vccnz .LBB24_1037
; %bb.1036:
	s_wait_loadcnt 0x0
	v_cvt_i16_f16_e32 v3, v2
	global_store_b16 v[0:1], v3, off
.LBB24_1037:
	s_mov_b32 s12, 0
.LBB24_1038:
	s_delay_alu instid0(SALU_CYCLE_1)
	s_and_not1_b32 vcc_lo, exec_lo, s12
	s_cbranch_vccnz .LBB24_1043
; %bb.1039:
	s_sext_i32_i16 s1, s1
	s_delay_alu instid0(SALU_CYCLE_1)
	s_cmp_gt_i32 s1, 0
	s_mov_b32 s1, -1
	s_cbranch_scc0 .LBB24_1041
; %bb.1040:
	s_wait_loadcnt 0x0
	v_cvt_i16_f16_e32 v3, v2
	s_mov_b32 s1, 0
	global_store_b8 v[0:1], v3, off
.LBB24_1041:
	s_and_not1_b32 vcc_lo, exec_lo, s1
	s_cbranch_vccnz .LBB24_1043
; %bb.1042:
	s_wait_loadcnt 0x0
	v_cvt_f32_f16_e32 v2, v2
	s_delay_alu instid0(VALU_DEP_1)
	v_cvt_i32_f32_e32 v2, v2
	global_store_b8 v[0:1], v2, off
.LBB24_1043:
	s_wait_xcnt 0x0
	s_or_b32 exec_lo, exec_lo, s0
	s_delay_alu instid0(SALU_CYCLE_1)
	s_and_b32 s12, s13, exec_lo
                                        ; implicit-def: $vgpr4
.LBB24_1044:
	s_or_saveexec_b32 s11, s11
	s_mov_b32 s0, 0
                                        ; implicit-def: $sgpr1
                                        ; implicit-def: $vgpr0_vgpr1
                                        ; implicit-def: $vgpr2
	s_xor_b32 exec_lo, exec_lo, s11
	s_cbranch_execz .LBB24_2009
; %bb.1045:
	v_mul_lo_u32 v0, s3, v4
	s_and_b32 s10, 0xffff, s10
	s_delay_alu instid0(SALU_CYCLE_1) | instskip(NEXT) | instid1(VALU_DEP_1)
	s_cmp_lt_i32 s10, 11
	v_ashrrev_i32_e32 v1, 31, v0
	s_wait_loadcnt 0x0
	s_delay_alu instid0(VALU_DEP_1)
	v_add_nc_u64_e32 v[2:3], s[6:7], v[0:1]
	s_cbranch_scc1 .LBB24_1052
; %bb.1046:
	s_cmp_gt_i32 s10, 25
	s_mov_b32 s1, 0
	s_cbranch_scc0 .LBB24_1054
; %bb.1047:
	s_cmp_gt_i32 s10, 28
	s_cbranch_scc0 .LBB24_1055
; %bb.1048:
	s_cmp_gt_i32 s10, 43
	;; [unrolled: 3-line block ×3, first 2 shown]
	s_cbranch_scc0 .LBB24_1057
; %bb.1050:
	s_cmp_eq_u32 s10, 46
	s_cbranch_scc0 .LBB24_1060
; %bb.1051:
	global_load_b32 v1, v[2:3], off
	s_mov_b32 s13, -1
	s_wait_loadcnt 0x0
	v_lshlrev_b32_e32 v1, 16, v1
	s_delay_alu instid0(VALU_DEP_1)
	v_cvt_f16_f32_e32 v1, v1
	s_branch .LBB24_1062
.LBB24_1052:
	s_mov_b32 s13, 0
	s_mov_b32 s9, s12
                                        ; implicit-def: $vgpr1
	s_cbranch_execnz .LBB24_1125
.LBB24_1053:
	s_and_not1_b32 vcc_lo, exec_lo, s13
	s_cbranch_vccz .LBB24_1170
	s_branch .LBB24_2007
.LBB24_1054:
	s_mov_b32 s13, 0
                                        ; implicit-def: $vgpr1
	s_cbranch_execnz .LBB24_1090
	s_branch .LBB24_1121
.LBB24_1055:
	s_mov_b32 s9, -1
	s_mov_b32 s13, 0
                                        ; implicit-def: $vgpr1
	s_branch .LBB24_1071
.LBB24_1056:
	s_mov_b32 s13, 0
                                        ; implicit-def: $vgpr1
	s_cbranch_execnz .LBB24_1067
	s_branch .LBB24_1070
.LBB24_1057:
	s_mov_b32 s9, -1
	s_branch .LBB24_1061
.LBB24_1058:
	s_and_not1_saveexec_b32 s18, s18
	s_cbranch_execz .LBB24_954
.LBB24_1059:
	v_add_f32_e64 v4, 0x46000000, |v3|
	s_and_not1_b32 s17, s17, exec_lo
	s_delay_alu instid0(VALU_DEP_1) | instskip(NEXT) | instid1(VALU_DEP_1)
	v_and_b32_e32 v4, 0xff, v4
	v_cmp_ne_u32_e32 vcc_lo, 0, v4
	s_and_b32 s19, vcc_lo, exec_lo
	s_delay_alu instid0(SALU_CYCLE_1)
	s_or_b32 s17, s17, s19
	s_or_b32 exec_lo, exec_lo, s18
	v_mov_b32_e32 v5, 0
	s_and_saveexec_b32 s18, s17
	s_cbranch_execnz .LBB24_955
	s_branch .LBB24_956
.LBB24_1060:
	s_mov_b32 s0, -1
.LBB24_1061:
	s_mov_b32 s13, 0
                                        ; implicit-def: $vgpr1
.LBB24_1062:
	s_and_b32 vcc_lo, exec_lo, s9
	s_cbranch_vccz .LBB24_1065
; %bb.1063:
	s_cmp_eq_u32 s10, 44
	s_cbranch_scc0 .LBB24_1066
; %bb.1064:
	global_load_u8 v1, v[2:3], off
	s_mov_b32 s0, 0
	s_mov_b32 s13, -1
	s_wait_loadcnt 0x0
	v_lshlrev_b32_e32 v5, 23, v1
	v_cmp_ne_u32_e32 vcc_lo, 0xff, v1
	s_delay_alu instid0(VALU_DEP_2) | instskip(NEXT) | instid1(VALU_DEP_1)
	v_cvt_f16_f32_e32 v5, v5
	v_cndmask_b32_e32 v5, 0x7e00, v5, vcc_lo
	v_cmp_ne_u32_e32 vcc_lo, 0, v1
	s_delay_alu instid0(VALU_DEP_2)
	v_cndmask_b32_e32 v1, 0, v5, vcc_lo
.LBB24_1065:
	s_branch .LBB24_1070
.LBB24_1066:
	s_mov_b32 s0, -1
                                        ; implicit-def: $vgpr1
	s_branch .LBB24_1070
.LBB24_1067:
	s_cmp_eq_u32 s10, 29
	s_cbranch_scc0 .LBB24_1069
; %bb.1068:
	global_load_b64 v[6:7], v[2:3], off
	s_mov_b32 s0, 0
	s_mov_b32 s13, -1
	s_mov_b32 s9, 0
	s_wait_loadcnt 0x0
	v_clz_i32_u32_e32 v1, v7
	s_delay_alu instid0(VALU_DEP_1) | instskip(NEXT) | instid1(VALU_DEP_1)
	v_min_u32_e32 v1, 32, v1
	v_lshlrev_b64_e32 v[6:7], v1, v[6:7]
	v_sub_nc_u32_e32 v1, 32, v1
	s_delay_alu instid0(VALU_DEP_2) | instskip(NEXT) | instid1(VALU_DEP_1)
	v_min_u32_e32 v5, 1, v6
	v_or_b32_e32 v5, v7, v5
	s_delay_alu instid0(VALU_DEP_1) | instskip(NEXT) | instid1(VALU_DEP_1)
	v_cvt_f32_u32_e32 v5, v5
	v_ldexp_f32 v1, v5, v1
	s_delay_alu instid0(VALU_DEP_1)
	v_cvt_f16_f32_e32 v1, v1
	s_branch .LBB24_1071
.LBB24_1069:
	s_mov_b32 s0, -1
                                        ; implicit-def: $vgpr1
.LBB24_1070:
	s_mov_b32 s9, 0
.LBB24_1071:
	s_delay_alu instid0(SALU_CYCLE_1)
	s_and_b32 vcc_lo, exec_lo, s9
	s_cbranch_vccz .LBB24_1089
; %bb.1072:
	s_cmp_lt_i32 s10, 27
	s_cbranch_scc1 .LBB24_1075
; %bb.1073:
	s_cmp_gt_i32 s10, 27
	s_cbranch_scc0 .LBB24_1076
; %bb.1074:
	global_load_b32 v1, v[2:3], off
	s_mov_b32 s9, 0
	s_wait_loadcnt 0x0
	v_cvt_f32_u32_e32 v1, v1
	s_delay_alu instid0(VALU_DEP_1)
	v_cvt_f16_f32_e32 v1, v1
	s_branch .LBB24_1077
.LBB24_1075:
	s_mov_b32 s9, -1
                                        ; implicit-def: $vgpr1
	s_branch .LBB24_1080
.LBB24_1076:
	s_mov_b32 s9, -1
                                        ; implicit-def: $vgpr1
.LBB24_1077:
	s_delay_alu instid0(SALU_CYCLE_1)
	s_and_not1_b32 vcc_lo, exec_lo, s9
	s_cbranch_vccnz .LBB24_1079
; %bb.1078:
	global_load_u16 v1, v[2:3], off
	s_wait_loadcnt 0x0
	v_cvt_f16_u16_e32 v1, v1
.LBB24_1079:
	s_mov_b32 s9, 0
.LBB24_1080:
	s_delay_alu instid0(SALU_CYCLE_1)
	s_and_not1_b32 vcc_lo, exec_lo, s9
	s_cbranch_vccnz .LBB24_1088
; %bb.1081:
	global_load_u8 v5, v[2:3], off
	s_mov_b32 s9, 0
	s_mov_b32 s13, exec_lo
	s_wait_loadcnt 0x0
	v_cmpx_lt_i16_e32 0x7f, v5
	s_xor_b32 s13, exec_lo, s13
	s_cbranch_execz .LBB24_1101
; %bb.1082:
	s_mov_b32 s9, -1
	s_mov_b32 s14, exec_lo
	v_cmpx_eq_u16_e32 0x80, v5
; %bb.1083:
	s_xor_b32 s9, exec_lo, -1
; %bb.1084:
	s_or_b32 exec_lo, exec_lo, s14
	s_delay_alu instid0(SALU_CYCLE_1)
	s_and_b32 s9, s9, exec_lo
	s_or_saveexec_b32 s13, s13
	v_mov_b32_e32 v1, 0x7e00
	s_xor_b32 exec_lo, exec_lo, s13
	s_cbranch_execnz .LBB24_1102
.LBB24_1085:
	s_or_b32 exec_lo, exec_lo, s13
	s_and_saveexec_b32 s13, s9
	s_cbranch_execz .LBB24_1087
.LBB24_1086:
	v_and_b32_e32 v1, 0xffff, v5
	s_delay_alu instid0(VALU_DEP_1) | instskip(SKIP_1) | instid1(VALU_DEP_2)
	v_and_b32_e32 v6, 7, v1
	v_bfe_u32 v9, v1, 3, 4
	v_clz_i32_u32_e32 v7, v6
	s_delay_alu instid0(VALU_DEP_2) | instskip(NEXT) | instid1(VALU_DEP_2)
	v_cmp_eq_u32_e32 vcc_lo, 0, v9
	v_min_u32_e32 v7, 32, v7
	s_delay_alu instid0(VALU_DEP_1) | instskip(NEXT) | instid1(VALU_DEP_1)
	v_subrev_nc_u32_e32 v8, 28, v7
	v_dual_lshlrev_b32 v1, v8, v1 :: v_dual_sub_nc_u32 v7, 29, v7
	s_delay_alu instid0(VALU_DEP_1) | instskip(NEXT) | instid1(VALU_DEP_2)
	v_and_b32_e32 v1, 7, v1
	v_dual_lshlrev_b32 v5, 24, v5 :: v_dual_cndmask_b32 v7, v9, v7, vcc_lo
	s_delay_alu instid0(VALU_DEP_2) | instskip(NEXT) | instid1(VALU_DEP_2)
	v_cndmask_b32_e32 v1, v6, v1, vcc_lo
	v_and_b32_e32 v5, 0x80000000, v5
	s_delay_alu instid0(VALU_DEP_3) | instskip(NEXT) | instid1(VALU_DEP_3)
	v_lshl_add_u32 v6, v7, 23, 0x3b800000
	v_lshlrev_b32_e32 v1, 20, v1
	s_delay_alu instid0(VALU_DEP_1) | instskip(NEXT) | instid1(VALU_DEP_1)
	v_or3_b32 v1, v5, v6, v1
	v_cvt_f16_f32_e32 v1, v1
.LBB24_1087:
	s_or_b32 exec_lo, exec_lo, s13
.LBB24_1088:
	s_mov_b32 s13, -1
.LBB24_1089:
	s_branch .LBB24_1121
.LBB24_1090:
	s_cmp_gt_i32 s10, 22
	s_cbranch_scc0 .LBB24_1100
; %bb.1091:
	s_cmp_lt_i32 s10, 24
	s_cbranch_scc1 .LBB24_1103
; %bb.1092:
	s_cmp_gt_i32 s10, 24
	s_cbranch_scc0 .LBB24_1104
; %bb.1093:
	global_load_u8 v5, v[2:3], off
	s_mov_b32 s9, exec_lo
	s_wait_loadcnt 0x0
	v_cmpx_lt_i16_e32 0x7f, v5
	s_xor_b32 s9, exec_lo, s9
	s_cbranch_execz .LBB24_1115
; %bb.1094:
	s_mov_b32 s1, -1
	s_mov_b32 s13, exec_lo
	v_cmpx_eq_u16_e32 0x80, v5
; %bb.1095:
	s_xor_b32 s1, exec_lo, -1
; %bb.1096:
	s_or_b32 exec_lo, exec_lo, s13
	s_delay_alu instid0(SALU_CYCLE_1)
	s_and_b32 s1, s1, exec_lo
	s_or_saveexec_b32 s9, s9
	v_mov_b32_e32 v1, 0x7e00
	s_xor_b32 exec_lo, exec_lo, s9
	s_cbranch_execnz .LBB24_1116
.LBB24_1097:
	s_or_b32 exec_lo, exec_lo, s9
	s_and_saveexec_b32 s9, s1
	s_cbranch_execz .LBB24_1099
.LBB24_1098:
	v_and_b32_e32 v1, 0xffff, v5
	s_delay_alu instid0(VALU_DEP_1) | instskip(SKIP_1) | instid1(VALU_DEP_2)
	v_and_b32_e32 v6, 3, v1
	v_bfe_u32 v9, v1, 2, 5
	v_clz_i32_u32_e32 v7, v6
	s_delay_alu instid0(VALU_DEP_2) | instskip(NEXT) | instid1(VALU_DEP_2)
	v_cmp_eq_u32_e32 vcc_lo, 0, v9
	v_min_u32_e32 v7, 32, v7
	s_delay_alu instid0(VALU_DEP_1) | instskip(NEXT) | instid1(VALU_DEP_1)
	v_subrev_nc_u32_e32 v8, 29, v7
	v_dual_lshlrev_b32 v1, v8, v1 :: v_dual_sub_nc_u32 v7, 30, v7
	s_delay_alu instid0(VALU_DEP_1) | instskip(NEXT) | instid1(VALU_DEP_2)
	v_and_b32_e32 v1, 3, v1
	v_dual_lshlrev_b32 v5, 24, v5 :: v_dual_cndmask_b32 v7, v9, v7, vcc_lo
	s_delay_alu instid0(VALU_DEP_2) | instskip(NEXT) | instid1(VALU_DEP_2)
	v_cndmask_b32_e32 v1, v6, v1, vcc_lo
	v_and_b32_e32 v5, 0x80000000, v5
	s_delay_alu instid0(VALU_DEP_3) | instskip(NEXT) | instid1(VALU_DEP_3)
	v_lshl_add_u32 v6, v7, 23, 0x37800000
	v_lshlrev_b32_e32 v1, 21, v1
	s_delay_alu instid0(VALU_DEP_1) | instskip(NEXT) | instid1(VALU_DEP_1)
	v_or3_b32 v1, v5, v6, v1
	v_cvt_f16_f32_e32 v1, v1
.LBB24_1099:
	s_or_b32 exec_lo, exec_lo, s9
	s_mov_b32 s1, 0
	s_branch .LBB24_1105
.LBB24_1100:
                                        ; implicit-def: $vgpr1
	s_mov_b32 s1, 0
	s_branch .LBB24_1111
.LBB24_1101:
	s_or_saveexec_b32 s13, s13
	v_mov_b32_e32 v1, 0x7e00
	s_xor_b32 exec_lo, exec_lo, s13
	s_cbranch_execz .LBB24_1085
.LBB24_1102:
	v_cmp_ne_u16_e32 vcc_lo, 0, v5
	v_mov_b32_e32 v1, v5
	s_and_not1_b32 s9, s9, exec_lo
	s_and_b32 s14, vcc_lo, exec_lo
	s_delay_alu instid0(SALU_CYCLE_1)
	s_or_b32 s9, s9, s14
	s_or_b32 exec_lo, exec_lo, s13
	s_and_saveexec_b32 s13, s9
	s_cbranch_execnz .LBB24_1086
	s_branch .LBB24_1087
.LBB24_1103:
	s_mov_b32 s1, -1
                                        ; implicit-def: $vgpr1
	s_branch .LBB24_1108
.LBB24_1104:
	s_mov_b32 s1, -1
                                        ; implicit-def: $vgpr1
.LBB24_1105:
	s_delay_alu instid0(SALU_CYCLE_1)
	s_and_b32 vcc_lo, exec_lo, s1
	s_cbranch_vccz .LBB24_1107
; %bb.1106:
	global_load_u8 v1, v[2:3], off
	s_wait_loadcnt 0x0
	v_lshlrev_b32_e32 v1, 24, v1
	s_delay_alu instid0(VALU_DEP_1) | instskip(NEXT) | instid1(VALU_DEP_1)
	v_and_b32_e32 v5, 0x7f000000, v1
	v_clz_i32_u32_e32 v6, v5
	v_cmp_ne_u32_e32 vcc_lo, 0, v5
	v_add_nc_u32_e32 v8, 0x1000000, v5
	s_delay_alu instid0(VALU_DEP_3) | instskip(NEXT) | instid1(VALU_DEP_1)
	v_min_u32_e32 v6, 32, v6
	v_sub_nc_u32_e64 v6, v6, 4 clamp
	s_delay_alu instid0(VALU_DEP_1) | instskip(NEXT) | instid1(VALU_DEP_1)
	v_dual_lshlrev_b32 v7, v6, v5 :: v_dual_lshlrev_b32 v6, 23, v6
	v_lshrrev_b32_e32 v7, 4, v7
	s_delay_alu instid0(VALU_DEP_1) | instskip(NEXT) | instid1(VALU_DEP_1)
	v_dual_sub_nc_u32 v6, v7, v6 :: v_dual_ashrrev_i32 v7, 8, v8
	v_add_nc_u32_e32 v6, 0x3c000000, v6
	s_delay_alu instid0(VALU_DEP_1) | instskip(NEXT) | instid1(VALU_DEP_1)
	v_and_or_b32 v6, 0x7f800000, v7, v6
	v_cndmask_b32_e32 v5, 0, v6, vcc_lo
	s_delay_alu instid0(VALU_DEP_1) | instskip(NEXT) | instid1(VALU_DEP_1)
	v_and_or_b32 v1, 0x80000000, v1, v5
	v_cvt_f16_f32_e32 v1, v1
.LBB24_1107:
	s_mov_b32 s1, 0
.LBB24_1108:
	s_delay_alu instid0(SALU_CYCLE_1)
	s_and_not1_b32 vcc_lo, exec_lo, s1
	s_cbranch_vccnz .LBB24_1110
; %bb.1109:
	global_load_u8 v1, v[2:3], off
	s_wait_loadcnt 0x0
	v_lshlrev_b32_e32 v5, 25, v1
	v_lshlrev_b16 v1, 8, v1
	s_delay_alu instid0(VALU_DEP_1) | instskip(SKIP_1) | instid1(VALU_DEP_2)
	v_and_or_b32 v7, 0x7f00, v1, 0.5
	v_bfe_i32 v1, v1, 0, 16
	v_dual_add_f32 v7, -0.5, v7 :: v_dual_lshrrev_b32 v6, 4, v5
	v_cmp_gt_u32_e32 vcc_lo, 0x8000000, v5
	s_delay_alu instid0(VALU_DEP_2) | instskip(NEXT) | instid1(VALU_DEP_1)
	v_or_b32_e32 v6, 0x70000000, v6
	v_mul_f32_e32 v6, 0x7800000, v6
	s_delay_alu instid0(VALU_DEP_1) | instskip(NEXT) | instid1(VALU_DEP_1)
	v_cndmask_b32_e32 v5, v6, v7, vcc_lo
	v_and_or_b32 v1, 0x80000000, v1, v5
	s_delay_alu instid0(VALU_DEP_1)
	v_cvt_f16_f32_e32 v1, v1
.LBB24_1110:
	s_mov_b32 s13, -1
	s_mov_b32 s1, 0
	s_cbranch_execnz .LBB24_1121
.LBB24_1111:
	s_cmp_gt_i32 s10, 14
	s_cbranch_scc0 .LBB24_1114
; %bb.1112:
	s_cmp_eq_u32 s10, 15
	s_cbranch_scc0 .LBB24_1117
; %bb.1113:
	global_load_u16 v1, v[2:3], off
	s_mov_b32 s0, 0
	s_mov_b32 s13, -1
	s_wait_loadcnt 0x0
	v_lshlrev_b32_e32 v1, 16, v1
	s_delay_alu instid0(VALU_DEP_1)
	v_cvt_f16_f32_e32 v1, v1
	s_branch .LBB24_1119
.LBB24_1114:
	s_mov_b32 s1, -1
	s_branch .LBB24_1118
.LBB24_1115:
	s_or_saveexec_b32 s9, s9
	v_mov_b32_e32 v1, 0x7e00
	s_xor_b32 exec_lo, exec_lo, s9
	s_cbranch_execz .LBB24_1097
.LBB24_1116:
	v_cmp_ne_u16_e32 vcc_lo, 0, v5
	v_mov_b32_e32 v1, v5
	s_and_not1_b32 s1, s1, exec_lo
	s_and_b32 s13, vcc_lo, exec_lo
	s_delay_alu instid0(SALU_CYCLE_1)
	s_or_b32 s1, s1, s13
	s_or_b32 exec_lo, exec_lo, s9
	s_and_saveexec_b32 s9, s1
	s_cbranch_execnz .LBB24_1098
	s_branch .LBB24_1099
.LBB24_1117:
	s_mov_b32 s0, -1
.LBB24_1118:
                                        ; implicit-def: $vgpr1
.LBB24_1119:
	s_and_b32 vcc_lo, exec_lo, s1
	s_mov_b32 s1, 0
	s_cbranch_vccz .LBB24_1121
; %bb.1120:
	s_cmp_lg_u32 s10, 11
	s_mov_b32 s1, -1
	s_cselect_b32 s0, -1, 0
.LBB24_1121:
	s_delay_alu instid0(SALU_CYCLE_1)
	s_and_b32 vcc_lo, exec_lo, s0
	s_mov_b32 s9, s12
	s_cbranch_vccnz .LBB24_1186
; %bb.1122:
	s_and_not1_b32 vcc_lo, exec_lo, s1
	s_cbranch_vccnz .LBB24_1124
.LBB24_1123:
	global_load_u8 v1, v[2:3], off
	s_mov_b32 s13, -1
	s_wait_loadcnt 0x0
	v_cmp_ne_u16_e32 vcc_lo, 0, v1
	v_cndmask_b32_e64 v1, 0, 0x3c00, vcc_lo
.LBB24_1124:
	s_branch .LBB24_1053
.LBB24_1125:
	s_cmp_lt_i32 s10, 5
	s_cbranch_scc1 .LBB24_1130
; %bb.1126:
	s_cmp_lt_i32 s10, 8
	s_cbranch_scc1 .LBB24_1131
; %bb.1127:
	;; [unrolled: 3-line block ×3, first 2 shown]
	s_cmp_gt_i32 s10, 9
	s_cbranch_scc0 .LBB24_1133
; %bb.1129:
	global_load_b64 v[6:7], v[2:3], off
	s_mov_b32 s0, 0
	s_wait_loadcnt 0x0
	v_and_or_b32 v1, 0x1ff, v7, v6
	v_lshrrev_b32_e32 v5, 8, v7
	v_bfe_u32 v6, v7, 20, 11
	s_delay_alu instid0(VALU_DEP_3) | instskip(NEXT) | instid1(VALU_DEP_2)
	v_cmp_ne_u32_e32 vcc_lo, 0, v1
	v_sub_nc_u32_e32 v8, 0x3f1, v6
	v_add_nc_u32_e32 v6, 0xfffffc10, v6
	v_cndmask_b32_e64 v1, 0, 1, vcc_lo
	s_delay_alu instid0(VALU_DEP_1) | instskip(NEXT) | instid1(VALU_DEP_4)
	v_and_or_b32 v1, 0xffe, v5, v1
	v_med3_i32 v5, v8, 0, 13
	s_delay_alu instid0(VALU_DEP_2) | instskip(NEXT) | instid1(VALU_DEP_1)
	v_or_b32_e32 v8, 0x1000, v1
	v_lshrrev_b32_e32 v9, v5, v8
	s_delay_alu instid0(VALU_DEP_1) | instskip(NEXT) | instid1(VALU_DEP_1)
	v_lshlrev_b32_e32 v5, v5, v9
	v_cmp_ne_u32_e32 vcc_lo, v5, v8
	v_lshl_or_b32 v8, v6, 12, v1
	v_cndmask_b32_e64 v5, 0, 1, vcc_lo
	v_cmp_gt_i32_e32 vcc_lo, 1, v6
	s_delay_alu instid0(VALU_DEP_2) | instskip(NEXT) | instid1(VALU_DEP_1)
	v_or_b32_e32 v5, v9, v5
	v_cndmask_b32_e32 v5, v8, v5, vcc_lo
	s_delay_alu instid0(VALU_DEP_1) | instskip(NEXT) | instid1(VALU_DEP_1)
	v_dual_lshrrev_b32 v5, 2, v5 :: v_dual_bitop2_b32 v8, 7, v5 bitop3:0x40
	v_cmp_lt_i32_e32 vcc_lo, 5, v8
	v_cndmask_b32_e64 v9, 0, 1, vcc_lo
	v_cmp_eq_u32_e32 vcc_lo, 3, v8
	v_cndmask_b32_e64 v8, 0, 1, vcc_lo
	v_cmp_ne_u32_e32 vcc_lo, 0, v1
	s_delay_alu instid0(VALU_DEP_2) | instskip(SKIP_1) | instid1(VALU_DEP_2)
	v_or_b32_e32 v8, v8, v9
	v_mov_b32_e32 v9, 0x7e00
	v_add_nc_u32_e32 v5, v5, v8
	s_delay_alu instid0(VALU_DEP_2) | instskip(SKIP_1) | instid1(VALU_DEP_3)
	v_cndmask_b32_e32 v1, 0x7c00, v9, vcc_lo
	v_cmp_gt_i32_e32 vcc_lo, 31, v6
	v_cndmask_b32_e32 v5, 0x7c00, v5, vcc_lo
	v_cmp_eq_u32_e32 vcc_lo, 0x40f, v6
	s_delay_alu instid0(VALU_DEP_2) | instskip(NEXT) | instid1(VALU_DEP_1)
	v_dual_cndmask_b32 v1, v5, v1, vcc_lo :: v_dual_lshrrev_b32 v5, 16, v7
	v_and_or_b32 v1, 0x8000, v5, v1
	s_branch .LBB24_1134
.LBB24_1130:
                                        ; implicit-def: $vgpr1
	s_branch .LBB24_1151
.LBB24_1131:
                                        ; implicit-def: $vgpr1
	s_branch .LBB24_1140
.LBB24_1132:
	s_mov_b32 s0, -1
                                        ; implicit-def: $vgpr1
	s_branch .LBB24_1137
.LBB24_1133:
	s_mov_b32 s0, -1
                                        ; implicit-def: $vgpr1
.LBB24_1134:
	s_delay_alu instid0(SALU_CYCLE_1)
	s_and_not1_b32 vcc_lo, exec_lo, s0
	s_cbranch_vccnz .LBB24_1136
; %bb.1135:
	global_load_b32 v1, v[2:3], off
	s_wait_loadcnt 0x0
	v_cvt_f16_f32_e32 v1, v1
.LBB24_1136:
	s_mov_b32 s0, 0
.LBB24_1137:
	s_delay_alu instid0(SALU_CYCLE_1)
	s_and_not1_b32 vcc_lo, exec_lo, s0
	s_cbranch_vccnz .LBB24_1139
; %bb.1138:
	global_load_b32 v1, v[2:3], off
.LBB24_1139:
	s_cbranch_execnz .LBB24_1150
.LBB24_1140:
	s_cmp_lt_i32 s10, 6
	s_cbranch_scc1 .LBB24_1143
; %bb.1141:
	s_cmp_gt_i32 s10, 6
	s_cbranch_scc0 .LBB24_1144
; %bb.1142:
	global_load_b64 v[6:7], v[2:3], off
	s_mov_b32 s0, 0
	s_wait_loadcnt 0x0
	v_and_or_b32 v1, 0x1ff, v7, v6
	v_lshrrev_b32_e32 v5, 8, v7
	v_bfe_u32 v6, v7, 20, 11
	s_delay_alu instid0(VALU_DEP_3) | instskip(NEXT) | instid1(VALU_DEP_2)
	v_cmp_ne_u32_e32 vcc_lo, 0, v1
	v_sub_nc_u32_e32 v8, 0x3f1, v6
	v_add_nc_u32_e32 v6, 0xfffffc10, v6
	v_cndmask_b32_e64 v1, 0, 1, vcc_lo
	s_delay_alu instid0(VALU_DEP_1) | instskip(NEXT) | instid1(VALU_DEP_4)
	v_and_or_b32 v1, 0xffe, v5, v1
	v_med3_i32 v5, v8, 0, 13
	s_delay_alu instid0(VALU_DEP_2) | instskip(NEXT) | instid1(VALU_DEP_1)
	v_or_b32_e32 v8, 0x1000, v1
	v_lshrrev_b32_e32 v9, v5, v8
	s_delay_alu instid0(VALU_DEP_1) | instskip(NEXT) | instid1(VALU_DEP_1)
	v_lshlrev_b32_e32 v5, v5, v9
	v_cmp_ne_u32_e32 vcc_lo, v5, v8
	v_lshl_or_b32 v8, v6, 12, v1
	v_cndmask_b32_e64 v5, 0, 1, vcc_lo
	v_cmp_gt_i32_e32 vcc_lo, 1, v6
	s_delay_alu instid0(VALU_DEP_2) | instskip(NEXT) | instid1(VALU_DEP_1)
	v_or_b32_e32 v5, v9, v5
	v_cndmask_b32_e32 v5, v8, v5, vcc_lo
	s_delay_alu instid0(VALU_DEP_1) | instskip(NEXT) | instid1(VALU_DEP_1)
	v_dual_lshrrev_b32 v5, 2, v5 :: v_dual_bitop2_b32 v8, 7, v5 bitop3:0x40
	v_cmp_lt_i32_e32 vcc_lo, 5, v8
	v_cndmask_b32_e64 v9, 0, 1, vcc_lo
	v_cmp_eq_u32_e32 vcc_lo, 3, v8
	v_cndmask_b32_e64 v8, 0, 1, vcc_lo
	v_cmp_ne_u32_e32 vcc_lo, 0, v1
	s_delay_alu instid0(VALU_DEP_2) | instskip(SKIP_1) | instid1(VALU_DEP_2)
	v_or_b32_e32 v8, v8, v9
	v_mov_b32_e32 v9, 0x7e00
	v_add_nc_u32_e32 v5, v5, v8
	s_delay_alu instid0(VALU_DEP_2) | instskip(SKIP_1) | instid1(VALU_DEP_3)
	v_cndmask_b32_e32 v1, 0x7c00, v9, vcc_lo
	v_cmp_gt_i32_e32 vcc_lo, 31, v6
	v_cndmask_b32_e32 v5, 0x7c00, v5, vcc_lo
	v_cmp_eq_u32_e32 vcc_lo, 0x40f, v6
	s_delay_alu instid0(VALU_DEP_2) | instskip(NEXT) | instid1(VALU_DEP_1)
	v_dual_cndmask_b32 v1, v5, v1, vcc_lo :: v_dual_lshrrev_b32 v5, 16, v7
	v_and_or_b32 v1, 0x8000, v5, v1
	s_branch .LBB24_1145
.LBB24_1143:
	s_mov_b32 s0, -1
                                        ; implicit-def: $vgpr1
	s_branch .LBB24_1148
.LBB24_1144:
	s_mov_b32 s0, -1
                                        ; implicit-def: $vgpr1
.LBB24_1145:
	s_delay_alu instid0(SALU_CYCLE_1)
	s_and_not1_b32 vcc_lo, exec_lo, s0
	s_cbranch_vccnz .LBB24_1147
; %bb.1146:
	s_wait_loadcnt 0x0
	global_load_b32 v1, v[2:3], off
	s_wait_loadcnt 0x0
	v_cvt_f16_f32_e32 v1, v1
.LBB24_1147:
	s_mov_b32 s0, 0
.LBB24_1148:
	s_delay_alu instid0(SALU_CYCLE_1)
	s_and_not1_b32 vcc_lo, exec_lo, s0
	s_cbranch_vccnz .LBB24_1150
; %bb.1149:
	s_wait_loadcnt 0x0
	global_load_u16 v1, v[2:3], off
.LBB24_1150:
	s_cbranch_execnz .LBB24_1169
.LBB24_1151:
	s_cmp_lt_i32 s10, 2
	s_cbranch_scc1 .LBB24_1155
; %bb.1152:
	s_cmp_lt_i32 s10, 3
	s_cbranch_scc1 .LBB24_1156
; %bb.1153:
	s_cmp_gt_i32 s10, 3
	s_cbranch_scc0 .LBB24_1157
; %bb.1154:
	global_load_b64 v[6:7], v[2:3], off
	s_mov_b32 s0, 0
	s_wait_loadcnt 0x0
	v_xor_b32_e32 v1, v6, v7
	v_cls_i32_e32 v5, v7
	s_delay_alu instid0(VALU_DEP_2) | instskip(NEXT) | instid1(VALU_DEP_1)
	v_ashrrev_i32_e32 v1, 31, v1
	v_add_nc_u32_e32 v1, 32, v1
	s_delay_alu instid0(VALU_DEP_1) | instskip(NEXT) | instid1(VALU_DEP_1)
	v_add_min_u32_e64 v1, v5, -1, v1
	v_lshlrev_b64_e32 v[6:7], v1, v[6:7]
	v_sub_nc_u32_e32 v1, 32, v1
	s_delay_alu instid0(VALU_DEP_2) | instskip(NEXT) | instid1(VALU_DEP_1)
	v_min_u32_e32 v5, 1, v6
	v_or_b32_e32 v5, v7, v5
	s_delay_alu instid0(VALU_DEP_1) | instskip(NEXT) | instid1(VALU_DEP_1)
	v_cvt_f32_i32_e32 v5, v5
	v_ldexp_f32 v1, v5, v1
	s_delay_alu instid0(VALU_DEP_1)
	v_cvt_f16_f32_e32 v1, v1
	s_branch .LBB24_1158
.LBB24_1155:
                                        ; implicit-def: $vgpr1
	s_branch .LBB24_1164
.LBB24_1156:
	s_mov_b32 s0, -1
                                        ; implicit-def: $vgpr1
	s_branch .LBB24_1161
.LBB24_1157:
	s_mov_b32 s0, -1
                                        ; implicit-def: $vgpr1
.LBB24_1158:
	s_delay_alu instid0(SALU_CYCLE_1)
	s_and_not1_b32 vcc_lo, exec_lo, s0
	s_cbranch_vccnz .LBB24_1160
; %bb.1159:
	s_wait_loadcnt 0x0
	global_load_b32 v1, v[2:3], off
	s_wait_loadcnt 0x0
	v_cvt_f32_i32_e32 v1, v1
	s_delay_alu instid0(VALU_DEP_1)
	v_cvt_f16_f32_e32 v1, v1
.LBB24_1160:
	s_mov_b32 s0, 0
.LBB24_1161:
	s_delay_alu instid0(SALU_CYCLE_1)
	s_and_not1_b32 vcc_lo, exec_lo, s0
	s_cbranch_vccnz .LBB24_1163
; %bb.1162:
	s_wait_loadcnt 0x0
	global_load_u16 v1, v[2:3], off
	s_wait_loadcnt 0x0
	v_cvt_f16_i16_e32 v1, v1
.LBB24_1163:
	s_cbranch_execnz .LBB24_1169
.LBB24_1164:
	s_cmp_gt_i32 s10, 0
	s_mov_b32 s0, 0
	s_cbranch_scc0 .LBB24_1166
; %bb.1165:
	s_wait_loadcnt 0x0
	global_load_i8 v1, v[2:3], off
	s_wait_loadcnt 0x0
	v_cvt_f16_i16_e32 v1, v1
	s_branch .LBB24_1167
.LBB24_1166:
	s_mov_b32 s0, -1
                                        ; implicit-def: $vgpr1
.LBB24_1167:
	s_delay_alu instid0(SALU_CYCLE_1)
	s_and_not1_b32 vcc_lo, exec_lo, s0
	s_cbranch_vccnz .LBB24_1169
; %bb.1168:
	s_wait_loadcnt 0x0
	global_load_u8 v1, v[2:3], off
	s_wait_loadcnt 0x0
	v_cvt_f16_u16_e32 v1, v1
.LBB24_1169:
.LBB24_1170:
	s_wait_loadcnt 0x0
	s_delay_alu instid0(VALU_DEP_1) | instskip(SKIP_1) | instid1(VALU_DEP_1)
	v_cvt_f32_f16_e32 v5, v1
                                        ; implicit-def: $vgpr8
                                        ; implicit-def: $vgpr7
	s_mov_b32 s1, exec_lo
	v_and_b32_e32 v6, 0x7fffffff, v5
	s_wait_xcnt 0x0
	v_cmpx_ngt_f32_e64 0x48000000, |v5|
	s_xor_b32 s13, exec_lo, s1
	s_cbranch_execz .LBB24_1172
; %bb.1171:
	s_mov_b32 s0, 0x7fffff
	v_mov_b32_e32 v3, 0
	v_and_or_b32 v2, v6, s0, 0x800000
	s_mov_b64 s[0:1], 0xfe5163ab
	v_lshrrev_b32_e32 v1, 23, v6
	s_delay_alu instid0(VALU_DEP_2) | instskip(NEXT) | instid1(VALU_DEP_1)
	v_mul_u64_e32 v[8:9], s[0:1], v[2:3]
	v_dual_mov_b32 v10, v9 :: v_dual_mov_b32 v11, v3
	v_dual_mov_b32 v13, v3 :: v_dual_mov_b32 v15, v3
	v_mov_b32_e32 v17, v3
	s_delay_alu instid0(VALU_DEP_3) | instskip(NEXT) | instid1(VALU_DEP_1)
	v_mad_nc_u64_u32 v[10:11], 0x3c439041, v2, v[10:11]
	v_mov_b32_e32 v12, v11
	s_delay_alu instid0(VALU_DEP_1) | instskip(NEXT) | instid1(VALU_DEP_1)
	v_mad_nc_u64_u32 v[12:13], 0xdb629599, v2, v[12:13]
	v_mov_b32_e32 v14, v13
	s_delay_alu instid0(VALU_DEP_1) | instskip(NEXT) | instid1(VALU_DEP_1)
	;; [unrolled: 3-line block ×3, first 2 shown]
	v_mad_nc_u64_u32 v[16:17], 0xfc2757d1, v2, v[16:17]
	v_dual_mov_b32 v19, v3 :: v_dual_mov_b32 v18, v17
	s_delay_alu instid0(VALU_DEP_1) | instskip(NEXT) | instid1(VALU_DEP_1)
	v_mad_nc_u64_u32 v[18:19], 0x4e441529, v2, v[18:19]
	v_dual_mov_b32 v20, v19 :: v_dual_add_nc_u32 v1, 0xffffff88, v1
	s_delay_alu instid0(VALU_DEP_1) | instskip(SKIP_2) | instid1(VALU_DEP_2)
	v_cmp_lt_u32_e32 vcc_lo, 63, v1
	v_mov_b32_e32 v21, v3
	v_cndmask_b32_e64 v7, 0, 0xffffffc0, vcc_lo
	v_mad_nc_u64_u32 v[2:3], 0xa2f9836e, v2, v[20:21]
	v_dual_cndmask_b32 v9, v18, v14, vcc_lo :: v_dual_cndmask_b32 v11, v16, v12, vcc_lo
	s_delay_alu instid0(VALU_DEP_3) | instskip(NEXT) | instid1(VALU_DEP_1)
	v_dual_cndmask_b32 v8, v12, v8 :: v_dual_add_nc_u32 v1, v7, v1
	v_cmp_lt_u32_e64 s0, 31, v1
	s_delay_alu instid0(VALU_DEP_4) | instskip(NEXT) | instid1(VALU_DEP_2)
	v_dual_cndmask_b32 v2, v2, v16 :: v_dual_cndmask_b32 v3, v3, v18
	v_cndmask_b32_e64 v7, 0, 0xffffffe0, s0
	s_delay_alu instid0(VALU_DEP_1) | instskip(NEXT) | instid1(VALU_DEP_1)
	v_add_nc_u32_e32 v1, v7, v1
	v_cmp_lt_u32_e64 s1, 31, v1
	s_delay_alu instid0(VALU_DEP_1) | instskip(NEXT) | instid1(VALU_DEP_1)
	v_cndmask_b32_e64 v7, 0, 0xffffffe0, s1
	v_dual_add_nc_u32 v1, v7, v1 :: v_dual_cndmask_b32 v7, v14, v10, vcc_lo
	v_dual_cndmask_b32 v10, v2, v9, s0 :: v_dual_cndmask_b32 v2, v3, v2, s0
	s_delay_alu instid0(VALU_DEP_2) | instskip(NEXT) | instid1(VALU_DEP_3)
	v_dual_cndmask_b32 v3, v9, v11, s0 :: v_dual_sub_nc_u32 v9, 32, v1
	v_cndmask_b32_e64 v11, v11, v7, s0
	v_cmp_eq_u32_e32 vcc_lo, 0, v1
	s_delay_alu instid0(VALU_DEP_4) | instskip(NEXT) | instid1(VALU_DEP_4)
	v_cndmask_b32_e64 v2, v2, v10, s1
	v_cndmask_b32_e64 v10, v10, v3, s1
	s_delay_alu instid0(VALU_DEP_4) | instskip(NEXT) | instid1(VALU_DEP_2)
	v_cndmask_b32_e64 v3, v3, v11, s1
	v_alignbit_b32 v13, v2, v10, v9
	s_delay_alu instid0(VALU_DEP_2) | instskip(NEXT) | instid1(VALU_DEP_2)
	v_alignbit_b32 v12, v10, v3, v9
	v_dual_cndmask_b32 v1, v13, v2, vcc_lo :: v_dual_cndmask_b32 v2, v7, v8, s0
	s_delay_alu instid0(VALU_DEP_1) | instskip(NEXT) | instid1(VALU_DEP_3)
	v_bfe_u32 v8, v1, 29, 1
	v_cndmask_b32_e32 v7, v12, v10, vcc_lo
	s_delay_alu instid0(VALU_DEP_2) | instskip(NEXT) | instid1(VALU_DEP_2)
	v_dual_cndmask_b32 v2, v11, v2, s1 :: v_dual_sub_nc_u32 v11, 0, v8
	v_alignbit_b32 v10, v1, v7, 30
	s_delay_alu instid0(VALU_DEP_1) | instskip(NEXT) | instid1(VALU_DEP_3)
	v_xor_b32_e32 v10, v10, v11
	v_alignbit_b32 v9, v3, v2, v9
	s_delay_alu instid0(VALU_DEP_1) | instskip(NEXT) | instid1(VALU_DEP_3)
	v_cndmask_b32_e32 v3, v9, v3, vcc_lo
	v_clz_i32_u32_e32 v9, v10
	s_delay_alu instid0(VALU_DEP_2) | instskip(NEXT) | instid1(VALU_DEP_2)
	v_alignbit_b32 v7, v7, v3, 30
	v_min_u32_e32 v9, 32, v9
	v_alignbit_b32 v2, v3, v2, 30
	s_delay_alu instid0(VALU_DEP_2) | instskip(NEXT) | instid1(VALU_DEP_2)
	v_dual_sub_nc_u32 v7, 31, v9 :: v_dual_bitop2_b32 v3, v7, v11 bitop3:0x14
	v_dual_lshrrev_b32 v11, 29, v1 :: v_dual_bitop2_b32 v2, v2, v11 bitop3:0x14
	v_lshlrev_b32_e32 v12, 23, v9
	v_lshrrev_b32_e32 v1, 30, v1
	s_delay_alu instid0(VALU_DEP_4) | instskip(NEXT) | instid1(VALU_DEP_4)
	v_alignbit_b32 v10, v10, v3, v7
	v_alignbit_b32 v2, v3, v2, v7
	s_delay_alu instid0(VALU_DEP_3) | instskip(NEXT) | instid1(VALU_DEP_2)
	v_dual_lshlrev_b32 v3, 31, v11 :: v_dual_add_nc_u32 v8, v8, v1
	v_alignbit_b32 v7, v10, v2, 9
	s_delay_alu instid0(VALU_DEP_2) | instskip(SKIP_1) | instid1(VALU_DEP_3)
	v_dual_lshrrev_b32 v10, 9, v10 :: v_dual_bitop2_b32 v11, 0.5, v3 bitop3:0x54
	v_or_b32_e32 v3, 0x33000000, v3
	v_clz_i32_u32_e32 v13, v7
	s_delay_alu instid0(VALU_DEP_3) | instskip(NEXT) | instid1(VALU_DEP_2)
	v_sub_nc_u32_e32 v11, v11, v12
	v_min_u32_e32 v12, 32, v13
	s_delay_alu instid0(VALU_DEP_1) | instskip(NEXT) | instid1(VALU_DEP_3)
	v_add_lshl_u32 v9, v12, v9, 23
	v_or_b32_e32 v10, v10, v11
	v_not_b32_e32 v11, v12
	s_delay_alu instid0(VALU_DEP_3) | instskip(NEXT) | instid1(VALU_DEP_3)
	v_sub_nc_u32_e32 v3, v3, v9
	v_mul_f32_e32 v13, 0x3fc90fda, v10
	s_delay_alu instid0(VALU_DEP_3) | instskip(NEXT) | instid1(VALU_DEP_2)
	v_alignbit_b32 v2, v7, v2, v11
	v_fma_f32 v7, 0x3fc90fda, v10, -v13
	s_delay_alu instid0(VALU_DEP_1) | instskip(NEXT) | instid1(VALU_DEP_1)
	v_dual_fmamk_f32 v7, v10, 0x33a22168, v7 :: v_dual_lshrrev_b32 v2, 9, v2
	v_or_b32_e32 v2, v3, v2
	s_delay_alu instid0(VALU_DEP_1) | instskip(NEXT) | instid1(VALU_DEP_1)
	v_fmac_f32_e32 v7, 0x3fc90fda, v2
	v_add_f32_e32 v7, v13, v7
.LBB24_1172:
	s_and_not1_saveexec_b32 s0, s13
; %bb.1173:
	v_mul_f32_e64 v1, 0x3f22f983, |v5|
	s_delay_alu instid0(VALU_DEP_1) | instskip(NEXT) | instid1(VALU_DEP_1)
	v_rndne_f32_e32 v1, v1
	v_fma_f32 v2, 0xbfc90fda, v1, |v5|
	v_cvt_i32_f32_e32 v8, v1
	s_delay_alu instid0(VALU_DEP_2) | instskip(NEXT) | instid1(VALU_DEP_1)
	v_fmamk_f32 v2, v1, 0xb3a22168, v2
	v_fmamk_f32 v7, v1, 0xa7c234c4, v2
; %bb.1174:
	s_or_b32 exec_lo, exec_lo, s0
	s_lshl_b32 s3, s3, 7
	s_cmp_lt_i32 s10, 11
	v_add_nc_u32_e32 v0, s3, v0
	s_delay_alu instid0(VALU_DEP_1) | instskip(NEXT) | instid1(VALU_DEP_1)
	v_ashrrev_i32_e32 v1, 31, v0
	v_add_nc_u64_e32 v[2:3], s[6:7], v[0:1]
	s_cbranch_scc1 .LBB24_1181
; %bb.1175:
	s_cmp_gt_i32 s10, 25
	s_mov_b32 s1, 0
	s_cbranch_scc0 .LBB24_1183
; %bb.1176:
	s_cmp_gt_i32 s10, 28
	s_cbranch_scc0 .LBB24_1184
; %bb.1177:
	s_cmp_gt_i32 s10, 43
	;; [unrolled: 3-line block ×3, first 2 shown]
	s_cbranch_scc0 .LBB24_1187
; %bb.1179:
	s_cmp_eq_u32 s10, 46
	s_mov_b32 s14, 0
	s_cbranch_scc0 .LBB24_1190
; %bb.1180:
	global_load_b32 v1, v[2:3], off
	s_mov_b32 s0, 0
	s_mov_b32 s13, -1
	s_wait_loadcnt 0x0
	v_lshlrev_b32_e32 v1, 16, v1
	s_delay_alu instid0(VALU_DEP_1)
	v_cvt_f16_f32_e32 v1, v1
	s_branch .LBB24_1192
.LBB24_1181:
	s_mov_b32 s13, 0
                                        ; implicit-def: $vgpr1
	s_cbranch_execnz .LBB24_1257
.LBB24_1182:
	s_and_not1_b32 vcc_lo, exec_lo, s13
	s_cbranch_vccz .LBB24_1304
	s_branch .LBB24_2007
.LBB24_1183:
	s_mov_b32 s13, 0
	s_mov_b32 s0, 0
                                        ; implicit-def: $vgpr1
	s_cbranch_execnz .LBB24_1221
	s_branch .LBB24_1253
.LBB24_1184:
	s_mov_b32 s14, -1
	s_mov_b32 s13, 0
	s_mov_b32 s0, 0
                                        ; implicit-def: $vgpr1
	s_branch .LBB24_1202
.LBB24_1185:
	s_mov_b32 s14, -1
	s_mov_b32 s13, 0
	s_mov_b32 s0, 0
                                        ; implicit-def: $vgpr1
	s_branch .LBB24_1197
.LBB24_1186:
	s_or_b32 s9, s12, exec_lo
	s_trap 2
	s_cbranch_execz .LBB24_1123
	s_branch .LBB24_1124
.LBB24_1187:
	s_mov_b32 s14, -1
	s_mov_b32 s13, 0
	s_mov_b32 s0, 0
	s_branch .LBB24_1191
.LBB24_1188:
	s_and_not1_saveexec_b32 s19, s19
	s_cbranch_execz .LBB24_966
.LBB24_1189:
	v_add_f32_e64 v4, 0x42800000, |v3|
	s_and_not1_b32 s18, s18, exec_lo
	s_delay_alu instid0(VALU_DEP_1) | instskip(NEXT) | instid1(VALU_DEP_1)
	v_and_b32_e32 v4, 0xff, v4
	v_cmp_ne_u32_e32 vcc_lo, 0, v4
	s_and_b32 s20, vcc_lo, exec_lo
	s_delay_alu instid0(SALU_CYCLE_1)
	s_or_b32 s18, s18, s20
	s_or_b32 exec_lo, exec_lo, s19
	v_mov_b32_e32 v5, 0
	s_and_saveexec_b32 s19, s18
	s_cbranch_execnz .LBB24_967
	s_branch .LBB24_968
.LBB24_1190:
	s_mov_b32 s0, -1
	s_mov_b32 s13, 0
.LBB24_1191:
                                        ; implicit-def: $vgpr1
.LBB24_1192:
	s_and_b32 vcc_lo, exec_lo, s14
	s_cbranch_vccz .LBB24_1196
; %bb.1193:
	s_cmp_eq_u32 s10, 44
	s_cbranch_scc0 .LBB24_1195
; %bb.1194:
	global_load_u8 v1, v[2:3], off
	s_mov_b32 s0, 0
	s_mov_b32 s13, -1
	s_wait_loadcnt 0x0
	v_lshlrev_b32_e32 v9, 23, v1
	v_cmp_ne_u32_e32 vcc_lo, 0xff, v1
	s_delay_alu instid0(VALU_DEP_2) | instskip(NEXT) | instid1(VALU_DEP_1)
	v_cvt_f16_f32_e32 v9, v9
	v_cndmask_b32_e32 v9, 0x7e00, v9, vcc_lo
	v_cmp_ne_u32_e32 vcc_lo, 0, v1
	s_delay_alu instid0(VALU_DEP_2)
	v_cndmask_b32_e32 v1, 0, v9, vcc_lo
	s_branch .LBB24_1196
.LBB24_1195:
	s_mov_b32 s0, -1
                                        ; implicit-def: $vgpr1
.LBB24_1196:
	s_mov_b32 s14, 0
.LBB24_1197:
	s_delay_alu instid0(SALU_CYCLE_1)
	s_and_b32 vcc_lo, exec_lo, s14
	s_cbranch_vccz .LBB24_1201
; %bb.1198:
	s_cmp_eq_u32 s10, 29
	s_cbranch_scc0 .LBB24_1200
; %bb.1199:
	global_load_b64 v[10:11], v[2:3], off
	s_mov_b32 s0, 0
	s_mov_b32 s13, -1
	s_mov_b32 s14, 0
	s_wait_loadcnt 0x0
	v_clz_i32_u32_e32 v1, v11
	s_delay_alu instid0(VALU_DEP_1) | instskip(NEXT) | instid1(VALU_DEP_1)
	v_min_u32_e32 v1, 32, v1
	v_lshlrev_b64_e32 v[10:11], v1, v[10:11]
	v_sub_nc_u32_e32 v1, 32, v1
	s_delay_alu instid0(VALU_DEP_2) | instskip(NEXT) | instid1(VALU_DEP_1)
	v_min_u32_e32 v9, 1, v10
	v_or_b32_e32 v9, v11, v9
	s_delay_alu instid0(VALU_DEP_1) | instskip(NEXT) | instid1(VALU_DEP_1)
	v_cvt_f32_u32_e32 v9, v9
	v_ldexp_f32 v1, v9, v1
	s_delay_alu instid0(VALU_DEP_1)
	v_cvt_f16_f32_e32 v1, v1
	s_branch .LBB24_1202
.LBB24_1200:
	s_mov_b32 s0, -1
                                        ; implicit-def: $vgpr1
.LBB24_1201:
	s_mov_b32 s14, 0
.LBB24_1202:
	s_delay_alu instid0(SALU_CYCLE_1)
	s_and_b32 vcc_lo, exec_lo, s14
	s_cbranch_vccz .LBB24_1220
; %bb.1203:
	s_cmp_lt_i32 s10, 27
	s_cbranch_scc1 .LBB24_1206
; %bb.1204:
	s_cmp_gt_i32 s10, 27
	s_cbranch_scc0 .LBB24_1207
; %bb.1205:
	global_load_b32 v1, v[2:3], off
	s_mov_b32 s13, 0
	s_wait_loadcnt 0x0
	v_cvt_f32_u32_e32 v1, v1
	s_delay_alu instid0(VALU_DEP_1)
	v_cvt_f16_f32_e32 v1, v1
	s_branch .LBB24_1208
.LBB24_1206:
	s_mov_b32 s13, -1
                                        ; implicit-def: $vgpr1
	s_branch .LBB24_1211
.LBB24_1207:
	s_mov_b32 s13, -1
                                        ; implicit-def: $vgpr1
.LBB24_1208:
	s_delay_alu instid0(SALU_CYCLE_1)
	s_and_not1_b32 vcc_lo, exec_lo, s13
	s_cbranch_vccnz .LBB24_1210
; %bb.1209:
	global_load_u16 v1, v[2:3], off
	s_wait_loadcnt 0x0
	v_cvt_f16_u16_e32 v1, v1
.LBB24_1210:
	s_mov_b32 s13, 0
.LBB24_1211:
	s_delay_alu instid0(SALU_CYCLE_1)
	s_and_not1_b32 vcc_lo, exec_lo, s13
	s_cbranch_vccnz .LBB24_1219
; %bb.1212:
	global_load_u8 v9, v[2:3], off
	s_mov_b32 s13, 0
	s_mov_b32 s14, exec_lo
	s_wait_loadcnt 0x0
	v_cmpx_lt_i16_e32 0x7f, v9
	s_xor_b32 s14, exec_lo, s14
	s_cbranch_execz .LBB24_1232
; %bb.1213:
	s_mov_b32 s13, -1
	s_mov_b32 s15, exec_lo
	v_cmpx_eq_u16_e32 0x80, v9
; %bb.1214:
	s_xor_b32 s13, exec_lo, -1
; %bb.1215:
	s_or_b32 exec_lo, exec_lo, s15
	s_delay_alu instid0(SALU_CYCLE_1)
	s_and_b32 s13, s13, exec_lo
	s_or_saveexec_b32 s14, s14
	v_mov_b32_e32 v1, 0x7e00
	s_xor_b32 exec_lo, exec_lo, s14
	s_cbranch_execnz .LBB24_1233
.LBB24_1216:
	s_or_b32 exec_lo, exec_lo, s14
	s_and_saveexec_b32 s14, s13
	s_cbranch_execz .LBB24_1218
.LBB24_1217:
	v_and_b32_e32 v1, 0xffff, v9
	s_delay_alu instid0(VALU_DEP_1) | instskip(SKIP_1) | instid1(VALU_DEP_2)
	v_and_b32_e32 v10, 7, v1
	v_bfe_u32 v13, v1, 3, 4
	v_clz_i32_u32_e32 v11, v10
	s_delay_alu instid0(VALU_DEP_2) | instskip(NEXT) | instid1(VALU_DEP_2)
	v_cmp_eq_u32_e32 vcc_lo, 0, v13
	v_min_u32_e32 v11, 32, v11
	s_delay_alu instid0(VALU_DEP_1) | instskip(NEXT) | instid1(VALU_DEP_1)
	v_subrev_nc_u32_e32 v12, 28, v11
	v_dual_lshlrev_b32 v1, v12, v1 :: v_dual_sub_nc_u32 v11, 29, v11
	s_delay_alu instid0(VALU_DEP_1) | instskip(NEXT) | instid1(VALU_DEP_2)
	v_and_b32_e32 v1, 7, v1
	v_dual_lshlrev_b32 v9, 24, v9 :: v_dual_cndmask_b32 v11, v13, v11, vcc_lo
	s_delay_alu instid0(VALU_DEP_2) | instskip(NEXT) | instid1(VALU_DEP_2)
	v_cndmask_b32_e32 v1, v10, v1, vcc_lo
	v_and_b32_e32 v9, 0x80000000, v9
	s_delay_alu instid0(VALU_DEP_3) | instskip(NEXT) | instid1(VALU_DEP_3)
	v_lshl_add_u32 v10, v11, 23, 0x3b800000
	v_lshlrev_b32_e32 v1, 20, v1
	s_delay_alu instid0(VALU_DEP_1) | instskip(NEXT) | instid1(VALU_DEP_1)
	v_or3_b32 v1, v9, v10, v1
	v_cvt_f16_f32_e32 v1, v1
.LBB24_1218:
	s_or_b32 exec_lo, exec_lo, s14
.LBB24_1219:
	s_mov_b32 s13, -1
.LBB24_1220:
	s_branch .LBB24_1253
.LBB24_1221:
	s_cmp_gt_i32 s10, 22
	s_cbranch_scc0 .LBB24_1231
; %bb.1222:
	s_cmp_lt_i32 s10, 24
	s_cbranch_scc1 .LBB24_1234
; %bb.1223:
	s_cmp_gt_i32 s10, 24
	s_cbranch_scc0 .LBB24_1235
; %bb.1224:
	global_load_u8 v9, v[2:3], off
	s_mov_b32 s13, exec_lo
	s_wait_loadcnt 0x0
	v_cmpx_lt_i16_e32 0x7f, v9
	s_xor_b32 s13, exec_lo, s13
	s_cbranch_execz .LBB24_1247
; %bb.1225:
	s_mov_b32 s1, -1
	s_mov_b32 s14, exec_lo
	v_cmpx_eq_u16_e32 0x80, v9
; %bb.1226:
	s_xor_b32 s1, exec_lo, -1
; %bb.1227:
	s_or_b32 exec_lo, exec_lo, s14
	s_delay_alu instid0(SALU_CYCLE_1)
	s_and_b32 s1, s1, exec_lo
	s_or_saveexec_b32 s13, s13
	v_mov_b32_e32 v1, 0x7e00
	s_xor_b32 exec_lo, exec_lo, s13
	s_cbranch_execnz .LBB24_1248
.LBB24_1228:
	s_or_b32 exec_lo, exec_lo, s13
	s_and_saveexec_b32 s13, s1
	s_cbranch_execz .LBB24_1230
.LBB24_1229:
	v_and_b32_e32 v1, 0xffff, v9
	s_delay_alu instid0(VALU_DEP_1) | instskip(SKIP_1) | instid1(VALU_DEP_2)
	v_and_b32_e32 v10, 3, v1
	v_bfe_u32 v13, v1, 2, 5
	v_clz_i32_u32_e32 v11, v10
	s_delay_alu instid0(VALU_DEP_2) | instskip(NEXT) | instid1(VALU_DEP_2)
	v_cmp_eq_u32_e32 vcc_lo, 0, v13
	v_min_u32_e32 v11, 32, v11
	s_delay_alu instid0(VALU_DEP_1) | instskip(NEXT) | instid1(VALU_DEP_1)
	v_subrev_nc_u32_e32 v12, 29, v11
	v_dual_lshlrev_b32 v1, v12, v1 :: v_dual_sub_nc_u32 v11, 30, v11
	s_delay_alu instid0(VALU_DEP_1) | instskip(NEXT) | instid1(VALU_DEP_2)
	v_and_b32_e32 v1, 3, v1
	v_dual_lshlrev_b32 v9, 24, v9 :: v_dual_cndmask_b32 v11, v13, v11, vcc_lo
	s_delay_alu instid0(VALU_DEP_2) | instskip(NEXT) | instid1(VALU_DEP_2)
	v_cndmask_b32_e32 v1, v10, v1, vcc_lo
	v_and_b32_e32 v9, 0x80000000, v9
	s_delay_alu instid0(VALU_DEP_3) | instskip(NEXT) | instid1(VALU_DEP_3)
	v_lshl_add_u32 v10, v11, 23, 0x37800000
	v_lshlrev_b32_e32 v1, 21, v1
	s_delay_alu instid0(VALU_DEP_1) | instskip(NEXT) | instid1(VALU_DEP_1)
	v_or3_b32 v1, v9, v10, v1
	v_cvt_f16_f32_e32 v1, v1
.LBB24_1230:
	s_or_b32 exec_lo, exec_lo, s13
	s_mov_b32 s1, 0
	s_branch .LBB24_1236
.LBB24_1231:
	s_mov_b32 s1, -1
                                        ; implicit-def: $vgpr1
	s_branch .LBB24_1242
.LBB24_1232:
	s_or_saveexec_b32 s14, s14
	v_mov_b32_e32 v1, 0x7e00
	s_xor_b32 exec_lo, exec_lo, s14
	s_cbranch_execz .LBB24_1216
.LBB24_1233:
	v_cmp_ne_u16_e32 vcc_lo, 0, v9
	v_mov_b32_e32 v1, v9
	s_and_not1_b32 s13, s13, exec_lo
	s_and_b32 s15, vcc_lo, exec_lo
	s_delay_alu instid0(SALU_CYCLE_1)
	s_or_b32 s13, s13, s15
	s_or_b32 exec_lo, exec_lo, s14
	s_and_saveexec_b32 s14, s13
	s_cbranch_execnz .LBB24_1217
	s_branch .LBB24_1218
.LBB24_1234:
	s_mov_b32 s1, -1
                                        ; implicit-def: $vgpr1
	s_branch .LBB24_1239
.LBB24_1235:
	s_mov_b32 s1, -1
                                        ; implicit-def: $vgpr1
.LBB24_1236:
	s_delay_alu instid0(SALU_CYCLE_1)
	s_and_b32 vcc_lo, exec_lo, s1
	s_cbranch_vccz .LBB24_1238
; %bb.1237:
	global_load_u8 v1, v[2:3], off
	s_wait_loadcnt 0x0
	v_lshlrev_b32_e32 v1, 24, v1
	s_delay_alu instid0(VALU_DEP_1) | instskip(NEXT) | instid1(VALU_DEP_1)
	v_and_b32_e32 v9, 0x7f000000, v1
	v_clz_i32_u32_e32 v10, v9
	v_cmp_ne_u32_e32 vcc_lo, 0, v9
	v_add_nc_u32_e32 v12, 0x1000000, v9
	s_delay_alu instid0(VALU_DEP_3) | instskip(NEXT) | instid1(VALU_DEP_1)
	v_min_u32_e32 v10, 32, v10
	v_sub_nc_u32_e64 v10, v10, 4 clamp
	s_delay_alu instid0(VALU_DEP_1) | instskip(NEXT) | instid1(VALU_DEP_1)
	v_dual_lshlrev_b32 v11, v10, v9 :: v_dual_lshlrev_b32 v10, 23, v10
	v_lshrrev_b32_e32 v11, 4, v11
	s_delay_alu instid0(VALU_DEP_1) | instskip(NEXT) | instid1(VALU_DEP_1)
	v_dual_sub_nc_u32 v10, v11, v10 :: v_dual_ashrrev_i32 v11, 8, v12
	v_add_nc_u32_e32 v10, 0x3c000000, v10
	s_delay_alu instid0(VALU_DEP_1) | instskip(NEXT) | instid1(VALU_DEP_1)
	v_and_or_b32 v10, 0x7f800000, v11, v10
	v_cndmask_b32_e32 v9, 0, v10, vcc_lo
	s_delay_alu instid0(VALU_DEP_1) | instskip(NEXT) | instid1(VALU_DEP_1)
	v_and_or_b32 v1, 0x80000000, v1, v9
	v_cvt_f16_f32_e32 v1, v1
.LBB24_1238:
	s_mov_b32 s1, 0
.LBB24_1239:
	s_delay_alu instid0(SALU_CYCLE_1)
	s_and_not1_b32 vcc_lo, exec_lo, s1
	s_cbranch_vccnz .LBB24_1241
; %bb.1240:
	global_load_u8 v1, v[2:3], off
	s_wait_loadcnt 0x0
	v_lshlrev_b32_e32 v9, 25, v1
	v_lshlrev_b16 v1, 8, v1
	s_delay_alu instid0(VALU_DEP_1) | instskip(SKIP_1) | instid1(VALU_DEP_2)
	v_and_or_b32 v11, 0x7f00, v1, 0.5
	v_bfe_i32 v1, v1, 0, 16
	v_dual_add_f32 v11, -0.5, v11 :: v_dual_lshrrev_b32 v10, 4, v9
	v_cmp_gt_u32_e32 vcc_lo, 0x8000000, v9
	s_delay_alu instid0(VALU_DEP_2) | instskip(NEXT) | instid1(VALU_DEP_1)
	v_or_b32_e32 v10, 0x70000000, v10
	v_mul_f32_e32 v10, 0x7800000, v10
	s_delay_alu instid0(VALU_DEP_1) | instskip(NEXT) | instid1(VALU_DEP_1)
	v_cndmask_b32_e32 v9, v10, v11, vcc_lo
	v_and_or_b32 v1, 0x80000000, v1, v9
	s_delay_alu instid0(VALU_DEP_1)
	v_cvt_f16_f32_e32 v1, v1
.LBB24_1241:
	s_mov_b32 s1, 0
	s_mov_b32 s13, -1
.LBB24_1242:
	s_and_not1_b32 vcc_lo, exec_lo, s1
	s_mov_b32 s1, 0
	s_cbranch_vccnz .LBB24_1253
; %bb.1243:
	s_cmp_gt_i32 s10, 14
	s_cbranch_scc0 .LBB24_1246
; %bb.1244:
	s_cmp_eq_u32 s10, 15
	s_cbranch_scc0 .LBB24_1249
; %bb.1245:
	global_load_u16 v1, v[2:3], off
	s_mov_b32 s0, 0
	s_mov_b32 s13, -1
	s_wait_loadcnt 0x0
	v_lshlrev_b32_e32 v1, 16, v1
	s_delay_alu instid0(VALU_DEP_1)
	v_cvt_f16_f32_e32 v1, v1
	s_branch .LBB24_1251
.LBB24_1246:
	s_mov_b32 s1, -1
	s_branch .LBB24_1250
.LBB24_1247:
	s_or_saveexec_b32 s13, s13
	v_mov_b32_e32 v1, 0x7e00
	s_xor_b32 exec_lo, exec_lo, s13
	s_cbranch_execz .LBB24_1228
.LBB24_1248:
	v_cmp_ne_u16_e32 vcc_lo, 0, v9
	v_mov_b32_e32 v1, v9
	s_and_not1_b32 s1, s1, exec_lo
	s_and_b32 s14, vcc_lo, exec_lo
	s_delay_alu instid0(SALU_CYCLE_1)
	s_or_b32 s1, s1, s14
	s_or_b32 exec_lo, exec_lo, s13
	s_and_saveexec_b32 s13, s1
	s_cbranch_execnz .LBB24_1229
	s_branch .LBB24_1230
.LBB24_1249:
	s_mov_b32 s0, -1
.LBB24_1250:
                                        ; implicit-def: $vgpr1
.LBB24_1251:
	s_and_b32 vcc_lo, exec_lo, s1
	s_mov_b32 s1, 0
	s_cbranch_vccz .LBB24_1253
; %bb.1252:
	s_cmp_lg_u32 s10, 11
	s_mov_b32 s1, -1
	s_cselect_b32 s0, -1, 0
.LBB24_1253:
	s_delay_alu instid0(SALU_CYCLE_1)
	s_and_b32 vcc_lo, exec_lo, s0
	s_cbranch_vccnz .LBB24_1320
; %bb.1254:
	s_and_not1_b32 vcc_lo, exec_lo, s1
	s_cbranch_vccnz .LBB24_1256
.LBB24_1255:
	global_load_u8 v1, v[2:3], off
	s_mov_b32 s13, -1
	s_wait_loadcnt 0x0
	v_cmp_ne_u16_e32 vcc_lo, 0, v1
	v_cndmask_b32_e64 v1, 0, 0x3c00, vcc_lo
.LBB24_1256:
	s_branch .LBB24_1182
.LBB24_1257:
	s_cmp_lt_i32 s10, 5
	s_cbranch_scc1 .LBB24_1262
; %bb.1258:
	s_cmp_lt_i32 s10, 8
	s_cbranch_scc1 .LBB24_1263
; %bb.1259:
	;; [unrolled: 3-line block ×3, first 2 shown]
	s_cmp_gt_i32 s10, 9
	s_cbranch_scc0 .LBB24_1265
; %bb.1261:
	global_load_b64 v[10:11], v[2:3], off
	s_mov_b32 s0, 0
	s_wait_loadcnt 0x0
	v_and_or_b32 v1, 0x1ff, v11, v10
	v_lshrrev_b32_e32 v9, 8, v11
	v_bfe_u32 v10, v11, 20, 11
	s_delay_alu instid0(VALU_DEP_3) | instskip(NEXT) | instid1(VALU_DEP_2)
	v_cmp_ne_u32_e32 vcc_lo, 0, v1
	v_sub_nc_u32_e32 v12, 0x3f1, v10
	v_add_nc_u32_e32 v10, 0xfffffc10, v10
	v_cndmask_b32_e64 v1, 0, 1, vcc_lo
	s_delay_alu instid0(VALU_DEP_1) | instskip(NEXT) | instid1(VALU_DEP_4)
	v_and_or_b32 v1, 0xffe, v9, v1
	v_med3_i32 v9, v12, 0, 13
	s_delay_alu instid0(VALU_DEP_2) | instskip(NEXT) | instid1(VALU_DEP_1)
	v_or_b32_e32 v12, 0x1000, v1
	v_lshrrev_b32_e32 v13, v9, v12
	s_delay_alu instid0(VALU_DEP_1) | instskip(NEXT) | instid1(VALU_DEP_1)
	v_lshlrev_b32_e32 v9, v9, v13
	v_cmp_ne_u32_e32 vcc_lo, v9, v12
	v_lshl_or_b32 v12, v10, 12, v1
	v_cndmask_b32_e64 v9, 0, 1, vcc_lo
	v_cmp_gt_i32_e32 vcc_lo, 1, v10
	s_delay_alu instid0(VALU_DEP_2) | instskip(NEXT) | instid1(VALU_DEP_1)
	v_or_b32_e32 v9, v13, v9
	v_cndmask_b32_e32 v9, v12, v9, vcc_lo
	s_delay_alu instid0(VALU_DEP_1) | instskip(NEXT) | instid1(VALU_DEP_1)
	v_dual_lshrrev_b32 v9, 2, v9 :: v_dual_bitop2_b32 v12, 7, v9 bitop3:0x40
	v_cmp_lt_i32_e32 vcc_lo, 5, v12
	v_cndmask_b32_e64 v13, 0, 1, vcc_lo
	v_cmp_eq_u32_e32 vcc_lo, 3, v12
	v_cndmask_b32_e64 v12, 0, 1, vcc_lo
	v_cmp_ne_u32_e32 vcc_lo, 0, v1
	s_delay_alu instid0(VALU_DEP_2) | instskip(SKIP_1) | instid1(VALU_DEP_2)
	v_or_b32_e32 v12, v12, v13
	v_mov_b32_e32 v13, 0x7e00
	v_add_nc_u32_e32 v9, v9, v12
	s_delay_alu instid0(VALU_DEP_2) | instskip(SKIP_1) | instid1(VALU_DEP_3)
	v_cndmask_b32_e32 v1, 0x7c00, v13, vcc_lo
	v_cmp_gt_i32_e32 vcc_lo, 31, v10
	v_cndmask_b32_e32 v9, 0x7c00, v9, vcc_lo
	v_cmp_eq_u32_e32 vcc_lo, 0x40f, v10
	s_delay_alu instid0(VALU_DEP_2) | instskip(NEXT) | instid1(VALU_DEP_1)
	v_dual_cndmask_b32 v1, v9, v1, vcc_lo :: v_dual_lshrrev_b32 v9, 16, v11
	v_and_or_b32 v1, 0x8000, v9, v1
	s_branch .LBB24_1266
.LBB24_1262:
                                        ; implicit-def: $vgpr1
	s_branch .LBB24_1284
.LBB24_1263:
	s_mov_b32 s0, -1
                                        ; implicit-def: $vgpr1
	s_branch .LBB24_1272
.LBB24_1264:
	s_mov_b32 s0, -1
                                        ; implicit-def: $vgpr1
	s_branch .LBB24_1269
.LBB24_1265:
	s_mov_b32 s0, -1
                                        ; implicit-def: $vgpr1
.LBB24_1266:
	s_delay_alu instid0(SALU_CYCLE_1)
	s_and_not1_b32 vcc_lo, exec_lo, s0
	s_cbranch_vccnz .LBB24_1268
; %bb.1267:
	global_load_b32 v1, v[2:3], off
	s_wait_loadcnt 0x0
	v_cvt_f16_f32_e32 v1, v1
.LBB24_1268:
	s_mov_b32 s0, 0
.LBB24_1269:
	s_delay_alu instid0(SALU_CYCLE_1)
	s_and_not1_b32 vcc_lo, exec_lo, s0
	s_cbranch_vccnz .LBB24_1271
; %bb.1270:
	global_load_b32 v1, v[2:3], off
.LBB24_1271:
	s_mov_b32 s0, 0
.LBB24_1272:
	s_delay_alu instid0(SALU_CYCLE_1)
	s_and_not1_b32 vcc_lo, exec_lo, s0
	s_cbranch_vccnz .LBB24_1283
; %bb.1273:
	s_cmp_lt_i32 s10, 6
	s_cbranch_scc1 .LBB24_1276
; %bb.1274:
	s_cmp_gt_i32 s10, 6
	s_cbranch_scc0 .LBB24_1277
; %bb.1275:
	global_load_b64 v[10:11], v[2:3], off
	s_mov_b32 s0, 0
	s_wait_loadcnt 0x0
	v_and_or_b32 v1, 0x1ff, v11, v10
	v_lshrrev_b32_e32 v9, 8, v11
	v_bfe_u32 v10, v11, 20, 11
	s_delay_alu instid0(VALU_DEP_3) | instskip(NEXT) | instid1(VALU_DEP_2)
	v_cmp_ne_u32_e32 vcc_lo, 0, v1
	v_sub_nc_u32_e32 v12, 0x3f1, v10
	v_add_nc_u32_e32 v10, 0xfffffc10, v10
	v_cndmask_b32_e64 v1, 0, 1, vcc_lo
	s_delay_alu instid0(VALU_DEP_1) | instskip(NEXT) | instid1(VALU_DEP_4)
	v_and_or_b32 v1, 0xffe, v9, v1
	v_med3_i32 v9, v12, 0, 13
	s_delay_alu instid0(VALU_DEP_2) | instskip(NEXT) | instid1(VALU_DEP_1)
	v_or_b32_e32 v12, 0x1000, v1
	v_lshrrev_b32_e32 v13, v9, v12
	s_delay_alu instid0(VALU_DEP_1) | instskip(NEXT) | instid1(VALU_DEP_1)
	v_lshlrev_b32_e32 v9, v9, v13
	v_cmp_ne_u32_e32 vcc_lo, v9, v12
	v_lshl_or_b32 v12, v10, 12, v1
	v_cndmask_b32_e64 v9, 0, 1, vcc_lo
	v_cmp_gt_i32_e32 vcc_lo, 1, v10
	s_delay_alu instid0(VALU_DEP_2) | instskip(NEXT) | instid1(VALU_DEP_1)
	v_or_b32_e32 v9, v13, v9
	v_cndmask_b32_e32 v9, v12, v9, vcc_lo
	s_delay_alu instid0(VALU_DEP_1) | instskip(NEXT) | instid1(VALU_DEP_1)
	v_dual_lshrrev_b32 v9, 2, v9 :: v_dual_bitop2_b32 v12, 7, v9 bitop3:0x40
	v_cmp_lt_i32_e32 vcc_lo, 5, v12
	v_cndmask_b32_e64 v13, 0, 1, vcc_lo
	v_cmp_eq_u32_e32 vcc_lo, 3, v12
	v_cndmask_b32_e64 v12, 0, 1, vcc_lo
	v_cmp_ne_u32_e32 vcc_lo, 0, v1
	s_delay_alu instid0(VALU_DEP_2) | instskip(SKIP_1) | instid1(VALU_DEP_2)
	v_or_b32_e32 v12, v12, v13
	v_mov_b32_e32 v13, 0x7e00
	v_add_nc_u32_e32 v9, v9, v12
	s_delay_alu instid0(VALU_DEP_2) | instskip(SKIP_1) | instid1(VALU_DEP_3)
	v_cndmask_b32_e32 v1, 0x7c00, v13, vcc_lo
	v_cmp_gt_i32_e32 vcc_lo, 31, v10
	v_cndmask_b32_e32 v9, 0x7c00, v9, vcc_lo
	v_cmp_eq_u32_e32 vcc_lo, 0x40f, v10
	s_delay_alu instid0(VALU_DEP_2) | instskip(NEXT) | instid1(VALU_DEP_1)
	v_dual_cndmask_b32 v1, v9, v1, vcc_lo :: v_dual_lshrrev_b32 v9, 16, v11
	v_and_or_b32 v1, 0x8000, v9, v1
	s_branch .LBB24_1278
.LBB24_1276:
	s_mov_b32 s0, -1
                                        ; implicit-def: $vgpr1
	s_branch .LBB24_1281
.LBB24_1277:
	s_mov_b32 s0, -1
                                        ; implicit-def: $vgpr1
.LBB24_1278:
	s_delay_alu instid0(SALU_CYCLE_1)
	s_and_not1_b32 vcc_lo, exec_lo, s0
	s_cbranch_vccnz .LBB24_1280
; %bb.1279:
	s_wait_loadcnt 0x0
	global_load_b32 v1, v[2:3], off
	s_wait_loadcnt 0x0
	v_cvt_f16_f32_e32 v1, v1
.LBB24_1280:
	s_mov_b32 s0, 0
.LBB24_1281:
	s_delay_alu instid0(SALU_CYCLE_1)
	s_and_not1_b32 vcc_lo, exec_lo, s0
	s_cbranch_vccnz .LBB24_1283
; %bb.1282:
	s_wait_loadcnt 0x0
	global_load_u16 v1, v[2:3], off
.LBB24_1283:
	s_cbranch_execnz .LBB24_1303
.LBB24_1284:
	s_cmp_lt_i32 s10, 2
	s_cbranch_scc1 .LBB24_1288
; %bb.1285:
	s_cmp_lt_i32 s10, 3
	s_cbranch_scc1 .LBB24_1289
; %bb.1286:
	s_cmp_gt_i32 s10, 3
	s_cbranch_scc0 .LBB24_1290
; %bb.1287:
	global_load_b64 v[10:11], v[2:3], off
	s_mov_b32 s0, 0
	s_wait_loadcnt 0x0
	v_xor_b32_e32 v1, v10, v11
	v_cls_i32_e32 v9, v11
	s_delay_alu instid0(VALU_DEP_2) | instskip(NEXT) | instid1(VALU_DEP_1)
	v_ashrrev_i32_e32 v1, 31, v1
	v_add_nc_u32_e32 v1, 32, v1
	s_delay_alu instid0(VALU_DEP_1) | instskip(NEXT) | instid1(VALU_DEP_1)
	v_add_min_u32_e64 v1, v9, -1, v1
	v_lshlrev_b64_e32 v[10:11], v1, v[10:11]
	v_sub_nc_u32_e32 v1, 32, v1
	s_delay_alu instid0(VALU_DEP_2) | instskip(NEXT) | instid1(VALU_DEP_1)
	v_min_u32_e32 v9, 1, v10
	v_or_b32_e32 v9, v11, v9
	s_delay_alu instid0(VALU_DEP_1) | instskip(NEXT) | instid1(VALU_DEP_1)
	v_cvt_f32_i32_e32 v9, v9
	v_ldexp_f32 v1, v9, v1
	s_delay_alu instid0(VALU_DEP_1)
	v_cvt_f16_f32_e32 v1, v1
	s_branch .LBB24_1291
.LBB24_1288:
	s_mov_b32 s0, -1
                                        ; implicit-def: $vgpr1
	s_branch .LBB24_1297
.LBB24_1289:
	s_mov_b32 s0, -1
                                        ; implicit-def: $vgpr1
	s_branch .LBB24_1294
.LBB24_1290:
	s_mov_b32 s0, -1
                                        ; implicit-def: $vgpr1
.LBB24_1291:
	s_delay_alu instid0(SALU_CYCLE_1)
	s_and_not1_b32 vcc_lo, exec_lo, s0
	s_cbranch_vccnz .LBB24_1293
; %bb.1292:
	s_wait_loadcnt 0x0
	global_load_b32 v1, v[2:3], off
	s_wait_loadcnt 0x0
	v_cvt_f32_i32_e32 v1, v1
	s_delay_alu instid0(VALU_DEP_1)
	v_cvt_f16_f32_e32 v1, v1
.LBB24_1293:
	s_mov_b32 s0, 0
.LBB24_1294:
	s_delay_alu instid0(SALU_CYCLE_1)
	s_and_not1_b32 vcc_lo, exec_lo, s0
	s_cbranch_vccnz .LBB24_1296
; %bb.1295:
	s_wait_loadcnt 0x0
	global_load_u16 v1, v[2:3], off
	s_wait_loadcnt 0x0
	v_cvt_f16_i16_e32 v1, v1
.LBB24_1296:
	s_mov_b32 s0, 0
.LBB24_1297:
	s_delay_alu instid0(SALU_CYCLE_1)
	s_and_not1_b32 vcc_lo, exec_lo, s0
	s_cbranch_vccnz .LBB24_1303
; %bb.1298:
	s_cmp_gt_i32 s10, 0
	s_mov_b32 s0, 0
	s_cbranch_scc0 .LBB24_1300
; %bb.1299:
	s_wait_loadcnt 0x0
	global_load_i8 v1, v[2:3], off
	s_wait_loadcnt 0x0
	v_cvt_f16_i16_e32 v1, v1
	s_branch .LBB24_1301
.LBB24_1300:
	s_mov_b32 s0, -1
                                        ; implicit-def: $vgpr1
.LBB24_1301:
	s_delay_alu instid0(SALU_CYCLE_1)
	s_and_not1_b32 vcc_lo, exec_lo, s0
	s_cbranch_vccnz .LBB24_1303
; %bb.1302:
	s_wait_loadcnt 0x0
	global_load_u8 v1, v[2:3], off
	s_wait_loadcnt 0x0
	v_cvt_f16_u16_e32 v1, v1
.LBB24_1303:
.LBB24_1304:
	s_wait_loadcnt 0x0
	s_delay_alu instid0(VALU_DEP_1) | instskip(SKIP_1) | instid1(VALU_DEP_1)
	v_cvt_f32_f16_e32 v9, v1
                                        ; implicit-def: $vgpr12
                                        ; implicit-def: $vgpr11
	s_mov_b32 s1, exec_lo
	v_and_b32_e32 v10, 0x7fffffff, v9
	s_wait_xcnt 0x0
	v_cmpx_ngt_f32_e64 0x48000000, |v9|
	s_xor_b32 s13, exec_lo, s1
	s_cbranch_execz .LBB24_1306
; %bb.1305:
	s_mov_b32 s0, 0x7fffff
	v_mov_b32_e32 v3, 0
	v_and_or_b32 v2, v10, s0, 0x800000
	s_mov_b64 s[0:1], 0xfe5163ab
	v_lshrrev_b32_e32 v1, 23, v10
	s_delay_alu instid0(VALU_DEP_2) | instskip(NEXT) | instid1(VALU_DEP_1)
	v_mul_u64_e32 v[12:13], s[0:1], v[2:3]
	v_dual_mov_b32 v14, v13 :: v_dual_mov_b32 v15, v3
	v_dual_mov_b32 v17, v3 :: v_dual_mov_b32 v19, v3
	v_mov_b32_e32 v21, v3
	s_delay_alu instid0(VALU_DEP_3) | instskip(NEXT) | instid1(VALU_DEP_1)
	v_mad_nc_u64_u32 v[14:15], 0x3c439041, v2, v[14:15]
	v_mov_b32_e32 v16, v15
	s_delay_alu instid0(VALU_DEP_1) | instskip(NEXT) | instid1(VALU_DEP_1)
	v_mad_nc_u64_u32 v[16:17], 0xdb629599, v2, v[16:17]
	v_mov_b32_e32 v18, v17
	s_delay_alu instid0(VALU_DEP_1) | instskip(NEXT) | instid1(VALU_DEP_1)
	;; [unrolled: 3-line block ×3, first 2 shown]
	v_mad_nc_u64_u32 v[20:21], 0xfc2757d1, v2, v[20:21]
	v_dual_mov_b32 v23, v3 :: v_dual_mov_b32 v22, v21
	s_delay_alu instid0(VALU_DEP_1) | instskip(NEXT) | instid1(VALU_DEP_1)
	v_mad_nc_u64_u32 v[22:23], 0x4e441529, v2, v[22:23]
	v_dual_mov_b32 v24, v23 :: v_dual_add_nc_u32 v1, 0xffffff88, v1
	s_delay_alu instid0(VALU_DEP_1) | instskip(SKIP_2) | instid1(VALU_DEP_2)
	v_cmp_lt_u32_e32 vcc_lo, 63, v1
	v_mov_b32_e32 v25, v3
	v_cndmask_b32_e64 v11, 0, 0xffffffc0, vcc_lo
	v_mad_nc_u64_u32 v[2:3], 0xa2f9836e, v2, v[24:25]
	v_dual_cndmask_b32 v13, v22, v18, vcc_lo :: v_dual_cndmask_b32 v15, v20, v16, vcc_lo
	s_delay_alu instid0(VALU_DEP_3) | instskip(NEXT) | instid1(VALU_DEP_1)
	v_dual_cndmask_b32 v12, v16, v12 :: v_dual_add_nc_u32 v1, v11, v1
	v_cmp_lt_u32_e64 s0, 31, v1
	s_delay_alu instid0(VALU_DEP_4) | instskip(NEXT) | instid1(VALU_DEP_2)
	v_dual_cndmask_b32 v2, v2, v20 :: v_dual_cndmask_b32 v3, v3, v22
	v_cndmask_b32_e64 v11, 0, 0xffffffe0, s0
	s_delay_alu instid0(VALU_DEP_1) | instskip(NEXT) | instid1(VALU_DEP_1)
	v_add_nc_u32_e32 v1, v11, v1
	v_cmp_lt_u32_e64 s1, 31, v1
	s_delay_alu instid0(VALU_DEP_1) | instskip(NEXT) | instid1(VALU_DEP_1)
	v_cndmask_b32_e64 v11, 0, 0xffffffe0, s1
	v_dual_add_nc_u32 v1, v11, v1 :: v_dual_cndmask_b32 v11, v18, v14, vcc_lo
	v_dual_cndmask_b32 v14, v2, v13, s0 :: v_dual_cndmask_b32 v2, v3, v2, s0
	s_delay_alu instid0(VALU_DEP_2) | instskip(NEXT) | instid1(VALU_DEP_3)
	v_dual_cndmask_b32 v3, v13, v15, s0 :: v_dual_sub_nc_u32 v13, 32, v1
	v_cndmask_b32_e64 v15, v15, v11, s0
	v_cmp_eq_u32_e32 vcc_lo, 0, v1
	s_delay_alu instid0(VALU_DEP_4) | instskip(NEXT) | instid1(VALU_DEP_4)
	v_cndmask_b32_e64 v2, v2, v14, s1
	v_cndmask_b32_e64 v14, v14, v3, s1
	s_delay_alu instid0(VALU_DEP_4) | instskip(NEXT) | instid1(VALU_DEP_2)
	v_cndmask_b32_e64 v3, v3, v15, s1
	v_alignbit_b32 v17, v2, v14, v13
	s_delay_alu instid0(VALU_DEP_2) | instskip(NEXT) | instid1(VALU_DEP_2)
	v_alignbit_b32 v16, v14, v3, v13
	v_dual_cndmask_b32 v1, v17, v2, vcc_lo :: v_dual_cndmask_b32 v2, v11, v12, s0
	s_delay_alu instid0(VALU_DEP_1) | instskip(NEXT) | instid1(VALU_DEP_3)
	v_bfe_u32 v12, v1, 29, 1
	v_cndmask_b32_e32 v11, v16, v14, vcc_lo
	s_delay_alu instid0(VALU_DEP_2) | instskip(NEXT) | instid1(VALU_DEP_2)
	v_dual_cndmask_b32 v2, v15, v2, s1 :: v_dual_sub_nc_u32 v15, 0, v12
	v_alignbit_b32 v14, v1, v11, 30
	s_delay_alu instid0(VALU_DEP_1) | instskip(NEXT) | instid1(VALU_DEP_3)
	v_xor_b32_e32 v14, v14, v15
	v_alignbit_b32 v13, v3, v2, v13
	s_delay_alu instid0(VALU_DEP_1) | instskip(NEXT) | instid1(VALU_DEP_3)
	v_cndmask_b32_e32 v3, v13, v3, vcc_lo
	v_clz_i32_u32_e32 v13, v14
	s_delay_alu instid0(VALU_DEP_2) | instskip(NEXT) | instid1(VALU_DEP_2)
	v_alignbit_b32 v11, v11, v3, 30
	v_min_u32_e32 v13, 32, v13
	v_alignbit_b32 v2, v3, v2, 30
	s_delay_alu instid0(VALU_DEP_2) | instskip(NEXT) | instid1(VALU_DEP_2)
	v_dual_sub_nc_u32 v11, 31, v13 :: v_dual_bitop2_b32 v3, v11, v15 bitop3:0x14
	v_dual_lshrrev_b32 v15, 29, v1 :: v_dual_bitop2_b32 v2, v2, v15 bitop3:0x14
	v_lshlrev_b32_e32 v16, 23, v13
	v_lshrrev_b32_e32 v1, 30, v1
	s_delay_alu instid0(VALU_DEP_4) | instskip(NEXT) | instid1(VALU_DEP_4)
	v_alignbit_b32 v14, v14, v3, v11
	v_alignbit_b32 v2, v3, v2, v11
	s_delay_alu instid0(VALU_DEP_3) | instskip(NEXT) | instid1(VALU_DEP_2)
	v_dual_lshlrev_b32 v3, 31, v15 :: v_dual_add_nc_u32 v12, v12, v1
	v_alignbit_b32 v11, v14, v2, 9
	s_delay_alu instid0(VALU_DEP_2) | instskip(SKIP_1) | instid1(VALU_DEP_3)
	v_dual_lshrrev_b32 v14, 9, v14 :: v_dual_bitop2_b32 v15, 0.5, v3 bitop3:0x54
	v_or_b32_e32 v3, 0x33000000, v3
	v_clz_i32_u32_e32 v17, v11
	s_delay_alu instid0(VALU_DEP_3) | instskip(NEXT) | instid1(VALU_DEP_2)
	v_sub_nc_u32_e32 v15, v15, v16
	v_min_u32_e32 v16, 32, v17
	s_delay_alu instid0(VALU_DEP_1) | instskip(NEXT) | instid1(VALU_DEP_3)
	v_add_lshl_u32 v13, v16, v13, 23
	v_or_b32_e32 v14, v14, v15
	v_not_b32_e32 v15, v16
	s_delay_alu instid0(VALU_DEP_3) | instskip(NEXT) | instid1(VALU_DEP_3)
	v_sub_nc_u32_e32 v3, v3, v13
	v_mul_f32_e32 v17, 0x3fc90fda, v14
	s_delay_alu instid0(VALU_DEP_3) | instskip(NEXT) | instid1(VALU_DEP_2)
	v_alignbit_b32 v2, v11, v2, v15
	v_fma_f32 v11, 0x3fc90fda, v14, -v17
	s_delay_alu instid0(VALU_DEP_1) | instskip(NEXT) | instid1(VALU_DEP_1)
	v_dual_fmamk_f32 v11, v14, 0x33a22168, v11 :: v_dual_lshrrev_b32 v2, 9, v2
	v_or_b32_e32 v2, v3, v2
	s_delay_alu instid0(VALU_DEP_1) | instskip(NEXT) | instid1(VALU_DEP_1)
	v_fmac_f32_e32 v11, 0x3fc90fda, v2
	v_add_f32_e32 v11, v17, v11
.LBB24_1306:
	s_and_not1_saveexec_b32 s0, s13
; %bb.1307:
	v_mul_f32_e64 v1, 0x3f22f983, |v9|
	s_delay_alu instid0(VALU_DEP_1) | instskip(NEXT) | instid1(VALU_DEP_1)
	v_rndne_f32_e32 v1, v1
	v_fma_f32 v2, 0xbfc90fda, v1, |v9|
	v_cvt_i32_f32_e32 v12, v1
	s_delay_alu instid0(VALU_DEP_2) | instskip(NEXT) | instid1(VALU_DEP_1)
	v_fmamk_f32 v2, v1, 0xb3a22168, v2
	v_fmamk_f32 v11, v1, 0xa7c234c4, v2
; %bb.1308:
	s_or_b32 exec_lo, exec_lo, s0
	v_add_nc_u32_e32 v0, s3, v0
	s_cmp_lt_i32 s10, 11
	s_delay_alu instid0(VALU_DEP_1) | instskip(NEXT) | instid1(VALU_DEP_1)
	v_ashrrev_i32_e32 v1, 31, v0
	v_add_nc_u64_e32 v[2:3], s[6:7], v[0:1]
	s_cbranch_scc1 .LBB24_1315
; %bb.1309:
	s_cmp_gt_i32 s10, 25
	s_mov_b32 s1, 0
	s_cbranch_scc0 .LBB24_1317
; %bb.1310:
	s_cmp_gt_i32 s10, 28
	s_cbranch_scc0 .LBB24_1318
; %bb.1311:
	s_cmp_gt_i32 s10, 43
	;; [unrolled: 3-line block ×3, first 2 shown]
	s_cbranch_scc0 .LBB24_1321
; %bb.1313:
	s_cmp_eq_u32 s10, 46
	s_mov_b32 s14, 0
	s_cbranch_scc0 .LBB24_1322
; %bb.1314:
	global_load_b32 v1, v[2:3], off
	s_mov_b32 s0, 0
	s_mov_b32 s13, -1
	s_wait_loadcnt 0x0
	v_lshlrev_b32_e32 v1, 16, v1
	s_delay_alu instid0(VALU_DEP_1)
	v_cvt_f16_f32_e32 v1, v1
	s_branch .LBB24_1324
.LBB24_1315:
	s_mov_b32 s13, 0
                                        ; implicit-def: $vgpr1
	s_cbranch_execnz .LBB24_1390
.LBB24_1316:
	s_and_not1_b32 vcc_lo, exec_lo, s13
	s_cbranch_vccz .LBB24_1438
	s_branch .LBB24_2007
.LBB24_1317:
	s_mov_b32 s14, -1
	s_mov_b32 s13, 0
	s_mov_b32 s0, 0
                                        ; implicit-def: $vgpr1
	s_branch .LBB24_1353
.LBB24_1318:
	s_mov_b32 s14, -1
	s_mov_b32 s13, 0
	s_mov_b32 s0, 0
                                        ; implicit-def: $vgpr1
	s_branch .LBB24_1334
.LBB24_1319:
	s_mov_b32 s14, -1
	s_mov_b32 s13, 0
	s_mov_b32 s0, 0
                                        ; implicit-def: $vgpr1
	s_branch .LBB24_1329
.LBB24_1320:
	s_or_b32 s9, s9, exec_lo
	s_trap 2
	s_cbranch_execz .LBB24_1255
	s_branch .LBB24_1256
.LBB24_1321:
	s_mov_b32 s14, -1
	s_mov_b32 s13, 0
	s_mov_b32 s0, 0
	s_branch .LBB24_1323
.LBB24_1322:
	s_mov_b32 s0, -1
	s_mov_b32 s13, 0
.LBB24_1323:
                                        ; implicit-def: $vgpr1
.LBB24_1324:
	s_and_b32 vcc_lo, exec_lo, s14
	s_cbranch_vccz .LBB24_1328
; %bb.1325:
	s_cmp_eq_u32 s10, 44
	s_cbranch_scc0 .LBB24_1327
; %bb.1326:
	global_load_u8 v1, v[2:3], off
	s_mov_b32 s0, 0
	s_mov_b32 s13, -1
	s_wait_loadcnt 0x0
	v_lshlrev_b32_e32 v13, 23, v1
	v_cmp_ne_u32_e32 vcc_lo, 0xff, v1
	s_delay_alu instid0(VALU_DEP_2) | instskip(NEXT) | instid1(VALU_DEP_1)
	v_cvt_f16_f32_e32 v13, v13
	v_cndmask_b32_e32 v13, 0x7e00, v13, vcc_lo
	v_cmp_ne_u32_e32 vcc_lo, 0, v1
	s_delay_alu instid0(VALU_DEP_2)
	v_cndmask_b32_e32 v1, 0, v13, vcc_lo
	s_branch .LBB24_1328
.LBB24_1327:
	s_mov_b32 s0, -1
                                        ; implicit-def: $vgpr1
.LBB24_1328:
	s_mov_b32 s14, 0
.LBB24_1329:
	s_delay_alu instid0(SALU_CYCLE_1)
	s_and_b32 vcc_lo, exec_lo, s14
	s_cbranch_vccz .LBB24_1333
; %bb.1330:
	s_cmp_eq_u32 s10, 29
	s_cbranch_scc0 .LBB24_1332
; %bb.1331:
	global_load_b64 v[14:15], v[2:3], off
	s_mov_b32 s0, 0
	s_mov_b32 s13, -1
	s_mov_b32 s14, 0
	s_wait_loadcnt 0x0
	v_clz_i32_u32_e32 v1, v15
	s_delay_alu instid0(VALU_DEP_1) | instskip(NEXT) | instid1(VALU_DEP_1)
	v_min_u32_e32 v1, 32, v1
	v_lshlrev_b64_e32 v[14:15], v1, v[14:15]
	v_sub_nc_u32_e32 v1, 32, v1
	s_delay_alu instid0(VALU_DEP_2) | instskip(NEXT) | instid1(VALU_DEP_1)
	v_min_u32_e32 v13, 1, v14
	v_or_b32_e32 v13, v15, v13
	s_delay_alu instid0(VALU_DEP_1) | instskip(NEXT) | instid1(VALU_DEP_1)
	v_cvt_f32_u32_e32 v13, v13
	v_ldexp_f32 v1, v13, v1
	s_delay_alu instid0(VALU_DEP_1)
	v_cvt_f16_f32_e32 v1, v1
	s_branch .LBB24_1334
.LBB24_1332:
	s_mov_b32 s0, -1
                                        ; implicit-def: $vgpr1
.LBB24_1333:
	s_mov_b32 s14, 0
.LBB24_1334:
	s_delay_alu instid0(SALU_CYCLE_1)
	s_and_b32 vcc_lo, exec_lo, s14
	s_cbranch_vccz .LBB24_1352
; %bb.1335:
	s_cmp_lt_i32 s10, 27
	s_cbranch_scc1 .LBB24_1338
; %bb.1336:
	s_cmp_gt_i32 s10, 27
	s_cbranch_scc0 .LBB24_1339
; %bb.1337:
	global_load_b32 v1, v[2:3], off
	s_mov_b32 s13, 0
	s_wait_loadcnt 0x0
	v_cvt_f32_u32_e32 v1, v1
	s_delay_alu instid0(VALU_DEP_1)
	v_cvt_f16_f32_e32 v1, v1
	s_branch .LBB24_1340
.LBB24_1338:
	s_mov_b32 s13, -1
                                        ; implicit-def: $vgpr1
	s_branch .LBB24_1343
.LBB24_1339:
	s_mov_b32 s13, -1
                                        ; implicit-def: $vgpr1
.LBB24_1340:
	s_delay_alu instid0(SALU_CYCLE_1)
	s_and_not1_b32 vcc_lo, exec_lo, s13
	s_cbranch_vccnz .LBB24_1342
; %bb.1341:
	global_load_u16 v1, v[2:3], off
	s_wait_loadcnt 0x0
	v_cvt_f16_u16_e32 v1, v1
.LBB24_1342:
	s_mov_b32 s13, 0
.LBB24_1343:
	s_delay_alu instid0(SALU_CYCLE_1)
	s_and_not1_b32 vcc_lo, exec_lo, s13
	s_cbranch_vccnz .LBB24_1351
; %bb.1344:
	global_load_u8 v13, v[2:3], off
	s_mov_b32 s13, 0
	s_mov_b32 s14, exec_lo
	s_wait_loadcnt 0x0
	v_cmpx_lt_i16_e32 0x7f, v13
	s_xor_b32 s14, exec_lo, s14
	s_cbranch_execz .LBB24_1365
; %bb.1345:
	s_mov_b32 s13, -1
	s_mov_b32 s15, exec_lo
	v_cmpx_eq_u16_e32 0x80, v13
; %bb.1346:
	s_xor_b32 s13, exec_lo, -1
; %bb.1347:
	s_or_b32 exec_lo, exec_lo, s15
	s_delay_alu instid0(SALU_CYCLE_1)
	s_and_b32 s13, s13, exec_lo
	s_or_saveexec_b32 s14, s14
	v_mov_b32_e32 v1, 0x7e00
	s_xor_b32 exec_lo, exec_lo, s14
	s_cbranch_execnz .LBB24_1366
.LBB24_1348:
	s_or_b32 exec_lo, exec_lo, s14
	s_and_saveexec_b32 s14, s13
	s_cbranch_execz .LBB24_1350
.LBB24_1349:
	v_and_b32_e32 v1, 0xffff, v13
	s_delay_alu instid0(VALU_DEP_1) | instskip(SKIP_1) | instid1(VALU_DEP_2)
	v_and_b32_e32 v14, 7, v1
	v_bfe_u32 v17, v1, 3, 4
	v_clz_i32_u32_e32 v15, v14
	s_delay_alu instid0(VALU_DEP_2) | instskip(NEXT) | instid1(VALU_DEP_2)
	v_cmp_eq_u32_e32 vcc_lo, 0, v17
	v_min_u32_e32 v15, 32, v15
	s_delay_alu instid0(VALU_DEP_1) | instskip(NEXT) | instid1(VALU_DEP_1)
	v_subrev_nc_u32_e32 v16, 28, v15
	v_dual_lshlrev_b32 v1, v16, v1 :: v_dual_sub_nc_u32 v15, 29, v15
	s_delay_alu instid0(VALU_DEP_1) | instskip(NEXT) | instid1(VALU_DEP_2)
	v_and_b32_e32 v1, 7, v1
	v_dual_lshlrev_b32 v13, 24, v13 :: v_dual_cndmask_b32 v15, v17, v15, vcc_lo
	s_delay_alu instid0(VALU_DEP_2) | instskip(NEXT) | instid1(VALU_DEP_2)
	v_cndmask_b32_e32 v1, v14, v1, vcc_lo
	v_and_b32_e32 v13, 0x80000000, v13
	s_delay_alu instid0(VALU_DEP_3) | instskip(NEXT) | instid1(VALU_DEP_3)
	v_lshl_add_u32 v14, v15, 23, 0x3b800000
	v_lshlrev_b32_e32 v1, 20, v1
	s_delay_alu instid0(VALU_DEP_1) | instskip(NEXT) | instid1(VALU_DEP_1)
	v_or3_b32 v1, v13, v14, v1
	v_cvt_f16_f32_e32 v1, v1
.LBB24_1350:
	s_or_b32 exec_lo, exec_lo, s14
.LBB24_1351:
	s_mov_b32 s13, -1
.LBB24_1352:
	s_mov_b32 s14, 0
.LBB24_1353:
	s_delay_alu instid0(SALU_CYCLE_1)
	s_and_b32 vcc_lo, exec_lo, s14
	s_cbranch_vccz .LBB24_1386
; %bb.1354:
	s_cmp_gt_i32 s10, 22
	s_cbranch_scc0 .LBB24_1364
; %bb.1355:
	s_cmp_lt_i32 s10, 24
	s_cbranch_scc1 .LBB24_1367
; %bb.1356:
	s_cmp_gt_i32 s10, 24
	s_cbranch_scc0 .LBB24_1368
; %bb.1357:
	global_load_u8 v13, v[2:3], off
	s_mov_b32 s13, exec_lo
	s_wait_loadcnt 0x0
	v_cmpx_lt_i16_e32 0x7f, v13
	s_xor_b32 s13, exec_lo, s13
	s_cbranch_execz .LBB24_1380
; %bb.1358:
	s_mov_b32 s1, -1
	s_mov_b32 s14, exec_lo
	v_cmpx_eq_u16_e32 0x80, v13
; %bb.1359:
	s_xor_b32 s1, exec_lo, -1
; %bb.1360:
	s_or_b32 exec_lo, exec_lo, s14
	s_delay_alu instid0(SALU_CYCLE_1)
	s_and_b32 s1, s1, exec_lo
	s_or_saveexec_b32 s13, s13
	v_mov_b32_e32 v1, 0x7e00
	s_xor_b32 exec_lo, exec_lo, s13
	s_cbranch_execnz .LBB24_1381
.LBB24_1361:
	s_or_b32 exec_lo, exec_lo, s13
	s_and_saveexec_b32 s13, s1
	s_cbranch_execz .LBB24_1363
.LBB24_1362:
	v_and_b32_e32 v1, 0xffff, v13
	s_delay_alu instid0(VALU_DEP_1) | instskip(SKIP_1) | instid1(VALU_DEP_2)
	v_and_b32_e32 v14, 3, v1
	v_bfe_u32 v17, v1, 2, 5
	v_clz_i32_u32_e32 v15, v14
	s_delay_alu instid0(VALU_DEP_2) | instskip(NEXT) | instid1(VALU_DEP_2)
	v_cmp_eq_u32_e32 vcc_lo, 0, v17
	v_min_u32_e32 v15, 32, v15
	s_delay_alu instid0(VALU_DEP_1) | instskip(NEXT) | instid1(VALU_DEP_1)
	v_subrev_nc_u32_e32 v16, 29, v15
	v_dual_lshlrev_b32 v1, v16, v1 :: v_dual_sub_nc_u32 v15, 30, v15
	s_delay_alu instid0(VALU_DEP_1) | instskip(NEXT) | instid1(VALU_DEP_2)
	v_and_b32_e32 v1, 3, v1
	v_dual_lshlrev_b32 v13, 24, v13 :: v_dual_cndmask_b32 v15, v17, v15, vcc_lo
	s_delay_alu instid0(VALU_DEP_2) | instskip(NEXT) | instid1(VALU_DEP_2)
	v_cndmask_b32_e32 v1, v14, v1, vcc_lo
	v_and_b32_e32 v13, 0x80000000, v13
	s_delay_alu instid0(VALU_DEP_3) | instskip(NEXT) | instid1(VALU_DEP_3)
	v_lshl_add_u32 v14, v15, 23, 0x37800000
	v_lshlrev_b32_e32 v1, 21, v1
	s_delay_alu instid0(VALU_DEP_1) | instskip(NEXT) | instid1(VALU_DEP_1)
	v_or3_b32 v1, v13, v14, v1
	v_cvt_f16_f32_e32 v1, v1
.LBB24_1363:
	s_or_b32 exec_lo, exec_lo, s13
	s_mov_b32 s1, 0
	s_branch .LBB24_1369
.LBB24_1364:
	s_mov_b32 s1, -1
                                        ; implicit-def: $vgpr1
	s_branch .LBB24_1375
.LBB24_1365:
	s_or_saveexec_b32 s14, s14
	v_mov_b32_e32 v1, 0x7e00
	s_xor_b32 exec_lo, exec_lo, s14
	s_cbranch_execz .LBB24_1348
.LBB24_1366:
	v_cmp_ne_u16_e32 vcc_lo, 0, v13
	v_mov_b32_e32 v1, v13
	s_and_not1_b32 s13, s13, exec_lo
	s_and_b32 s15, vcc_lo, exec_lo
	s_delay_alu instid0(SALU_CYCLE_1)
	s_or_b32 s13, s13, s15
	s_or_b32 exec_lo, exec_lo, s14
	s_and_saveexec_b32 s14, s13
	s_cbranch_execnz .LBB24_1349
	s_branch .LBB24_1350
.LBB24_1367:
	s_mov_b32 s1, -1
                                        ; implicit-def: $vgpr1
	s_branch .LBB24_1372
.LBB24_1368:
	s_mov_b32 s1, -1
                                        ; implicit-def: $vgpr1
.LBB24_1369:
	s_delay_alu instid0(SALU_CYCLE_1)
	s_and_b32 vcc_lo, exec_lo, s1
	s_cbranch_vccz .LBB24_1371
; %bb.1370:
	global_load_u8 v1, v[2:3], off
	s_wait_loadcnt 0x0
	v_lshlrev_b32_e32 v1, 24, v1
	s_delay_alu instid0(VALU_DEP_1) | instskip(NEXT) | instid1(VALU_DEP_1)
	v_and_b32_e32 v13, 0x7f000000, v1
	v_clz_i32_u32_e32 v14, v13
	v_cmp_ne_u32_e32 vcc_lo, 0, v13
	v_add_nc_u32_e32 v16, 0x1000000, v13
	s_delay_alu instid0(VALU_DEP_3) | instskip(NEXT) | instid1(VALU_DEP_1)
	v_min_u32_e32 v14, 32, v14
	v_sub_nc_u32_e64 v14, v14, 4 clamp
	s_delay_alu instid0(VALU_DEP_1) | instskip(NEXT) | instid1(VALU_DEP_1)
	v_dual_lshlrev_b32 v15, v14, v13 :: v_dual_lshlrev_b32 v14, 23, v14
	v_lshrrev_b32_e32 v15, 4, v15
	s_delay_alu instid0(VALU_DEP_1) | instskip(NEXT) | instid1(VALU_DEP_1)
	v_dual_sub_nc_u32 v14, v15, v14 :: v_dual_ashrrev_i32 v15, 8, v16
	v_add_nc_u32_e32 v14, 0x3c000000, v14
	s_delay_alu instid0(VALU_DEP_1) | instskip(NEXT) | instid1(VALU_DEP_1)
	v_and_or_b32 v14, 0x7f800000, v15, v14
	v_cndmask_b32_e32 v13, 0, v14, vcc_lo
	s_delay_alu instid0(VALU_DEP_1) | instskip(NEXT) | instid1(VALU_DEP_1)
	v_and_or_b32 v1, 0x80000000, v1, v13
	v_cvt_f16_f32_e32 v1, v1
.LBB24_1371:
	s_mov_b32 s1, 0
.LBB24_1372:
	s_delay_alu instid0(SALU_CYCLE_1)
	s_and_not1_b32 vcc_lo, exec_lo, s1
	s_cbranch_vccnz .LBB24_1374
; %bb.1373:
	global_load_u8 v1, v[2:3], off
	s_wait_loadcnt 0x0
	v_lshlrev_b32_e32 v13, 25, v1
	v_lshlrev_b16 v1, 8, v1
	s_delay_alu instid0(VALU_DEP_1) | instskip(SKIP_1) | instid1(VALU_DEP_2)
	v_and_or_b32 v15, 0x7f00, v1, 0.5
	v_bfe_i32 v1, v1, 0, 16
	v_dual_add_f32 v15, -0.5, v15 :: v_dual_lshrrev_b32 v14, 4, v13
	v_cmp_gt_u32_e32 vcc_lo, 0x8000000, v13
	s_delay_alu instid0(VALU_DEP_2) | instskip(NEXT) | instid1(VALU_DEP_1)
	v_or_b32_e32 v14, 0x70000000, v14
	v_mul_f32_e32 v14, 0x7800000, v14
	s_delay_alu instid0(VALU_DEP_1) | instskip(NEXT) | instid1(VALU_DEP_1)
	v_cndmask_b32_e32 v13, v14, v15, vcc_lo
	v_and_or_b32 v1, 0x80000000, v1, v13
	s_delay_alu instid0(VALU_DEP_1)
	v_cvt_f16_f32_e32 v1, v1
.LBB24_1374:
	s_mov_b32 s1, 0
	s_mov_b32 s13, -1
.LBB24_1375:
	s_and_not1_b32 vcc_lo, exec_lo, s1
	s_mov_b32 s1, 0
	s_cbranch_vccnz .LBB24_1386
; %bb.1376:
	s_cmp_gt_i32 s10, 14
	s_cbranch_scc0 .LBB24_1379
; %bb.1377:
	s_cmp_eq_u32 s10, 15
	s_cbranch_scc0 .LBB24_1382
; %bb.1378:
	global_load_u16 v1, v[2:3], off
	s_mov_b32 s0, 0
	s_mov_b32 s13, -1
	s_wait_loadcnt 0x0
	v_lshlrev_b32_e32 v1, 16, v1
	s_delay_alu instid0(VALU_DEP_1)
	v_cvt_f16_f32_e32 v1, v1
	s_branch .LBB24_1384
.LBB24_1379:
	s_mov_b32 s1, -1
	s_branch .LBB24_1383
.LBB24_1380:
	s_or_saveexec_b32 s13, s13
	v_mov_b32_e32 v1, 0x7e00
	s_xor_b32 exec_lo, exec_lo, s13
	s_cbranch_execz .LBB24_1361
.LBB24_1381:
	v_cmp_ne_u16_e32 vcc_lo, 0, v13
	v_mov_b32_e32 v1, v13
	s_and_not1_b32 s1, s1, exec_lo
	s_and_b32 s14, vcc_lo, exec_lo
	s_delay_alu instid0(SALU_CYCLE_1)
	s_or_b32 s1, s1, s14
	s_or_b32 exec_lo, exec_lo, s13
	s_and_saveexec_b32 s13, s1
	s_cbranch_execnz .LBB24_1362
	s_branch .LBB24_1363
.LBB24_1382:
	s_mov_b32 s0, -1
.LBB24_1383:
                                        ; implicit-def: $vgpr1
.LBB24_1384:
	s_and_b32 vcc_lo, exec_lo, s1
	s_mov_b32 s1, 0
	s_cbranch_vccz .LBB24_1386
; %bb.1385:
	s_cmp_lg_u32 s10, 11
	s_mov_b32 s1, -1
	s_cselect_b32 s0, -1, 0
.LBB24_1386:
	s_delay_alu instid0(SALU_CYCLE_1)
	s_and_b32 vcc_lo, exec_lo, s0
	s_cbranch_vccnz .LBB24_1453
; %bb.1387:
	s_and_not1_b32 vcc_lo, exec_lo, s1
	s_cbranch_vccnz .LBB24_1389
.LBB24_1388:
	global_load_u8 v1, v[2:3], off
	s_mov_b32 s13, -1
	s_wait_loadcnt 0x0
	v_cmp_ne_u16_e32 vcc_lo, 0, v1
	v_cndmask_b32_e64 v1, 0, 0x3c00, vcc_lo
.LBB24_1389:
	s_branch .LBB24_1316
.LBB24_1390:
	s_cmp_lt_i32 s10, 5
	s_cbranch_scc1 .LBB24_1395
; %bb.1391:
	s_cmp_lt_i32 s10, 8
	s_cbranch_scc1 .LBB24_1396
; %bb.1392:
	;; [unrolled: 3-line block ×3, first 2 shown]
	s_cmp_gt_i32 s10, 9
	s_cbranch_scc0 .LBB24_1398
; %bb.1394:
	global_load_b64 v[14:15], v[2:3], off
	s_mov_b32 s0, 0
	s_wait_loadcnt 0x0
	v_and_or_b32 v1, 0x1ff, v15, v14
	v_lshrrev_b32_e32 v13, 8, v15
	v_bfe_u32 v14, v15, 20, 11
	s_delay_alu instid0(VALU_DEP_3) | instskip(NEXT) | instid1(VALU_DEP_2)
	v_cmp_ne_u32_e32 vcc_lo, 0, v1
	v_sub_nc_u32_e32 v16, 0x3f1, v14
	v_add_nc_u32_e32 v14, 0xfffffc10, v14
	v_cndmask_b32_e64 v1, 0, 1, vcc_lo
	s_delay_alu instid0(VALU_DEP_1) | instskip(NEXT) | instid1(VALU_DEP_4)
	v_and_or_b32 v1, 0xffe, v13, v1
	v_med3_i32 v13, v16, 0, 13
	s_delay_alu instid0(VALU_DEP_2) | instskip(NEXT) | instid1(VALU_DEP_1)
	v_or_b32_e32 v16, 0x1000, v1
	v_lshrrev_b32_e32 v17, v13, v16
	s_delay_alu instid0(VALU_DEP_1) | instskip(NEXT) | instid1(VALU_DEP_1)
	v_lshlrev_b32_e32 v13, v13, v17
	v_cmp_ne_u32_e32 vcc_lo, v13, v16
	v_lshl_or_b32 v16, v14, 12, v1
	v_cndmask_b32_e64 v13, 0, 1, vcc_lo
	v_cmp_gt_i32_e32 vcc_lo, 1, v14
	s_delay_alu instid0(VALU_DEP_2) | instskip(NEXT) | instid1(VALU_DEP_1)
	v_or_b32_e32 v13, v17, v13
	v_cndmask_b32_e32 v13, v16, v13, vcc_lo
	s_delay_alu instid0(VALU_DEP_1) | instskip(NEXT) | instid1(VALU_DEP_1)
	v_dual_lshrrev_b32 v13, 2, v13 :: v_dual_bitop2_b32 v16, 7, v13 bitop3:0x40
	v_cmp_lt_i32_e32 vcc_lo, 5, v16
	v_cndmask_b32_e64 v17, 0, 1, vcc_lo
	v_cmp_eq_u32_e32 vcc_lo, 3, v16
	v_cndmask_b32_e64 v16, 0, 1, vcc_lo
	v_cmp_ne_u32_e32 vcc_lo, 0, v1
	s_delay_alu instid0(VALU_DEP_2) | instskip(SKIP_1) | instid1(VALU_DEP_2)
	v_or_b32_e32 v16, v16, v17
	v_mov_b32_e32 v17, 0x7e00
	v_add_nc_u32_e32 v13, v13, v16
	s_delay_alu instid0(VALU_DEP_2) | instskip(SKIP_1) | instid1(VALU_DEP_3)
	v_cndmask_b32_e32 v1, 0x7c00, v17, vcc_lo
	v_cmp_gt_i32_e32 vcc_lo, 31, v14
	v_cndmask_b32_e32 v13, 0x7c00, v13, vcc_lo
	v_cmp_eq_u32_e32 vcc_lo, 0x40f, v14
	s_delay_alu instid0(VALU_DEP_2) | instskip(NEXT) | instid1(VALU_DEP_1)
	v_dual_cndmask_b32 v1, v13, v1, vcc_lo :: v_dual_lshrrev_b32 v13, 16, v15
	v_and_or_b32 v1, 0x8000, v13, v1
	s_branch .LBB24_1399
.LBB24_1395:
	s_mov_b32 s0, -1
                                        ; implicit-def: $vgpr1
	s_branch .LBB24_1417
.LBB24_1396:
	s_mov_b32 s0, -1
                                        ; implicit-def: $vgpr1
	s_branch .LBB24_1405
.LBB24_1397:
	s_mov_b32 s0, -1
                                        ; implicit-def: $vgpr1
	s_branch .LBB24_1402
.LBB24_1398:
	s_mov_b32 s0, -1
                                        ; implicit-def: $vgpr1
.LBB24_1399:
	s_delay_alu instid0(SALU_CYCLE_1)
	s_and_not1_b32 vcc_lo, exec_lo, s0
	s_cbranch_vccnz .LBB24_1401
; %bb.1400:
	global_load_b32 v1, v[2:3], off
	s_wait_loadcnt 0x0
	v_cvt_f16_f32_e32 v1, v1
.LBB24_1401:
	s_mov_b32 s0, 0
.LBB24_1402:
	s_delay_alu instid0(SALU_CYCLE_1)
	s_and_not1_b32 vcc_lo, exec_lo, s0
	s_cbranch_vccnz .LBB24_1404
; %bb.1403:
	global_load_b32 v1, v[2:3], off
.LBB24_1404:
	s_mov_b32 s0, 0
.LBB24_1405:
	s_delay_alu instid0(SALU_CYCLE_1)
	s_and_not1_b32 vcc_lo, exec_lo, s0
	s_cbranch_vccnz .LBB24_1416
; %bb.1406:
	s_cmp_lt_i32 s10, 6
	s_cbranch_scc1 .LBB24_1409
; %bb.1407:
	s_cmp_gt_i32 s10, 6
	s_cbranch_scc0 .LBB24_1410
; %bb.1408:
	global_load_b64 v[14:15], v[2:3], off
	s_mov_b32 s0, 0
	s_wait_loadcnt 0x0
	v_and_or_b32 v1, 0x1ff, v15, v14
	v_lshrrev_b32_e32 v13, 8, v15
	v_bfe_u32 v14, v15, 20, 11
	s_delay_alu instid0(VALU_DEP_3) | instskip(NEXT) | instid1(VALU_DEP_2)
	v_cmp_ne_u32_e32 vcc_lo, 0, v1
	v_sub_nc_u32_e32 v16, 0x3f1, v14
	v_add_nc_u32_e32 v14, 0xfffffc10, v14
	v_cndmask_b32_e64 v1, 0, 1, vcc_lo
	s_delay_alu instid0(VALU_DEP_1) | instskip(NEXT) | instid1(VALU_DEP_4)
	v_and_or_b32 v1, 0xffe, v13, v1
	v_med3_i32 v13, v16, 0, 13
	s_delay_alu instid0(VALU_DEP_2) | instskip(NEXT) | instid1(VALU_DEP_1)
	v_or_b32_e32 v16, 0x1000, v1
	v_lshrrev_b32_e32 v17, v13, v16
	s_delay_alu instid0(VALU_DEP_1) | instskip(NEXT) | instid1(VALU_DEP_1)
	v_lshlrev_b32_e32 v13, v13, v17
	v_cmp_ne_u32_e32 vcc_lo, v13, v16
	v_lshl_or_b32 v16, v14, 12, v1
	v_cndmask_b32_e64 v13, 0, 1, vcc_lo
	v_cmp_gt_i32_e32 vcc_lo, 1, v14
	s_delay_alu instid0(VALU_DEP_2) | instskip(NEXT) | instid1(VALU_DEP_1)
	v_or_b32_e32 v13, v17, v13
	v_cndmask_b32_e32 v13, v16, v13, vcc_lo
	s_delay_alu instid0(VALU_DEP_1) | instskip(NEXT) | instid1(VALU_DEP_1)
	v_dual_lshrrev_b32 v13, 2, v13 :: v_dual_bitop2_b32 v16, 7, v13 bitop3:0x40
	v_cmp_lt_i32_e32 vcc_lo, 5, v16
	v_cndmask_b32_e64 v17, 0, 1, vcc_lo
	v_cmp_eq_u32_e32 vcc_lo, 3, v16
	v_cndmask_b32_e64 v16, 0, 1, vcc_lo
	v_cmp_ne_u32_e32 vcc_lo, 0, v1
	s_delay_alu instid0(VALU_DEP_2) | instskip(SKIP_1) | instid1(VALU_DEP_2)
	v_or_b32_e32 v16, v16, v17
	v_mov_b32_e32 v17, 0x7e00
	v_add_nc_u32_e32 v13, v13, v16
	s_delay_alu instid0(VALU_DEP_2) | instskip(SKIP_1) | instid1(VALU_DEP_3)
	v_cndmask_b32_e32 v1, 0x7c00, v17, vcc_lo
	v_cmp_gt_i32_e32 vcc_lo, 31, v14
	v_cndmask_b32_e32 v13, 0x7c00, v13, vcc_lo
	v_cmp_eq_u32_e32 vcc_lo, 0x40f, v14
	s_delay_alu instid0(VALU_DEP_2) | instskip(NEXT) | instid1(VALU_DEP_1)
	v_dual_cndmask_b32 v1, v13, v1, vcc_lo :: v_dual_lshrrev_b32 v13, 16, v15
	v_and_or_b32 v1, 0x8000, v13, v1
	s_branch .LBB24_1411
.LBB24_1409:
	s_mov_b32 s0, -1
                                        ; implicit-def: $vgpr1
	s_branch .LBB24_1414
.LBB24_1410:
	s_mov_b32 s0, -1
                                        ; implicit-def: $vgpr1
.LBB24_1411:
	s_delay_alu instid0(SALU_CYCLE_1)
	s_and_not1_b32 vcc_lo, exec_lo, s0
	s_cbranch_vccnz .LBB24_1413
; %bb.1412:
	s_wait_loadcnt 0x0
	global_load_b32 v1, v[2:3], off
	s_wait_loadcnt 0x0
	v_cvt_f16_f32_e32 v1, v1
.LBB24_1413:
	s_mov_b32 s0, 0
.LBB24_1414:
	s_delay_alu instid0(SALU_CYCLE_1)
	s_and_not1_b32 vcc_lo, exec_lo, s0
	s_cbranch_vccnz .LBB24_1416
; %bb.1415:
	s_wait_loadcnt 0x0
	global_load_u16 v1, v[2:3], off
.LBB24_1416:
	s_mov_b32 s0, 0
.LBB24_1417:
	s_delay_alu instid0(SALU_CYCLE_1)
	s_and_not1_b32 vcc_lo, exec_lo, s0
	s_cbranch_vccnz .LBB24_1437
; %bb.1418:
	s_cmp_lt_i32 s10, 2
	s_cbranch_scc1 .LBB24_1422
; %bb.1419:
	s_cmp_lt_i32 s10, 3
	s_cbranch_scc1 .LBB24_1423
; %bb.1420:
	s_cmp_gt_i32 s10, 3
	s_cbranch_scc0 .LBB24_1424
; %bb.1421:
	global_load_b64 v[14:15], v[2:3], off
	s_mov_b32 s0, 0
	s_wait_loadcnt 0x0
	v_xor_b32_e32 v1, v14, v15
	v_cls_i32_e32 v13, v15
	s_delay_alu instid0(VALU_DEP_2) | instskip(NEXT) | instid1(VALU_DEP_1)
	v_ashrrev_i32_e32 v1, 31, v1
	v_add_nc_u32_e32 v1, 32, v1
	s_delay_alu instid0(VALU_DEP_1) | instskip(NEXT) | instid1(VALU_DEP_1)
	v_add_min_u32_e64 v1, v13, -1, v1
	v_lshlrev_b64_e32 v[14:15], v1, v[14:15]
	v_sub_nc_u32_e32 v1, 32, v1
	s_delay_alu instid0(VALU_DEP_2) | instskip(NEXT) | instid1(VALU_DEP_1)
	v_min_u32_e32 v13, 1, v14
	v_or_b32_e32 v13, v15, v13
	s_delay_alu instid0(VALU_DEP_1) | instskip(NEXT) | instid1(VALU_DEP_1)
	v_cvt_f32_i32_e32 v13, v13
	v_ldexp_f32 v1, v13, v1
	s_delay_alu instid0(VALU_DEP_1)
	v_cvt_f16_f32_e32 v1, v1
	s_branch .LBB24_1425
.LBB24_1422:
	s_mov_b32 s0, -1
                                        ; implicit-def: $vgpr1
	s_branch .LBB24_1431
.LBB24_1423:
	s_mov_b32 s0, -1
                                        ; implicit-def: $vgpr1
	s_branch .LBB24_1428
.LBB24_1424:
	s_mov_b32 s0, -1
                                        ; implicit-def: $vgpr1
.LBB24_1425:
	s_delay_alu instid0(SALU_CYCLE_1)
	s_and_not1_b32 vcc_lo, exec_lo, s0
	s_cbranch_vccnz .LBB24_1427
; %bb.1426:
	s_wait_loadcnt 0x0
	global_load_b32 v1, v[2:3], off
	s_wait_loadcnt 0x0
	v_cvt_f32_i32_e32 v1, v1
	s_delay_alu instid0(VALU_DEP_1)
	v_cvt_f16_f32_e32 v1, v1
.LBB24_1427:
	s_mov_b32 s0, 0
.LBB24_1428:
	s_delay_alu instid0(SALU_CYCLE_1)
	s_and_not1_b32 vcc_lo, exec_lo, s0
	s_cbranch_vccnz .LBB24_1430
; %bb.1429:
	s_wait_loadcnt 0x0
	global_load_u16 v1, v[2:3], off
	s_wait_loadcnt 0x0
	v_cvt_f16_i16_e32 v1, v1
.LBB24_1430:
	s_mov_b32 s0, 0
.LBB24_1431:
	s_delay_alu instid0(SALU_CYCLE_1)
	s_and_not1_b32 vcc_lo, exec_lo, s0
	s_cbranch_vccnz .LBB24_1437
; %bb.1432:
	s_cmp_gt_i32 s10, 0
	s_mov_b32 s0, 0
	s_cbranch_scc0 .LBB24_1434
; %bb.1433:
	s_wait_loadcnt 0x0
	global_load_i8 v1, v[2:3], off
	s_wait_loadcnt 0x0
	v_cvt_f16_i16_e32 v1, v1
	s_branch .LBB24_1435
.LBB24_1434:
	s_mov_b32 s0, -1
                                        ; implicit-def: $vgpr1
.LBB24_1435:
	s_delay_alu instid0(SALU_CYCLE_1)
	s_and_not1_b32 vcc_lo, exec_lo, s0
	s_cbranch_vccnz .LBB24_1437
; %bb.1436:
	s_wait_loadcnt 0x0
	global_load_u8 v1, v[2:3], off
	s_wait_loadcnt 0x0
	v_cvt_f16_u16_e32 v1, v1
.LBB24_1437:
.LBB24_1438:
	s_wait_loadcnt 0x0
	s_delay_alu instid0(VALU_DEP_1) | instskip(SKIP_1) | instid1(VALU_DEP_1)
	v_cvt_f32_f16_e32 v13, v1
                                        ; implicit-def: $vgpr16
                                        ; implicit-def: $vgpr15
	s_mov_b32 s1, exec_lo
	v_and_b32_e32 v14, 0x7fffffff, v13
	s_wait_xcnt 0x0
	v_cmpx_ngt_f32_e64 0x48000000, |v13|
	s_xor_b32 s13, exec_lo, s1
	s_cbranch_execz .LBB24_1440
; %bb.1439:
	s_mov_b32 s0, 0x7fffff
	v_mov_b32_e32 v3, 0
	v_and_or_b32 v2, v14, s0, 0x800000
	s_mov_b64 s[0:1], 0xfe5163ab
	v_lshrrev_b32_e32 v1, 23, v14
	s_delay_alu instid0(VALU_DEP_2) | instskip(NEXT) | instid1(VALU_DEP_1)
	v_mul_u64_e32 v[16:17], s[0:1], v[2:3]
	v_dual_mov_b32 v18, v17 :: v_dual_mov_b32 v19, v3
	v_dual_mov_b32 v21, v3 :: v_dual_mov_b32 v23, v3
	v_mov_b32_e32 v25, v3
	s_delay_alu instid0(VALU_DEP_3) | instskip(NEXT) | instid1(VALU_DEP_1)
	v_mad_nc_u64_u32 v[18:19], 0x3c439041, v2, v[18:19]
	v_mov_b32_e32 v20, v19
	s_delay_alu instid0(VALU_DEP_1) | instskip(NEXT) | instid1(VALU_DEP_1)
	v_mad_nc_u64_u32 v[20:21], 0xdb629599, v2, v[20:21]
	v_mov_b32_e32 v22, v21
	s_delay_alu instid0(VALU_DEP_1) | instskip(NEXT) | instid1(VALU_DEP_1)
	v_mad_nc_u64_u32 v[22:23], 0xf534ddc0, v2, v[22:23]
	v_mov_b32_e32 v24, v23
	s_delay_alu instid0(VALU_DEP_1) | instskip(NEXT) | instid1(VALU_DEP_1)
	v_mad_nc_u64_u32 v[24:25], 0xfc2757d1, v2, v[24:25]
	v_dual_mov_b32 v27, v3 :: v_dual_mov_b32 v26, v25
	s_delay_alu instid0(VALU_DEP_1) | instskip(NEXT) | instid1(VALU_DEP_1)
	v_mad_nc_u64_u32 v[26:27], 0x4e441529, v2, v[26:27]
	v_dual_mov_b32 v28, v27 :: v_dual_add_nc_u32 v1, 0xffffff88, v1
	s_delay_alu instid0(VALU_DEP_1) | instskip(SKIP_2) | instid1(VALU_DEP_2)
	v_cmp_lt_u32_e32 vcc_lo, 63, v1
	v_mov_b32_e32 v29, v3
	v_cndmask_b32_e64 v15, 0, 0xffffffc0, vcc_lo
	v_mad_nc_u64_u32 v[2:3], 0xa2f9836e, v2, v[28:29]
	v_dual_cndmask_b32 v17, v26, v22, vcc_lo :: v_dual_cndmask_b32 v19, v24, v20, vcc_lo
	s_delay_alu instid0(VALU_DEP_3) | instskip(NEXT) | instid1(VALU_DEP_1)
	v_dual_cndmask_b32 v16, v20, v16 :: v_dual_add_nc_u32 v1, v15, v1
	v_cmp_lt_u32_e64 s0, 31, v1
	s_delay_alu instid0(VALU_DEP_4) | instskip(NEXT) | instid1(VALU_DEP_2)
	v_dual_cndmask_b32 v2, v2, v24 :: v_dual_cndmask_b32 v3, v3, v26
	v_cndmask_b32_e64 v15, 0, 0xffffffe0, s0
	s_delay_alu instid0(VALU_DEP_1) | instskip(NEXT) | instid1(VALU_DEP_1)
	v_add_nc_u32_e32 v1, v15, v1
	v_cmp_lt_u32_e64 s1, 31, v1
	s_delay_alu instid0(VALU_DEP_1) | instskip(NEXT) | instid1(VALU_DEP_1)
	v_cndmask_b32_e64 v15, 0, 0xffffffe0, s1
	v_dual_add_nc_u32 v1, v15, v1 :: v_dual_cndmask_b32 v15, v22, v18, vcc_lo
	v_dual_cndmask_b32 v18, v2, v17, s0 :: v_dual_cndmask_b32 v2, v3, v2, s0
	s_delay_alu instid0(VALU_DEP_2) | instskip(NEXT) | instid1(VALU_DEP_3)
	v_dual_cndmask_b32 v3, v17, v19, s0 :: v_dual_sub_nc_u32 v17, 32, v1
	v_cndmask_b32_e64 v19, v19, v15, s0
	v_cmp_eq_u32_e32 vcc_lo, 0, v1
	s_delay_alu instid0(VALU_DEP_4) | instskip(NEXT) | instid1(VALU_DEP_4)
	v_cndmask_b32_e64 v2, v2, v18, s1
	v_cndmask_b32_e64 v18, v18, v3, s1
	s_delay_alu instid0(VALU_DEP_4) | instskip(NEXT) | instid1(VALU_DEP_2)
	v_cndmask_b32_e64 v3, v3, v19, s1
	v_alignbit_b32 v21, v2, v18, v17
	s_delay_alu instid0(VALU_DEP_2) | instskip(NEXT) | instid1(VALU_DEP_2)
	v_alignbit_b32 v20, v18, v3, v17
	v_dual_cndmask_b32 v1, v21, v2, vcc_lo :: v_dual_cndmask_b32 v2, v15, v16, s0
	s_delay_alu instid0(VALU_DEP_1) | instskip(NEXT) | instid1(VALU_DEP_3)
	v_bfe_u32 v16, v1, 29, 1
	v_cndmask_b32_e32 v15, v20, v18, vcc_lo
	s_delay_alu instid0(VALU_DEP_2) | instskip(NEXT) | instid1(VALU_DEP_2)
	v_dual_cndmask_b32 v2, v19, v2, s1 :: v_dual_sub_nc_u32 v19, 0, v16
	v_alignbit_b32 v18, v1, v15, 30
	s_delay_alu instid0(VALU_DEP_1) | instskip(NEXT) | instid1(VALU_DEP_3)
	v_xor_b32_e32 v18, v18, v19
	v_alignbit_b32 v17, v3, v2, v17
	s_delay_alu instid0(VALU_DEP_1) | instskip(NEXT) | instid1(VALU_DEP_3)
	v_cndmask_b32_e32 v3, v17, v3, vcc_lo
	v_clz_i32_u32_e32 v17, v18
	s_delay_alu instid0(VALU_DEP_2) | instskip(NEXT) | instid1(VALU_DEP_2)
	v_alignbit_b32 v15, v15, v3, 30
	v_min_u32_e32 v17, 32, v17
	v_alignbit_b32 v2, v3, v2, 30
	s_delay_alu instid0(VALU_DEP_2) | instskip(NEXT) | instid1(VALU_DEP_2)
	v_dual_sub_nc_u32 v15, 31, v17 :: v_dual_bitop2_b32 v3, v15, v19 bitop3:0x14
	v_dual_lshrrev_b32 v19, 29, v1 :: v_dual_bitop2_b32 v2, v2, v19 bitop3:0x14
	v_lshlrev_b32_e32 v20, 23, v17
	v_lshrrev_b32_e32 v1, 30, v1
	s_delay_alu instid0(VALU_DEP_4) | instskip(NEXT) | instid1(VALU_DEP_4)
	v_alignbit_b32 v18, v18, v3, v15
	v_alignbit_b32 v2, v3, v2, v15
	s_delay_alu instid0(VALU_DEP_3) | instskip(NEXT) | instid1(VALU_DEP_2)
	v_dual_lshlrev_b32 v3, 31, v19 :: v_dual_add_nc_u32 v16, v16, v1
	v_alignbit_b32 v15, v18, v2, 9
	s_delay_alu instid0(VALU_DEP_2) | instskip(SKIP_1) | instid1(VALU_DEP_3)
	v_dual_lshrrev_b32 v18, 9, v18 :: v_dual_bitop2_b32 v19, 0.5, v3 bitop3:0x54
	v_or_b32_e32 v3, 0x33000000, v3
	v_clz_i32_u32_e32 v21, v15
	s_delay_alu instid0(VALU_DEP_3) | instskip(NEXT) | instid1(VALU_DEP_2)
	v_sub_nc_u32_e32 v19, v19, v20
	v_min_u32_e32 v20, 32, v21
	s_delay_alu instid0(VALU_DEP_1) | instskip(NEXT) | instid1(VALU_DEP_3)
	v_add_lshl_u32 v17, v20, v17, 23
	v_or_b32_e32 v18, v18, v19
	v_not_b32_e32 v19, v20
	s_delay_alu instid0(VALU_DEP_3) | instskip(NEXT) | instid1(VALU_DEP_3)
	v_sub_nc_u32_e32 v3, v3, v17
	v_mul_f32_e32 v21, 0x3fc90fda, v18
	s_delay_alu instid0(VALU_DEP_3) | instskip(NEXT) | instid1(VALU_DEP_2)
	v_alignbit_b32 v2, v15, v2, v19
	v_fma_f32 v15, 0x3fc90fda, v18, -v21
	s_delay_alu instid0(VALU_DEP_1) | instskip(NEXT) | instid1(VALU_DEP_1)
	v_dual_fmamk_f32 v15, v18, 0x33a22168, v15 :: v_dual_lshrrev_b32 v2, 9, v2
	v_or_b32_e32 v2, v3, v2
	s_delay_alu instid0(VALU_DEP_1) | instskip(NEXT) | instid1(VALU_DEP_1)
	v_fmac_f32_e32 v15, 0x3fc90fda, v2
	v_add_f32_e32 v15, v21, v15
.LBB24_1440:
	s_and_not1_saveexec_b32 s0, s13
; %bb.1441:
	v_mul_f32_e64 v1, 0x3f22f983, |v13|
	s_delay_alu instid0(VALU_DEP_1) | instskip(NEXT) | instid1(VALU_DEP_1)
	v_rndne_f32_e32 v1, v1
	v_fma_f32 v2, 0xbfc90fda, v1, |v13|
	v_cvt_i32_f32_e32 v16, v1
	s_delay_alu instid0(VALU_DEP_2) | instskip(NEXT) | instid1(VALU_DEP_1)
	v_fmamk_f32 v2, v1, 0xb3a22168, v2
	v_fmamk_f32 v15, v1, 0xa7c234c4, v2
; %bb.1442:
	s_or_b32 exec_lo, exec_lo, s0
	v_add_nc_u32_e32 v0, s3, v0
	s_cmp_lt_i32 s10, 11
	s_delay_alu instid0(VALU_DEP_1) | instskip(NEXT) | instid1(VALU_DEP_1)
	v_ashrrev_i32_e32 v1, 31, v0
	v_add_nc_u64_e32 v[0:1], s[6:7], v[0:1]
	s_cbranch_scc1 .LBB24_1449
; %bb.1443:
	s_cmp_gt_i32 s10, 25
	s_mov_b32 s1, 0
	s_cbranch_scc0 .LBB24_1450
; %bb.1444:
	s_cmp_gt_i32 s10, 28
	s_cbranch_scc0 .LBB24_1451
; %bb.1445:
	s_cmp_gt_i32 s10, 43
	;; [unrolled: 3-line block ×3, first 2 shown]
	s_cbranch_scc0 .LBB24_1454
; %bb.1447:
	s_cmp_eq_u32 s10, 46
	s_mov_b32 s6, 0
	s_cbranch_scc0 .LBB24_1455
; %bb.1448:
	global_load_b32 v2, v[0:1], off
	s_mov_b32 s0, 0
	s_mov_b32 s3, -1
	s_wait_loadcnt 0x0
	v_lshlrev_b32_e32 v2, 16, v2
	s_delay_alu instid0(VALU_DEP_1)
	v_cvt_f16_f32_e32 v2, v2
	s_branch .LBB24_1457
.LBB24_1449:
	s_mov_b32 s0, -1
	s_mov_b32 s3, 0
                                        ; implicit-def: $vgpr2
	s_branch .LBB24_1523
.LBB24_1450:
	s_mov_b32 s6, -1
	s_mov_b32 s3, 0
	s_mov_b32 s0, 0
                                        ; implicit-def: $vgpr2
	s_branch .LBB24_1486
.LBB24_1451:
	s_mov_b32 s6, -1
	s_mov_b32 s3, 0
	s_mov_b32 s0, 0
                                        ; implicit-def: $vgpr2
	s_branch .LBB24_1467
.LBB24_1452:
	s_mov_b32 s6, -1
	s_mov_b32 s3, 0
	s_mov_b32 s0, 0
                                        ; implicit-def: $vgpr2
	s_branch .LBB24_1462
.LBB24_1453:
	s_or_b32 s9, s9, exec_lo
	s_trap 2
	s_cbranch_execz .LBB24_1388
	s_branch .LBB24_1389
.LBB24_1454:
	s_mov_b32 s6, -1
	s_mov_b32 s3, 0
	s_mov_b32 s0, 0
	s_branch .LBB24_1456
.LBB24_1455:
	s_mov_b32 s0, -1
	s_mov_b32 s3, 0
.LBB24_1456:
                                        ; implicit-def: $vgpr2
.LBB24_1457:
	s_and_b32 vcc_lo, exec_lo, s6
	s_cbranch_vccz .LBB24_1461
; %bb.1458:
	s_cmp_eq_u32 s10, 44
	s_cbranch_scc0 .LBB24_1460
; %bb.1459:
	global_load_u8 v2, v[0:1], off
	s_mov_b32 s0, 0
	s_mov_b32 s3, -1
	s_wait_loadcnt 0x0
	v_lshlrev_b32_e32 v3, 23, v2
	v_cmp_ne_u32_e32 vcc_lo, 0xff, v2
	s_delay_alu instid0(VALU_DEP_2) | instskip(NEXT) | instid1(VALU_DEP_1)
	v_cvt_f16_f32_e32 v3, v3
	v_cndmask_b32_e32 v3, 0x7e00, v3, vcc_lo
	v_cmp_ne_u32_e32 vcc_lo, 0, v2
	s_delay_alu instid0(VALU_DEP_2)
	v_cndmask_b32_e32 v2, 0, v3, vcc_lo
	s_branch .LBB24_1461
.LBB24_1460:
	s_mov_b32 s0, -1
                                        ; implicit-def: $vgpr2
.LBB24_1461:
	s_mov_b32 s6, 0
.LBB24_1462:
	s_delay_alu instid0(SALU_CYCLE_1)
	s_and_b32 vcc_lo, exec_lo, s6
	s_cbranch_vccz .LBB24_1466
; %bb.1463:
	s_cmp_eq_u32 s10, 29
	s_cbranch_scc0 .LBB24_1465
; %bb.1464:
	global_load_b64 v[2:3], v[0:1], off
	s_mov_b32 s0, 0
	s_mov_b32 s3, -1
	s_mov_b32 s6, 0
	s_wait_loadcnt 0x0
	v_clz_i32_u32_e32 v17, v3
	s_delay_alu instid0(VALU_DEP_1) | instskip(NEXT) | instid1(VALU_DEP_1)
	v_min_u32_e32 v17, 32, v17
	v_lshlrev_b64_e32 v[2:3], v17, v[2:3]
	s_delay_alu instid0(VALU_DEP_1) | instskip(NEXT) | instid1(VALU_DEP_1)
	v_min_u32_e32 v2, 1, v2
	v_dual_sub_nc_u32 v3, 32, v17 :: v_dual_bitop2_b32 v2, v3, v2 bitop3:0x54
	s_delay_alu instid0(VALU_DEP_1) | instskip(NEXT) | instid1(VALU_DEP_1)
	v_cvt_f32_u32_e32 v2, v2
	v_ldexp_f32 v2, v2, v3
	s_delay_alu instid0(VALU_DEP_1)
	v_cvt_f16_f32_e32 v2, v2
	s_branch .LBB24_1467
.LBB24_1465:
	s_mov_b32 s0, -1
                                        ; implicit-def: $vgpr2
.LBB24_1466:
	s_mov_b32 s6, 0
.LBB24_1467:
	s_delay_alu instid0(SALU_CYCLE_1)
	s_and_b32 vcc_lo, exec_lo, s6
	s_cbranch_vccz .LBB24_1485
; %bb.1468:
	s_cmp_lt_i32 s10, 27
	s_cbranch_scc1 .LBB24_1471
; %bb.1469:
	s_cmp_gt_i32 s10, 27
	s_cbranch_scc0 .LBB24_1472
; %bb.1470:
	global_load_b32 v2, v[0:1], off
	s_mov_b32 s3, 0
	s_wait_loadcnt 0x0
	v_cvt_f32_u32_e32 v2, v2
	s_delay_alu instid0(VALU_DEP_1)
	v_cvt_f16_f32_e32 v2, v2
	s_branch .LBB24_1473
.LBB24_1471:
	s_mov_b32 s3, -1
                                        ; implicit-def: $vgpr2
	s_branch .LBB24_1476
.LBB24_1472:
	s_mov_b32 s3, -1
                                        ; implicit-def: $vgpr2
.LBB24_1473:
	s_delay_alu instid0(SALU_CYCLE_1)
	s_and_not1_b32 vcc_lo, exec_lo, s3
	s_cbranch_vccnz .LBB24_1475
; %bb.1474:
	global_load_u16 v2, v[0:1], off
	s_wait_loadcnt 0x0
	v_cvt_f16_u16_e32 v2, v2
.LBB24_1475:
	s_mov_b32 s3, 0
.LBB24_1476:
	s_delay_alu instid0(SALU_CYCLE_1)
	s_and_not1_b32 vcc_lo, exec_lo, s3
	s_cbranch_vccnz .LBB24_1484
; %bb.1477:
	global_load_u8 v3, v[0:1], off
	s_mov_b32 s3, 0
	s_mov_b32 s6, exec_lo
	s_wait_loadcnt 0x0
	v_cmpx_lt_i16_e32 0x7f, v3
	s_xor_b32 s6, exec_lo, s6
	s_cbranch_execz .LBB24_1498
; %bb.1478:
	s_mov_b32 s3, -1
	s_mov_b32 s7, exec_lo
	v_cmpx_eq_u16_e32 0x80, v3
; %bb.1479:
	s_xor_b32 s3, exec_lo, -1
; %bb.1480:
	s_or_b32 exec_lo, exec_lo, s7
	s_delay_alu instid0(SALU_CYCLE_1)
	s_and_b32 s3, s3, exec_lo
	s_or_saveexec_b32 s6, s6
	v_mov_b32_e32 v2, 0x7e00
	s_xor_b32 exec_lo, exec_lo, s6
	s_cbranch_execnz .LBB24_1499
.LBB24_1481:
	s_or_b32 exec_lo, exec_lo, s6
	s_and_saveexec_b32 s6, s3
	s_cbranch_execz .LBB24_1483
.LBB24_1482:
	v_and_b32_e32 v2, 0xffff, v3
	s_delay_alu instid0(VALU_DEP_1) | instskip(SKIP_1) | instid1(VALU_DEP_2)
	v_dual_lshlrev_b32 v3, 24, v3 :: v_dual_bitop2_b32 v17, 7, v2 bitop3:0x40
	v_bfe_u32 v20, v2, 3, 4
	v_and_b32_e32 v3, 0x80000000, v3
	s_delay_alu instid0(VALU_DEP_3) | instskip(NEXT) | instid1(VALU_DEP_3)
	v_clz_i32_u32_e32 v18, v17
	v_cmp_eq_u32_e32 vcc_lo, 0, v20
	s_delay_alu instid0(VALU_DEP_2) | instskip(NEXT) | instid1(VALU_DEP_1)
	v_min_u32_e32 v18, 32, v18
	v_subrev_nc_u32_e32 v19, 28, v18
	v_sub_nc_u32_e32 v18, 29, v18
	s_delay_alu instid0(VALU_DEP_2) | instskip(NEXT) | instid1(VALU_DEP_2)
	v_lshlrev_b32_e32 v2, v19, v2
	v_cndmask_b32_e32 v18, v20, v18, vcc_lo
	s_delay_alu instid0(VALU_DEP_2) | instskip(NEXT) | instid1(VALU_DEP_1)
	v_and_b32_e32 v2, 7, v2
	v_cndmask_b32_e32 v2, v17, v2, vcc_lo
	s_delay_alu instid0(VALU_DEP_3) | instskip(NEXT) | instid1(VALU_DEP_2)
	v_lshl_add_u32 v17, v18, 23, 0x3b800000
	v_lshlrev_b32_e32 v2, 20, v2
	s_delay_alu instid0(VALU_DEP_1) | instskip(NEXT) | instid1(VALU_DEP_1)
	v_or3_b32 v2, v3, v17, v2
	v_cvt_f16_f32_e32 v2, v2
.LBB24_1483:
	s_or_b32 exec_lo, exec_lo, s6
.LBB24_1484:
	s_mov_b32 s3, -1
.LBB24_1485:
	s_mov_b32 s6, 0
.LBB24_1486:
	s_delay_alu instid0(SALU_CYCLE_1)
	s_and_b32 vcc_lo, exec_lo, s6
	s_cbranch_vccz .LBB24_1519
; %bb.1487:
	s_cmp_gt_i32 s10, 22
	s_cbranch_scc0 .LBB24_1497
; %bb.1488:
	s_cmp_lt_i32 s10, 24
	s_cbranch_scc1 .LBB24_1500
; %bb.1489:
	s_cmp_gt_i32 s10, 24
	s_cbranch_scc0 .LBB24_1501
; %bb.1490:
	global_load_u8 v3, v[0:1], off
	s_mov_b32 s3, exec_lo
	s_wait_loadcnt 0x0
	v_cmpx_lt_i16_e32 0x7f, v3
	s_xor_b32 s3, exec_lo, s3
	s_cbranch_execz .LBB24_1513
; %bb.1491:
	s_mov_b32 s1, -1
	s_mov_b32 s6, exec_lo
	v_cmpx_eq_u16_e32 0x80, v3
; %bb.1492:
	s_xor_b32 s1, exec_lo, -1
; %bb.1493:
	s_or_b32 exec_lo, exec_lo, s6
	s_delay_alu instid0(SALU_CYCLE_1)
	s_and_b32 s1, s1, exec_lo
	s_or_saveexec_b32 s3, s3
	v_mov_b32_e32 v2, 0x7e00
	s_xor_b32 exec_lo, exec_lo, s3
	s_cbranch_execnz .LBB24_1514
.LBB24_1494:
	s_or_b32 exec_lo, exec_lo, s3
	s_and_saveexec_b32 s3, s1
	s_cbranch_execz .LBB24_1496
.LBB24_1495:
	v_and_b32_e32 v2, 0xffff, v3
	s_delay_alu instid0(VALU_DEP_1) | instskip(SKIP_1) | instid1(VALU_DEP_2)
	v_dual_lshlrev_b32 v3, 24, v3 :: v_dual_bitop2_b32 v17, 3, v2 bitop3:0x40
	v_bfe_u32 v20, v2, 2, 5
	v_and_b32_e32 v3, 0x80000000, v3
	s_delay_alu instid0(VALU_DEP_3) | instskip(NEXT) | instid1(VALU_DEP_3)
	v_clz_i32_u32_e32 v18, v17
	v_cmp_eq_u32_e32 vcc_lo, 0, v20
	s_delay_alu instid0(VALU_DEP_2) | instskip(NEXT) | instid1(VALU_DEP_1)
	v_min_u32_e32 v18, 32, v18
	v_subrev_nc_u32_e32 v19, 29, v18
	v_sub_nc_u32_e32 v18, 30, v18
	s_delay_alu instid0(VALU_DEP_2) | instskip(NEXT) | instid1(VALU_DEP_2)
	v_lshlrev_b32_e32 v2, v19, v2
	v_cndmask_b32_e32 v18, v20, v18, vcc_lo
	s_delay_alu instid0(VALU_DEP_2) | instskip(NEXT) | instid1(VALU_DEP_1)
	v_and_b32_e32 v2, 3, v2
	v_cndmask_b32_e32 v2, v17, v2, vcc_lo
	s_delay_alu instid0(VALU_DEP_3) | instskip(NEXT) | instid1(VALU_DEP_2)
	v_lshl_add_u32 v17, v18, 23, 0x37800000
	v_lshlrev_b32_e32 v2, 21, v2
	s_delay_alu instid0(VALU_DEP_1) | instskip(NEXT) | instid1(VALU_DEP_1)
	v_or3_b32 v2, v3, v17, v2
	v_cvt_f16_f32_e32 v2, v2
.LBB24_1496:
	s_or_b32 exec_lo, exec_lo, s3
	s_mov_b32 s1, 0
	s_branch .LBB24_1502
.LBB24_1497:
	s_mov_b32 s1, -1
                                        ; implicit-def: $vgpr2
	s_branch .LBB24_1508
.LBB24_1498:
	s_or_saveexec_b32 s6, s6
	v_mov_b32_e32 v2, 0x7e00
	s_xor_b32 exec_lo, exec_lo, s6
	s_cbranch_execz .LBB24_1481
.LBB24_1499:
	v_cmp_ne_u16_e32 vcc_lo, 0, v3
	v_mov_b32_e32 v2, v3
	s_and_not1_b32 s3, s3, exec_lo
	s_and_b32 s7, vcc_lo, exec_lo
	s_delay_alu instid0(SALU_CYCLE_1)
	s_or_b32 s3, s3, s7
	s_or_b32 exec_lo, exec_lo, s6
	s_and_saveexec_b32 s6, s3
	s_cbranch_execnz .LBB24_1482
	s_branch .LBB24_1483
.LBB24_1500:
	s_mov_b32 s1, -1
                                        ; implicit-def: $vgpr2
	s_branch .LBB24_1505
.LBB24_1501:
	s_mov_b32 s1, -1
                                        ; implicit-def: $vgpr2
.LBB24_1502:
	s_delay_alu instid0(SALU_CYCLE_1)
	s_and_b32 vcc_lo, exec_lo, s1
	s_cbranch_vccz .LBB24_1504
; %bb.1503:
	global_load_u8 v2, v[0:1], off
	s_wait_loadcnt 0x0
	v_lshlrev_b32_e32 v2, 24, v2
	s_delay_alu instid0(VALU_DEP_1) | instskip(NEXT) | instid1(VALU_DEP_1)
	v_and_b32_e32 v3, 0x7f000000, v2
	v_clz_i32_u32_e32 v17, v3
	v_add_nc_u32_e32 v19, 0x1000000, v3
	v_cmp_ne_u32_e32 vcc_lo, 0, v3
	s_delay_alu instid0(VALU_DEP_3) | instskip(NEXT) | instid1(VALU_DEP_1)
	v_min_u32_e32 v17, 32, v17
	v_sub_nc_u32_e64 v17, v17, 4 clamp
	s_delay_alu instid0(VALU_DEP_1) | instskip(NEXT) | instid1(VALU_DEP_1)
	v_dual_lshlrev_b32 v18, v17, v3 :: v_dual_lshlrev_b32 v17, 23, v17
	v_lshrrev_b32_e32 v18, 4, v18
	s_delay_alu instid0(VALU_DEP_1) | instskip(NEXT) | instid1(VALU_DEP_1)
	v_dual_sub_nc_u32 v17, v18, v17 :: v_dual_ashrrev_i32 v18, 8, v19
	v_add_nc_u32_e32 v17, 0x3c000000, v17
	s_delay_alu instid0(VALU_DEP_1) | instskip(NEXT) | instid1(VALU_DEP_1)
	v_and_or_b32 v17, 0x7f800000, v18, v17
	v_cndmask_b32_e32 v3, 0, v17, vcc_lo
	s_delay_alu instid0(VALU_DEP_1) | instskip(NEXT) | instid1(VALU_DEP_1)
	v_and_or_b32 v2, 0x80000000, v2, v3
	v_cvt_f16_f32_e32 v2, v2
.LBB24_1504:
	s_mov_b32 s1, 0
.LBB24_1505:
	s_delay_alu instid0(SALU_CYCLE_1)
	s_and_not1_b32 vcc_lo, exec_lo, s1
	s_cbranch_vccnz .LBB24_1507
; %bb.1506:
	global_load_u8 v2, v[0:1], off
	s_wait_loadcnt 0x0
	v_lshlrev_b32_e32 v3, 25, v2
	v_lshlrev_b16 v2, 8, v2
	s_delay_alu instid0(VALU_DEP_2) | instskip(NEXT) | instid1(VALU_DEP_2)
	v_cmp_gt_u32_e32 vcc_lo, 0x8000000, v3
	v_and_or_b32 v18, 0x7f00, v2, 0.5
	v_lshrrev_b32_e32 v17, 4, v3
	v_bfe_i32 v2, v2, 0, 16
	s_delay_alu instid0(VALU_DEP_3) | instskip(NEXT) | instid1(VALU_DEP_3)
	v_add_f32_e32 v18, -0.5, v18
	v_or_b32_e32 v17, 0x70000000, v17
	s_delay_alu instid0(VALU_DEP_1) | instskip(NEXT) | instid1(VALU_DEP_1)
	v_mul_f32_e32 v17, 0x7800000, v17
	v_cndmask_b32_e32 v3, v17, v18, vcc_lo
	s_delay_alu instid0(VALU_DEP_1) | instskip(NEXT) | instid1(VALU_DEP_1)
	v_and_or_b32 v2, 0x80000000, v2, v3
	v_cvt_f16_f32_e32 v2, v2
.LBB24_1507:
	s_mov_b32 s1, 0
	s_mov_b32 s3, -1
.LBB24_1508:
	s_and_not1_b32 vcc_lo, exec_lo, s1
	s_mov_b32 s1, 0
	s_cbranch_vccnz .LBB24_1519
; %bb.1509:
	s_cmp_gt_i32 s10, 14
	s_cbranch_scc0 .LBB24_1512
; %bb.1510:
	s_cmp_eq_u32 s10, 15
	s_cbranch_scc0 .LBB24_1515
; %bb.1511:
	global_load_u16 v2, v[0:1], off
	s_mov_b32 s0, 0
	s_mov_b32 s3, -1
	s_wait_loadcnt 0x0
	v_lshlrev_b32_e32 v2, 16, v2
	s_delay_alu instid0(VALU_DEP_1)
	v_cvt_f16_f32_e32 v2, v2
	s_branch .LBB24_1517
.LBB24_1512:
	s_mov_b32 s1, -1
	s_branch .LBB24_1516
.LBB24_1513:
	s_or_saveexec_b32 s3, s3
	v_mov_b32_e32 v2, 0x7e00
	s_xor_b32 exec_lo, exec_lo, s3
	s_cbranch_execz .LBB24_1494
.LBB24_1514:
	v_cmp_ne_u16_e32 vcc_lo, 0, v3
	v_mov_b32_e32 v2, v3
	s_and_not1_b32 s1, s1, exec_lo
	s_and_b32 s6, vcc_lo, exec_lo
	s_delay_alu instid0(SALU_CYCLE_1)
	s_or_b32 s1, s1, s6
	s_or_b32 exec_lo, exec_lo, s3
	s_and_saveexec_b32 s3, s1
	s_cbranch_execnz .LBB24_1495
	s_branch .LBB24_1496
.LBB24_1515:
	s_mov_b32 s0, -1
.LBB24_1516:
                                        ; implicit-def: $vgpr2
.LBB24_1517:
	s_and_b32 vcc_lo, exec_lo, s1
	s_mov_b32 s1, 0
	s_cbranch_vccz .LBB24_1519
; %bb.1518:
	s_cmp_lg_u32 s10, 11
	s_mov_b32 s1, -1
	s_cselect_b32 s0, -1, 0
.LBB24_1519:
	s_delay_alu instid0(SALU_CYCLE_1)
	s_and_b32 vcc_lo, exec_lo, s0
	s_cbranch_vccnz .LBB24_2052
; %bb.1520:
	s_and_not1_b32 vcc_lo, exec_lo, s1
	s_cbranch_vccnz .LBB24_1522
.LBB24_1521:
	global_load_u8 v2, v[0:1], off
	s_mov_b32 s3, -1
	s_wait_loadcnt 0x0
	v_cmp_ne_u16_e32 vcc_lo, 0, v2
	v_cndmask_b32_e64 v2, 0, 0x3c00, vcc_lo
.LBB24_1522:
	s_mov_b32 s0, 0
.LBB24_1523:
	s_delay_alu instid0(SALU_CYCLE_1)
	s_and_b32 vcc_lo, exec_lo, s0
	s_cbranch_vccz .LBB24_1572
; %bb.1524:
	s_cmp_lt_i32 s10, 5
	s_cbranch_scc1 .LBB24_1529
; %bb.1525:
	s_cmp_lt_i32 s10, 8
	s_cbranch_scc1 .LBB24_1530
	;; [unrolled: 3-line block ×3, first 2 shown]
; %bb.1527:
	s_cmp_gt_i32 s10, 9
	s_cbranch_scc0 .LBB24_1532
; %bb.1528:
	global_load_b64 v[2:3], v[0:1], off
	s_mov_b32 s0, 0
	s_wait_loadcnt 0x0
	v_and_or_b32 v2, 0x1ff, v3, v2
	v_lshrrev_b32_e32 v17, 8, v3
	v_bfe_u32 v18, v3, 20, 11
	v_lshrrev_b32_e32 v3, 16, v3
	s_delay_alu instid0(VALU_DEP_4) | instskip(NEXT) | instid1(VALU_DEP_3)
	v_cmp_ne_u32_e32 vcc_lo, 0, v2
	v_sub_nc_u32_e32 v19, 0x3f1, v18
	v_add_nc_u32_e32 v18, 0xfffffc10, v18
	v_cndmask_b32_e64 v2, 0, 1, vcc_lo
	s_delay_alu instid0(VALU_DEP_1) | instskip(NEXT) | instid1(VALU_DEP_4)
	v_and_or_b32 v2, 0xffe, v17, v2
	v_med3_i32 v17, v19, 0, 13
	s_delay_alu instid0(VALU_DEP_2) | instskip(NEXT) | instid1(VALU_DEP_1)
	v_or_b32_e32 v19, 0x1000, v2
	v_lshrrev_b32_e32 v20, v17, v19
	s_delay_alu instid0(VALU_DEP_1) | instskip(NEXT) | instid1(VALU_DEP_1)
	v_lshlrev_b32_e32 v17, v17, v20
	v_cmp_ne_u32_e32 vcc_lo, v17, v19
	v_lshl_or_b32 v19, v18, 12, v2
	v_cndmask_b32_e64 v17, 0, 1, vcc_lo
	v_cmp_gt_i32_e32 vcc_lo, 1, v18
	s_delay_alu instid0(VALU_DEP_2) | instskip(NEXT) | instid1(VALU_DEP_1)
	v_or_b32_e32 v17, v20, v17
	v_cndmask_b32_e32 v17, v19, v17, vcc_lo
	s_delay_alu instid0(VALU_DEP_1) | instskip(NEXT) | instid1(VALU_DEP_1)
	v_dual_lshrrev_b32 v17, 2, v17 :: v_dual_bitop2_b32 v19, 7, v17 bitop3:0x40
	v_cmp_lt_i32_e32 vcc_lo, 5, v19
	v_cndmask_b32_e64 v20, 0, 1, vcc_lo
	v_cmp_eq_u32_e32 vcc_lo, 3, v19
	v_cndmask_b32_e64 v19, 0, 1, vcc_lo
	v_cmp_ne_u32_e32 vcc_lo, 0, v2
	s_delay_alu instid0(VALU_DEP_2) | instskip(NEXT) | instid1(VALU_DEP_1)
	v_or_b32_e32 v19, v19, v20
	v_dual_mov_b32 v20, 0x7e00 :: v_dual_add_nc_u32 v17, v17, v19
	s_delay_alu instid0(VALU_DEP_1) | instskip(SKIP_1) | instid1(VALU_DEP_3)
	v_cndmask_b32_e32 v2, 0x7c00, v20, vcc_lo
	v_cmp_gt_i32_e32 vcc_lo, 31, v18
	v_cndmask_b32_e32 v17, 0x7c00, v17, vcc_lo
	v_cmp_eq_u32_e32 vcc_lo, 0x40f, v18
	s_delay_alu instid0(VALU_DEP_2) | instskip(NEXT) | instid1(VALU_DEP_1)
	v_cndmask_b32_e32 v2, v17, v2, vcc_lo
	v_and_or_b32 v2, 0x8000, v3, v2
	s_branch .LBB24_1533
.LBB24_1529:
	s_mov_b32 s0, -1
                                        ; implicit-def: $vgpr2
	s_branch .LBB24_1551
.LBB24_1530:
	s_mov_b32 s0, -1
                                        ; implicit-def: $vgpr2
	s_branch .LBB24_1539
.LBB24_1531:
	s_mov_b32 s0, -1
                                        ; implicit-def: $vgpr2
	s_branch .LBB24_1536
.LBB24_1532:
	s_mov_b32 s0, -1
                                        ; implicit-def: $vgpr2
.LBB24_1533:
	s_delay_alu instid0(SALU_CYCLE_1)
	s_and_not1_b32 vcc_lo, exec_lo, s0
	s_cbranch_vccnz .LBB24_1535
; %bb.1534:
	global_load_b32 v2, v[0:1], off
	s_wait_loadcnt 0x0
	v_cvt_f16_f32_e32 v2, v2
.LBB24_1535:
	s_mov_b32 s0, 0
.LBB24_1536:
	s_delay_alu instid0(SALU_CYCLE_1)
	s_and_not1_b32 vcc_lo, exec_lo, s0
	s_cbranch_vccnz .LBB24_1538
; %bb.1537:
	global_load_b32 v2, v[0:1], off
.LBB24_1538:
	s_mov_b32 s0, 0
.LBB24_1539:
	s_delay_alu instid0(SALU_CYCLE_1)
	s_and_not1_b32 vcc_lo, exec_lo, s0
	s_cbranch_vccnz .LBB24_1550
; %bb.1540:
	s_cmp_lt_i32 s10, 6
	s_cbranch_scc1 .LBB24_1543
; %bb.1541:
	s_cmp_gt_i32 s10, 6
	s_cbranch_scc0 .LBB24_1544
; %bb.1542:
	s_wait_loadcnt 0x0
	global_load_b64 v[2:3], v[0:1], off
	s_mov_b32 s0, 0
	s_wait_loadcnt 0x0
	v_and_or_b32 v2, 0x1ff, v3, v2
	v_lshrrev_b32_e32 v17, 8, v3
	v_bfe_u32 v18, v3, 20, 11
	v_lshrrev_b32_e32 v3, 16, v3
	s_delay_alu instid0(VALU_DEP_4) | instskip(NEXT) | instid1(VALU_DEP_3)
	v_cmp_ne_u32_e32 vcc_lo, 0, v2
	v_sub_nc_u32_e32 v19, 0x3f1, v18
	v_add_nc_u32_e32 v18, 0xfffffc10, v18
	v_cndmask_b32_e64 v2, 0, 1, vcc_lo
	s_delay_alu instid0(VALU_DEP_1) | instskip(NEXT) | instid1(VALU_DEP_4)
	v_and_or_b32 v2, 0xffe, v17, v2
	v_med3_i32 v17, v19, 0, 13
	s_delay_alu instid0(VALU_DEP_2) | instskip(NEXT) | instid1(VALU_DEP_1)
	v_or_b32_e32 v19, 0x1000, v2
	v_lshrrev_b32_e32 v20, v17, v19
	s_delay_alu instid0(VALU_DEP_1) | instskip(NEXT) | instid1(VALU_DEP_1)
	v_lshlrev_b32_e32 v17, v17, v20
	v_cmp_ne_u32_e32 vcc_lo, v17, v19
	v_lshl_or_b32 v19, v18, 12, v2
	v_cndmask_b32_e64 v17, 0, 1, vcc_lo
	v_cmp_gt_i32_e32 vcc_lo, 1, v18
	s_delay_alu instid0(VALU_DEP_2) | instskip(NEXT) | instid1(VALU_DEP_1)
	v_or_b32_e32 v17, v20, v17
	v_cndmask_b32_e32 v17, v19, v17, vcc_lo
	s_delay_alu instid0(VALU_DEP_1) | instskip(NEXT) | instid1(VALU_DEP_1)
	v_dual_lshrrev_b32 v17, 2, v17 :: v_dual_bitop2_b32 v19, 7, v17 bitop3:0x40
	v_cmp_lt_i32_e32 vcc_lo, 5, v19
	v_cndmask_b32_e64 v20, 0, 1, vcc_lo
	v_cmp_eq_u32_e32 vcc_lo, 3, v19
	v_cndmask_b32_e64 v19, 0, 1, vcc_lo
	v_cmp_ne_u32_e32 vcc_lo, 0, v2
	s_delay_alu instid0(VALU_DEP_2) | instskip(NEXT) | instid1(VALU_DEP_1)
	v_or_b32_e32 v19, v19, v20
	v_dual_mov_b32 v20, 0x7e00 :: v_dual_add_nc_u32 v17, v17, v19
	s_delay_alu instid0(VALU_DEP_1) | instskip(SKIP_1) | instid1(VALU_DEP_3)
	v_cndmask_b32_e32 v2, 0x7c00, v20, vcc_lo
	v_cmp_gt_i32_e32 vcc_lo, 31, v18
	v_cndmask_b32_e32 v17, 0x7c00, v17, vcc_lo
	v_cmp_eq_u32_e32 vcc_lo, 0x40f, v18
	s_delay_alu instid0(VALU_DEP_2) | instskip(NEXT) | instid1(VALU_DEP_1)
	v_cndmask_b32_e32 v2, v17, v2, vcc_lo
	v_and_or_b32 v2, 0x8000, v3, v2
	s_branch .LBB24_1545
.LBB24_1543:
	s_mov_b32 s0, -1
                                        ; implicit-def: $vgpr2
	s_branch .LBB24_1548
.LBB24_1544:
	s_mov_b32 s0, -1
                                        ; implicit-def: $vgpr2
.LBB24_1545:
	s_delay_alu instid0(SALU_CYCLE_1)
	s_and_not1_b32 vcc_lo, exec_lo, s0
	s_cbranch_vccnz .LBB24_1547
; %bb.1546:
	s_wait_loadcnt 0x0
	global_load_b32 v2, v[0:1], off
	s_wait_loadcnt 0x0
	v_cvt_f16_f32_e32 v2, v2
.LBB24_1547:
	s_mov_b32 s0, 0
.LBB24_1548:
	s_delay_alu instid0(SALU_CYCLE_1)
	s_and_not1_b32 vcc_lo, exec_lo, s0
	s_cbranch_vccnz .LBB24_1550
; %bb.1549:
	s_wait_loadcnt 0x0
	global_load_u16 v2, v[0:1], off
.LBB24_1550:
	s_mov_b32 s0, 0
.LBB24_1551:
	s_delay_alu instid0(SALU_CYCLE_1)
	s_and_not1_b32 vcc_lo, exec_lo, s0
	s_cbranch_vccnz .LBB24_1571
; %bb.1552:
	s_cmp_lt_i32 s10, 2
	s_cbranch_scc1 .LBB24_1556
; %bb.1553:
	s_cmp_lt_i32 s10, 3
	s_cbranch_scc1 .LBB24_1557
; %bb.1554:
	s_cmp_gt_i32 s10, 3
	s_cbranch_scc0 .LBB24_1558
; %bb.1555:
	s_wait_loadcnt 0x0
	global_load_b64 v[2:3], v[0:1], off
	s_mov_b32 s0, 0
	s_wait_loadcnt 0x0
	v_xor_b32_e32 v17, v2, v3
	v_cls_i32_e32 v18, v3
	s_delay_alu instid0(VALU_DEP_2) | instskip(NEXT) | instid1(VALU_DEP_1)
	v_ashrrev_i32_e32 v17, 31, v17
	v_add_nc_u32_e32 v17, 32, v17
	s_delay_alu instid0(VALU_DEP_1) | instskip(NEXT) | instid1(VALU_DEP_1)
	v_add_min_u32_e64 v17, v18, -1, v17
	v_lshlrev_b64_e32 v[2:3], v17, v[2:3]
	s_delay_alu instid0(VALU_DEP_1) | instskip(NEXT) | instid1(VALU_DEP_1)
	v_min_u32_e32 v2, 1, v2
	v_dual_sub_nc_u32 v3, 32, v17 :: v_dual_bitop2_b32 v2, v3, v2 bitop3:0x54
	s_delay_alu instid0(VALU_DEP_1) | instskip(NEXT) | instid1(VALU_DEP_1)
	v_cvt_f32_i32_e32 v2, v2
	v_ldexp_f32 v2, v2, v3
	s_delay_alu instid0(VALU_DEP_1)
	v_cvt_f16_f32_e32 v2, v2
	s_branch .LBB24_1559
.LBB24_1556:
	s_mov_b32 s0, -1
                                        ; implicit-def: $vgpr2
	s_branch .LBB24_1565
.LBB24_1557:
	s_mov_b32 s0, -1
                                        ; implicit-def: $vgpr2
	s_branch .LBB24_1562
.LBB24_1558:
	s_mov_b32 s0, -1
                                        ; implicit-def: $vgpr2
.LBB24_1559:
	s_delay_alu instid0(SALU_CYCLE_1)
	s_and_not1_b32 vcc_lo, exec_lo, s0
	s_cbranch_vccnz .LBB24_1561
; %bb.1560:
	s_wait_loadcnt 0x0
	global_load_b32 v2, v[0:1], off
	s_wait_loadcnt 0x0
	v_cvt_f32_i32_e32 v2, v2
	s_delay_alu instid0(VALU_DEP_1)
	v_cvt_f16_f32_e32 v2, v2
.LBB24_1561:
	s_mov_b32 s0, 0
.LBB24_1562:
	s_delay_alu instid0(SALU_CYCLE_1)
	s_and_not1_b32 vcc_lo, exec_lo, s0
	s_cbranch_vccnz .LBB24_1564
; %bb.1563:
	s_wait_loadcnt 0x0
	global_load_u16 v2, v[0:1], off
	s_wait_loadcnt 0x0
	v_cvt_f16_i16_e32 v2, v2
.LBB24_1564:
	s_mov_b32 s0, 0
.LBB24_1565:
	s_delay_alu instid0(SALU_CYCLE_1)
	s_and_not1_b32 vcc_lo, exec_lo, s0
	s_cbranch_vccnz .LBB24_1571
; %bb.1566:
	s_cmp_gt_i32 s10, 0
	s_mov_b32 s0, 0
	s_cbranch_scc0 .LBB24_1568
; %bb.1567:
	s_wait_loadcnt 0x0
	global_load_i8 v2, v[0:1], off
	s_wait_loadcnt 0x0
	v_cvt_f16_i16_e32 v2, v2
	s_branch .LBB24_1569
.LBB24_1568:
	s_mov_b32 s0, -1
                                        ; implicit-def: $vgpr2
.LBB24_1569:
	s_delay_alu instid0(SALU_CYCLE_1)
	s_and_not1_b32 vcc_lo, exec_lo, s0
	s_cbranch_vccnz .LBB24_1571
; %bb.1570:
	global_load_u8 v0, v[0:1], off
	s_wait_loadcnt 0x0
	v_cvt_f16_u16_e32 v2, v0
.LBB24_1571:
	s_mov_b32 s3, -1
.LBB24_1572:
	s_delay_alu instid0(SALU_CYCLE_1)
	s_and_not1_b32 vcc_lo, exec_lo, s3
	s_cbranch_vccnz .LBB24_2007
; %bb.1573:
	s_wait_loadcnt 0x0
	v_cvt_f32_f16_e32 v17, v2
                                        ; implicit-def: $vgpr20
                                        ; implicit-def: $vgpr19
	s_mov_b32 s1, exec_lo
	s_delay_alu instid0(VALU_DEP_1)
	v_and_b32_e32 v18, 0x7fffffff, v17
	s_wait_xcnt 0x0
	v_cmpx_ngt_f32_e64 0x48000000, |v17|
	s_xor_b32 s3, exec_lo, s1
	s_cbranch_execz .LBB24_1575
; %bb.1574:
	s_mov_b32 s0, 0x7fffff
	v_mov_b32_e32 v1, 0
	v_and_or_b32 v0, v18, s0, 0x800000
	s_mov_b64 s[0:1], 0xfe5163ab
	s_delay_alu instid0(VALU_DEP_1) | instid1(SALU_CYCLE_1)
	v_mul_u64_e32 v[2:3], s[0:1], v[0:1]
	s_delay_alu instid0(VALU_DEP_1) | instskip(SKIP_2) | instid1(VALU_DEP_3)
	v_dual_mov_b32 v20, v3 :: v_dual_mov_b32 v21, v1
	v_dual_mov_b32 v23, v1 :: v_dual_mov_b32 v25, v1
	v_dual_mov_b32 v27, v1 :: v_dual_lshrrev_b32 v3, 23, v18
	v_mad_nc_u64_u32 v[20:21], 0x3c439041, v0, v[20:21]
	s_delay_alu instid0(VALU_DEP_1) | instskip(NEXT) | instid1(VALU_DEP_1)
	v_dual_mov_b32 v31, v1 :: v_dual_mov_b32 v22, v21
	v_mad_nc_u64_u32 v[22:23], 0xdb629599, v0, v[22:23]
	s_delay_alu instid0(VALU_DEP_1) | instskip(NEXT) | instid1(VALU_DEP_1)
	v_mov_b32_e32 v24, v23
	v_mad_nc_u64_u32 v[24:25], 0xf534ddc0, v0, v[24:25]
	s_delay_alu instid0(VALU_DEP_1) | instskip(NEXT) | instid1(VALU_DEP_1)
	v_mov_b32_e32 v26, v25
	v_mad_nc_u64_u32 v[26:27], 0xfc2757d1, v0, v[26:27]
	s_delay_alu instid0(VALU_DEP_1) | instskip(NEXT) | instid1(VALU_DEP_1)
	v_dual_mov_b32 v29, v1 :: v_dual_mov_b32 v28, v27
	v_mad_nc_u64_u32 v[28:29], 0x4e441529, v0, v[28:29]
	s_delay_alu instid0(VALU_DEP_1) | instskip(NEXT) | instid1(VALU_DEP_1)
	v_dual_mov_b32 v30, v29 :: v_dual_add_nc_u32 v3, 0xffffff88, v3
	v_cmp_lt_u32_e32 vcc_lo, 63, v3
	s_delay_alu instid0(VALU_DEP_2) | instskip(SKIP_2) | instid1(VALU_DEP_2)
	v_mad_nc_u64_u32 v[0:1], 0xa2f9836e, v0, v[30:31]
	v_cndmask_b32_e64 v19, 0, 0xffffffc0, vcc_lo
	v_dual_cndmask_b32 v21, v28, v24 :: v_dual_cndmask_b32 v2, v22, v2
	v_add_nc_u32_e32 v3, v19, v3
	s_delay_alu instid0(VALU_DEP_1) | instskip(SKIP_1) | instid1(VALU_DEP_2)
	v_cmp_lt_u32_e64 s0, 31, v3
	v_dual_cndmask_b32 v0, v0, v26 :: v_dual_cndmask_b32 v1, v1, v28
	v_cndmask_b32_e64 v19, 0, 0xffffffe0, s0
	s_delay_alu instid0(VALU_DEP_1) | instskip(NEXT) | instid1(VALU_DEP_1)
	v_add_nc_u32_e32 v3, v19, v3
	v_cmp_lt_u32_e64 s1, 31, v3
	s_delay_alu instid0(VALU_DEP_1) | instskip(NEXT) | instid1(VALU_DEP_1)
	v_cndmask_b32_e64 v19, 0, 0xffffffe0, s1
	v_dual_cndmask_b32 v23, v26, v22, vcc_lo :: v_dual_add_nc_u32 v3, v19, v3
	v_cndmask_b32_e32 v19, v24, v20, vcc_lo
	v_dual_cndmask_b32 v20, v0, v21, s0 :: v_dual_cndmask_b32 v0, v1, v0, s0
	s_delay_alu instid0(VALU_DEP_3) | instskip(NEXT) | instid1(VALU_DEP_4)
	v_cndmask_b32_e64 v1, v21, v23, s0
	v_sub_nc_u32_e32 v21, 32, v3
	s_delay_alu instid0(VALU_DEP_4) | instskip(SKIP_3) | instid1(VALU_DEP_4)
	v_cndmask_b32_e64 v23, v23, v19, s0
	v_cmp_eq_u32_e32 vcc_lo, 0, v3
	v_cndmask_b32_e64 v0, v0, v20, s1
	v_dual_cndmask_b32 v20, v20, v1, s1 :: v_dual_cndmask_b32 v2, v19, v2, s0
	v_cndmask_b32_e64 v1, v1, v23, s1
	s_delay_alu instid0(VALU_DEP_2) | instskip(NEXT) | instid1(VALU_DEP_3)
	v_alignbit_b32 v24, v0, v20, v21
	v_cndmask_b32_e64 v2, v23, v2, s1
	s_delay_alu instid0(VALU_DEP_3) | instskip(NEXT) | instid1(VALU_DEP_3)
	v_alignbit_b32 v22, v20, v1, v21
	v_cndmask_b32_e32 v0, v24, v0, vcc_lo
	s_delay_alu instid0(VALU_DEP_3) | instskip(NEXT) | instid1(VALU_DEP_3)
	v_alignbit_b32 v21, v1, v2, v21
	v_cndmask_b32_e32 v3, v22, v20, vcc_lo
	s_delay_alu instid0(VALU_DEP_3) | instskip(NEXT) | instid1(VALU_DEP_3)
	v_bfe_u32 v20, v0, 29, 1
	v_cndmask_b32_e32 v1, v21, v1, vcc_lo
	s_delay_alu instid0(VALU_DEP_3) | instskip(NEXT) | instid1(VALU_DEP_3)
	v_alignbit_b32 v19, v0, v3, 30
	v_sub_nc_u32_e32 v22, 0, v20
	s_delay_alu instid0(VALU_DEP_3) | instskip(SKIP_1) | instid1(VALU_DEP_3)
	v_alignbit_b32 v3, v3, v1, 30
	v_alignbit_b32 v1, v1, v2, 30
	v_xor_b32_e32 v19, v19, v22
	s_delay_alu instid0(VALU_DEP_3) | instskip(NEXT) | instid1(VALU_DEP_3)
	v_xor_b32_e32 v2, v3, v22
	v_dual_lshrrev_b32 v22, 29, v0 :: v_dual_bitop2_b32 v1, v1, v22 bitop3:0x14
	v_lshrrev_b32_e32 v0, 30, v0
	s_delay_alu instid0(VALU_DEP_4) | instskip(NEXT) | instid1(VALU_DEP_2)
	v_clz_i32_u32_e32 v21, v19
	v_add_nc_u32_e32 v20, v20, v0
	s_delay_alu instid0(VALU_DEP_2) | instskip(NEXT) | instid1(VALU_DEP_1)
	v_min_u32_e32 v21, 32, v21
	v_dual_sub_nc_u32 v3, 31, v21 :: v_dual_lshlrev_b32 v23, 23, v21
	s_delay_alu instid0(VALU_DEP_1) | instskip(SKIP_2) | instid1(VALU_DEP_2)
	v_alignbit_b32 v19, v19, v2, v3
	v_alignbit_b32 v1, v2, v1, v3
	v_lshlrev_b32_e32 v2, 31, v22
	v_alignbit_b32 v3, v19, v1, 9
	s_delay_alu instid0(VALU_DEP_2) | instskip(SKIP_1) | instid1(VALU_DEP_3)
	v_or_b32_e32 v22, 0.5, v2
	v_or_b32_e32 v2, 0x33000000, v2
	v_clz_i32_u32_e32 v24, v3
	s_delay_alu instid0(VALU_DEP_3) | instskip(NEXT) | instid1(VALU_DEP_2)
	v_sub_nc_u32_e32 v22, v22, v23
	v_min_u32_e32 v23, 32, v24
	s_delay_alu instid0(VALU_DEP_1) | instskip(NEXT) | instid1(VALU_DEP_1)
	v_add_lshl_u32 v21, v23, v21, 23
	v_dual_lshrrev_b32 v19, 9, v19 :: v_dual_sub_nc_u32 v2, v2, v21
	s_delay_alu instid0(VALU_DEP_1) | instskip(SKIP_1) | instid1(VALU_DEP_1)
	v_or_b32_e32 v19, v19, v22
	v_not_b32_e32 v22, v23
	v_alignbit_b32 v1, v3, v1, v22
	s_delay_alu instid0(VALU_DEP_1) | instskip(NEXT) | instid1(VALU_DEP_1)
	v_lshrrev_b32_e32 v1, 9, v1
	v_or_b32_e32 v1, v2, v1
	v_mul_f32_e32 v24, 0x3fc90fda, v19
	s_delay_alu instid0(VALU_DEP_1) | instskip(NEXT) | instid1(VALU_DEP_1)
	v_fma_f32 v3, 0x3fc90fda, v19, -v24
	v_fmamk_f32 v3, v19, 0x33a22168, v3
	s_delay_alu instid0(VALU_DEP_1) | instskip(NEXT) | instid1(VALU_DEP_1)
	v_fmac_f32_e32 v3, 0x3fc90fda, v1
	v_add_f32_e32 v19, v24, v3
.LBB24_1575:
	s_and_not1_saveexec_b32 s0, s3
; %bb.1576:
	v_mul_f32_e64 v0, 0x3f22f983, |v17|
	s_delay_alu instid0(VALU_DEP_1) | instskip(NEXT) | instid1(VALU_DEP_1)
	v_rndne_f32_e32 v0, v0
	v_fma_f32 v1, 0xbfc90fda, v0, |v17|
	v_cvt_i32_f32_e32 v20, v0
	s_delay_alu instid0(VALU_DEP_2) | instskip(NEXT) | instid1(VALU_DEP_1)
	v_fmamk_f32 v1, v0, 0xb3a22168, v1
	v_fmamk_f32 v19, v0, 0xa7c234c4, v1
; %bb.1577:
	s_or_b32 exec_lo, exec_lo, s0
	v_dual_mul_f32 v0, v7, v7 :: v_dual_bitop2_b32 v3, 1, v8 bitop3:0x40
	s_mov_b32 s0, 0xb94c1982
	s_mov_b32 s1, 0x37d75334
	;; [unrolled: 1-line block ×3, first 2 shown]
	s_delay_alu instid0(VALU_DEP_1) | instskip(SKIP_2) | instid1(VALU_DEP_2)
	v_fmaak_f32 v1, s0, v0, 0x3c0881c4
	v_cmp_eq_u32_e32 vcc_lo, 0, v3
	s_mov_b32 s0, -1
	v_dual_fmaak_f32 v1, v0, v1, 0xbe2aaa9d :: v_dual_lshlrev_b32 v8, 30, v8
	v_fmaak_f32 v2, s1, v0, 0xbab64f3b
	s_and_b32 s1, s8, 0xff
	s_delay_alu instid0(SALU_CYCLE_1) | instskip(NEXT) | instid1(VALU_DEP_1)
	s_cmp_lt_i32 s1, 11
	v_dual_mul_f32 v1, v0, v1 :: v_dual_fmaak_f32 v2, v0, v2, 0x3d2aabf7
	s_delay_alu instid0(VALU_DEP_1) | instskip(NEXT) | instid1(VALU_DEP_1)
	v_dual_fmac_f32 v7, v7, v1 :: v_dual_fmaak_f32 v2, v0, v2, 0xbf000004
	v_fma_f32 v1, v0, v2, 1.0
	v_mul_lo_u32 v0, s2, v4
	v_xor_b32_e32 v2, v6, v5
	v_and_b32_e32 v4, 0x80000000, v8
	s_delay_alu instid0(VALU_DEP_4) | instskip(SKIP_1) | instid1(VALU_DEP_2)
	v_cndmask_b32_e32 v1, v1, v7, vcc_lo
	v_cmp_class_f32_e64 vcc_lo, v5, 0x1f8
	v_xor3_b32 v2, v2, v4, v1
	s_delay_alu instid0(VALU_DEP_1) | instskip(NEXT) | instid1(VALU_DEP_1)
	v_dual_cndmask_b32 v4, 0x7fc00000, v2 :: v_dual_ashrrev_i32 v1, 31, v0
	v_add_nc_u64_e32 v[2:3], s[4:5], v[0:1]
	s_delay_alu instid0(VALU_DEP_2)
	v_cvt_f16_f32_e32 v1, v4
	s_cbranch_scc1 .LBB24_1656
; %bb.1578:
	s_and_b32 s3, 0xffff, s1
	s_mov_b32 s8, -1
	s_mov_b32 s6, 0
	s_cmp_gt_i32 s3, 25
	s_mov_b32 s0, 0
	s_cbranch_scc0 .LBB24_1611
; %bb.1579:
	s_cmp_gt_i32 s3, 28
	s_cbranch_scc0 .LBB24_1594
; %bb.1580:
	s_cmp_gt_i32 s3, 43
	;; [unrolled: 3-line block ×3, first 2 shown]
	s_cbranch_scc0 .LBB24_1584
; %bb.1582:
	s_mov_b32 s0, -1
	s_mov_b32 s8, 0
	s_cmp_eq_u32 s3, 46
	s_cbranch_scc0 .LBB24_1584
; %bb.1583:
	v_cvt_f32_f16_e32 v4, v1
	v_cmp_o_f16_e32 vcc_lo, v1, v1
	s_mov_b32 s0, 0
	s_mov_b32 s7, -1
	s_delay_alu instid0(VALU_DEP_2) | instskip(NEXT) | instid1(VALU_DEP_1)
	v_bfe_u32 v5, v4, 16, 1
	v_add3_u32 v4, v4, v5, 0x7fff
	s_delay_alu instid0(VALU_DEP_1) | instskip(NEXT) | instid1(VALU_DEP_1)
	v_lshrrev_b32_e32 v4, 16, v4
	v_cndmask_b32_e32 v4, 0x7fc0, v4, vcc_lo
	global_store_b32 v[2:3], v4, off
.LBB24_1584:
	s_and_b32 vcc_lo, exec_lo, s8
	s_cbranch_vccz .LBB24_1589
; %bb.1585:
	s_cmp_eq_u32 s3, 44
	s_mov_b32 s0, -1
	s_cbranch_scc0 .LBB24_1589
; %bb.1586:
	s_wait_xcnt 0x0
	v_cvt_f32_f16_e32 v4, v1
	v_mov_b32_e32 v5, 0xff
	s_mov_b32 s7, exec_lo
	s_delay_alu instid0(VALU_DEP_2) | instskip(NEXT) | instid1(VALU_DEP_1)
	v_bfe_u32 v6, v4, 23, 8
	v_cmpx_ne_u32_e32 0xff, v6
	s_cbranch_execz .LBB24_1588
; %bb.1587:
	v_and_b32_e32 v5, 0x400000, v4
	v_and_or_b32 v6, 0x3fffff, v4, v6
	v_lshrrev_b32_e32 v4, 23, v4
	s_delay_alu instid0(VALU_DEP_3) | instskip(NEXT) | instid1(VALU_DEP_3)
	v_cmp_ne_u32_e32 vcc_lo, 0, v5
	v_cmp_ne_u32_e64 s0, 0, v6
	s_and_b32 s0, vcc_lo, s0
	s_delay_alu instid0(SALU_CYCLE_1) | instskip(NEXT) | instid1(VALU_DEP_1)
	v_cndmask_b32_e64 v5, 0, 1, s0
	v_add_nc_u32_e32 v5, v4, v5
.LBB24_1588:
	s_or_b32 exec_lo, exec_lo, s7
	s_mov_b32 s0, 0
	s_mov_b32 s7, -1
	global_store_b8 v[2:3], v5, off
.LBB24_1589:
	s_mov_b32 s8, 0
.LBB24_1590:
	s_delay_alu instid0(SALU_CYCLE_1)
	s_and_b32 vcc_lo, exec_lo, s8
	s_cbranch_vccz .LBB24_1593
; %bb.1591:
	s_cmp_eq_u32 s3, 29
	s_mov_b32 s0, -1
	s_cbranch_scc0 .LBB24_1593
; %bb.1592:
	s_wait_xcnt 0x0
	v_cvt_f32_f16_e32 v4, v1
	v_mov_b32_e32 v5, 0
	s_mov_b32 s0, 0
	s_mov_b32 s7, -1
	s_delay_alu instid0(VALU_DEP_2)
	v_cvt_u32_f32_e32 v4, v4
	global_store_b64 v[2:3], v[4:5], off
.LBB24_1593:
	s_mov_b32 s8, 0
.LBB24_1594:
	s_delay_alu instid0(SALU_CYCLE_1)
	s_and_b32 vcc_lo, exec_lo, s8
	s_cbranch_vccz .LBB24_1610
; %bb.1595:
	s_cmp_lt_i32 s3, 27
	s_mov_b32 s7, -1
	s_cbranch_scc1 .LBB24_1601
; %bb.1596:
	s_cmp_gt_i32 s3, 27
	s_cbranch_scc0 .LBB24_1598
; %bb.1597:
	s_wait_xcnt 0x0
	v_cvt_f32_f16_e32 v4, v1
	s_mov_b32 s7, 0
	s_delay_alu instid0(VALU_DEP_1)
	v_cvt_u32_f32_e32 v4, v4
	global_store_b32 v[2:3], v4, off
.LBB24_1598:
	s_and_not1_b32 vcc_lo, exec_lo, s7
	s_cbranch_vccnz .LBB24_1600
; %bb.1599:
	s_wait_xcnt 0x0
	v_cvt_u16_f16_e32 v4, v1
	global_store_b16 v[2:3], v4, off
.LBB24_1600:
	s_mov_b32 s7, 0
.LBB24_1601:
	s_delay_alu instid0(SALU_CYCLE_1)
	s_and_not1_b32 vcc_lo, exec_lo, s7
	s_cbranch_vccnz .LBB24_1609
; %bb.1602:
	s_wait_xcnt 0x0
	v_cvt_f32_f16_e32 v4, v1
	v_mov_b32_e32 v6, 0x80
	s_mov_b32 s7, exec_lo
	s_delay_alu instid0(VALU_DEP_2) | instskip(NEXT) | instid1(VALU_DEP_1)
	v_and_b32_e32 v5, 0x7fffffff, v4
	v_cmpx_gt_u32_e32 0x43800000, v5
	s_cbranch_execz .LBB24_1608
; %bb.1603:
	v_cmp_lt_u32_e32 vcc_lo, 0x3bffffff, v5
	s_mov_b32 s8, 0
                                        ; implicit-def: $vgpr5
	s_and_saveexec_b32 s10, vcc_lo
	s_delay_alu instid0(SALU_CYCLE_1)
	s_xor_b32 s10, exec_lo, s10
	s_cbranch_execz .LBB24_2053
; %bb.1604:
	v_bfe_u32 v5, v4, 20, 1
	s_mov_b32 s8, exec_lo
	s_delay_alu instid0(VALU_DEP_1) | instskip(NEXT) | instid1(VALU_DEP_1)
	v_add3_u32 v5, v4, v5, 0x487ffff
	v_lshrrev_b32_e32 v5, 20, v5
	s_and_not1_saveexec_b32 s10, s10
	s_cbranch_execnz .LBB24_2054
.LBB24_1605:
	s_or_b32 exec_lo, exec_lo, s10
	v_mov_b32_e32 v6, 0
	s_and_saveexec_b32 s10, s8
.LBB24_1606:
	v_lshrrev_b32_e32 v4, 24, v4
	s_delay_alu instid0(VALU_DEP_1)
	v_and_or_b32 v6, 0x80, v4, v5
.LBB24_1607:
	s_or_b32 exec_lo, exec_lo, s10
.LBB24_1608:
	s_delay_alu instid0(SALU_CYCLE_1)
	s_or_b32 exec_lo, exec_lo, s7
	global_store_b8 v[2:3], v6, off
.LBB24_1609:
	s_mov_b32 s7, -1
.LBB24_1610:
	s_mov_b32 s8, 0
.LBB24_1611:
	s_delay_alu instid0(SALU_CYCLE_1)
	s_and_b32 vcc_lo, exec_lo, s8
	s_cbranch_vccz .LBB24_1651
; %bb.1612:
	s_cmp_gt_i32 s3, 22
	s_mov_b32 s6, -1
	s_cbranch_scc0 .LBB24_1644
; %bb.1613:
	s_cmp_lt_i32 s3, 24
	s_cbranch_scc1 .LBB24_1633
; %bb.1614:
	s_cmp_gt_i32 s3, 24
	s_cbranch_scc0 .LBB24_1622
; %bb.1615:
	s_wait_xcnt 0x0
	v_cvt_f32_f16_e32 v4, v1
	v_mov_b32_e32 v6, 0x80
	s_mov_b32 s6, exec_lo
	s_delay_alu instid0(VALU_DEP_2) | instskip(NEXT) | instid1(VALU_DEP_1)
	v_and_b32_e32 v5, 0x7fffffff, v4
	v_cmpx_gt_u32_e32 0x47800000, v5
	s_cbranch_execz .LBB24_1621
; %bb.1616:
	v_cmp_lt_u32_e32 vcc_lo, 0x37ffffff, v5
	s_mov_b32 s7, 0
                                        ; implicit-def: $vgpr5
	s_and_saveexec_b32 s8, vcc_lo
	s_delay_alu instid0(SALU_CYCLE_1)
	s_xor_b32 s8, exec_lo, s8
	s_cbranch_execz .LBB24_2056
; %bb.1617:
	v_bfe_u32 v5, v4, 21, 1
	s_mov_b32 s7, exec_lo
	s_delay_alu instid0(VALU_DEP_1) | instskip(NEXT) | instid1(VALU_DEP_1)
	v_add3_u32 v5, v4, v5, 0x88fffff
	v_lshrrev_b32_e32 v5, 21, v5
	s_and_not1_saveexec_b32 s8, s8
	s_cbranch_execnz .LBB24_2057
.LBB24_1618:
	s_or_b32 exec_lo, exec_lo, s8
	v_mov_b32_e32 v6, 0
	s_and_saveexec_b32 s8, s7
.LBB24_1619:
	v_lshrrev_b32_e32 v4, 24, v4
	s_delay_alu instid0(VALU_DEP_1)
	v_and_or_b32 v6, 0x80, v4, v5
.LBB24_1620:
	s_or_b32 exec_lo, exec_lo, s8
.LBB24_1621:
	s_delay_alu instid0(SALU_CYCLE_1)
	s_or_b32 exec_lo, exec_lo, s6
	s_mov_b32 s6, 0
	global_store_b8 v[2:3], v6, off
.LBB24_1622:
	s_and_b32 vcc_lo, exec_lo, s6
	s_cbranch_vccz .LBB24_1632
; %bb.1623:
	s_wait_xcnt 0x0
	v_cvt_f32_f16_e32 v4, v1
	s_mov_b32 s6, exec_lo
                                        ; implicit-def: $vgpr5
	s_delay_alu instid0(VALU_DEP_1) | instskip(NEXT) | instid1(VALU_DEP_1)
	v_and_b32_e32 v6, 0x7fffffff, v4
	v_cmpx_gt_u32_e32 0x43f00000, v6
	s_xor_b32 s6, exec_lo, s6
	s_cbranch_execz .LBB24_1629
; %bb.1624:
	s_mov_b32 s7, exec_lo
                                        ; implicit-def: $vgpr5
	v_cmpx_lt_u32_e32 0x3c7fffff, v6
	s_xor_b32 s7, exec_lo, s7
; %bb.1625:
	v_bfe_u32 v5, v4, 20, 1
	s_delay_alu instid0(VALU_DEP_1) | instskip(NEXT) | instid1(VALU_DEP_1)
	v_add3_u32 v5, v4, v5, 0x407ffff
	v_and_b32_e32 v6, 0xff00000, v5
	v_lshrrev_b32_e32 v5, 20, v5
	s_delay_alu instid0(VALU_DEP_2) | instskip(NEXT) | instid1(VALU_DEP_2)
	v_cmp_ne_u32_e32 vcc_lo, 0x7f00000, v6
	v_cndmask_b32_e32 v5, 0x7e, v5, vcc_lo
; %bb.1626:
	s_and_not1_saveexec_b32 s7, s7
; %bb.1627:
	v_add_f32_e64 v5, 0x46800000, |v4|
; %bb.1628:
	s_or_b32 exec_lo, exec_lo, s7
                                        ; implicit-def: $vgpr6
.LBB24_1629:
	s_and_not1_saveexec_b32 s6, s6
; %bb.1630:
	v_mov_b32_e32 v5, 0x7f
	v_cmp_lt_u32_e32 vcc_lo, 0x7f800000, v6
	s_delay_alu instid0(VALU_DEP_2)
	v_cndmask_b32_e32 v5, 0x7e, v5, vcc_lo
; %bb.1631:
	s_or_b32 exec_lo, exec_lo, s6
	v_lshrrev_b32_e32 v4, 24, v4
	s_delay_alu instid0(VALU_DEP_1)
	v_and_or_b32 v4, 0x80, v4, v5
	global_store_b8 v[2:3], v4, off
.LBB24_1632:
	s_mov_b32 s6, 0
.LBB24_1633:
	s_delay_alu instid0(SALU_CYCLE_1)
	s_and_not1_b32 vcc_lo, exec_lo, s6
	s_cbranch_vccnz .LBB24_1643
; %bb.1634:
	s_wait_xcnt 0x0
	v_cvt_f32_f16_e32 v4, v1
	s_mov_b32 s6, exec_lo
                                        ; implicit-def: $vgpr5
	s_delay_alu instid0(VALU_DEP_1) | instskip(NEXT) | instid1(VALU_DEP_1)
	v_and_b32_e32 v6, 0x7fffffff, v4
	v_cmpx_gt_u32_e32 0x47800000, v6
	s_xor_b32 s6, exec_lo, s6
	s_cbranch_execz .LBB24_1640
; %bb.1635:
	s_mov_b32 s7, exec_lo
                                        ; implicit-def: $vgpr5
	v_cmpx_lt_u32_e32 0x387fffff, v6
	s_xor_b32 s7, exec_lo, s7
; %bb.1636:
	v_bfe_u32 v5, v4, 21, 1
	s_delay_alu instid0(VALU_DEP_1) | instskip(NEXT) | instid1(VALU_DEP_1)
	v_add3_u32 v5, v4, v5, 0x80fffff
	v_lshrrev_b32_e32 v5, 21, v5
; %bb.1637:
	s_and_not1_saveexec_b32 s7, s7
; %bb.1638:
	v_add_f32_e64 v5, 0x43000000, |v4|
; %bb.1639:
	s_or_b32 exec_lo, exec_lo, s7
                                        ; implicit-def: $vgpr6
.LBB24_1640:
	s_and_not1_saveexec_b32 s6, s6
; %bb.1641:
	v_mov_b32_e32 v5, 0x7f
	v_cmp_lt_u32_e32 vcc_lo, 0x7f800000, v6
	s_delay_alu instid0(VALU_DEP_2)
	v_cndmask_b32_e32 v5, 0x7c, v5, vcc_lo
; %bb.1642:
	s_or_b32 exec_lo, exec_lo, s6
	v_lshrrev_b32_e32 v4, 24, v4
	s_delay_alu instid0(VALU_DEP_1)
	v_and_or_b32 v4, 0x80, v4, v5
	global_store_b8 v[2:3], v4, off
.LBB24_1643:
	s_mov_b32 s6, 0
	s_mov_b32 s7, -1
.LBB24_1644:
	s_and_not1_b32 vcc_lo, exec_lo, s6
	s_mov_b32 s6, 0
	s_cbranch_vccnz .LBB24_1651
; %bb.1645:
	s_cmp_gt_i32 s3, 14
	s_mov_b32 s6, -1
	s_cbranch_scc0 .LBB24_1649
; %bb.1646:
	s_cmp_eq_u32 s3, 15
	s_mov_b32 s0, -1
	s_cbranch_scc0 .LBB24_1648
; %bb.1647:
	s_wait_xcnt 0x0
	v_cvt_f32_f16_e32 v4, v1
	v_cmp_o_f16_e32 vcc_lo, v1, v1
	s_mov_b32 s0, 0
	s_mov_b32 s7, -1
	s_delay_alu instid0(VALU_DEP_2) | instskip(NEXT) | instid1(VALU_DEP_1)
	v_bfe_u32 v5, v4, 16, 1
	v_add3_u32 v4, v4, v5, 0x7fff
	s_delay_alu instid0(VALU_DEP_1) | instskip(NEXT) | instid1(VALU_DEP_1)
	v_lshrrev_b32_e32 v4, 16, v4
	v_cndmask_b32_e32 v4, 0x7fc0, v4, vcc_lo
	global_store_b16 v[2:3], v4, off
.LBB24_1648:
	s_mov_b32 s6, 0
.LBB24_1649:
	s_delay_alu instid0(SALU_CYCLE_1)
	s_and_b32 vcc_lo, exec_lo, s6
	s_mov_b32 s6, 0
	s_cbranch_vccz .LBB24_1651
; %bb.1650:
	s_cmp_lg_u32 s3, 11
	s_mov_b32 s6, -1
	s_cselect_b32 s0, -1, 0
.LBB24_1651:
	s_delay_alu instid0(SALU_CYCLE_1)
	s_and_b32 vcc_lo, exec_lo, s0
	s_cbranch_vccnz .LBB24_2055
; %bb.1652:
	s_and_not1_b32 vcc_lo, exec_lo, s6
	s_cbranch_vccnz .LBB24_1654
.LBB24_1653:
	v_cmp_neq_f16_e32 vcc_lo, 0, v1
	s_mov_b32 s7, -1
	s_wait_xcnt 0x0
	v_cndmask_b32_e64 v4, 0, 1, vcc_lo
	global_store_b8 v[2:3], v4, off
.LBB24_1654:
.LBB24_1655:
	s_and_not1_b32 vcc_lo, exec_lo, s7
	s_cbranch_vccz .LBB24_1695
	s_branch .LBB24_2007
.LBB24_1656:
	s_and_b32 vcc_lo, exec_lo, s0
	s_cbranch_vccz .LBB24_1655
; %bb.1657:
	s_and_b32 s0, 0xffff, s1
	s_mov_b32 s3, -1
	s_cmp_lt_i32 s0, 5
	s_cbranch_scc1 .LBB24_1678
; %bb.1658:
	s_cmp_lt_i32 s0, 8
	s_cbranch_scc1 .LBB24_1668
; %bb.1659:
	;; [unrolled: 3-line block ×3, first 2 shown]
	s_cmp_gt_i32 s0, 9
	s_cbranch_scc0 .LBB24_1662
; %bb.1661:
	s_wait_xcnt 0x0
	v_cvt_f32_f16_e32 v4, v1
	v_mov_b32_e32 v6, 0
	s_mov_b32 s3, 0
	s_delay_alu instid0(VALU_DEP_2) | instskip(NEXT) | instid1(VALU_DEP_2)
	v_cvt_f64_f32_e32 v[4:5], v4
	v_mov_b32_e32 v7, v6
	global_store_b128 v[2:3], v[4:7], off
.LBB24_1662:
	s_and_not1_b32 vcc_lo, exec_lo, s3
	s_cbranch_vccnz .LBB24_1664
; %bb.1663:
	s_wait_xcnt 0x0
	v_cvt_f32_f16_e32 v4, v1
	v_mov_b32_e32 v5, 0
	global_store_b64 v[2:3], v[4:5], off
.LBB24_1664:
	s_mov_b32 s3, 0
.LBB24_1665:
	s_delay_alu instid0(SALU_CYCLE_1)
	s_and_not1_b32 vcc_lo, exec_lo, s3
	s_cbranch_vccnz .LBB24_1667
; %bb.1666:
	s_wait_xcnt 0x0
	v_and_b32_e32 v4, 0xffff, v1
	global_store_b32 v[2:3], v4, off
.LBB24_1667:
	s_mov_b32 s3, 0
.LBB24_1668:
	s_delay_alu instid0(SALU_CYCLE_1)
	s_and_not1_b32 vcc_lo, exec_lo, s3
	s_cbranch_vccnz .LBB24_1677
; %bb.1669:
	s_cmp_lt_i32 s0, 6
	s_mov_b32 s3, -1
	s_cbranch_scc1 .LBB24_1675
; %bb.1670:
	s_cmp_gt_i32 s0, 6
	s_cbranch_scc0 .LBB24_1672
; %bb.1671:
	s_wait_xcnt 0x0
	v_cvt_f32_f16_e32 v4, v1
	s_mov_b32 s3, 0
	s_delay_alu instid0(VALU_DEP_1)
	v_cvt_f64_f32_e32 v[4:5], v4
	global_store_b64 v[2:3], v[4:5], off
.LBB24_1672:
	s_and_not1_b32 vcc_lo, exec_lo, s3
	s_cbranch_vccnz .LBB24_1674
; %bb.1673:
	s_wait_xcnt 0x0
	v_cvt_f32_f16_e32 v4, v1
	global_store_b32 v[2:3], v4, off
.LBB24_1674:
	s_mov_b32 s3, 0
.LBB24_1675:
	s_delay_alu instid0(SALU_CYCLE_1)
	s_and_not1_b32 vcc_lo, exec_lo, s3
	s_cbranch_vccnz .LBB24_1677
; %bb.1676:
	global_store_b16 v[2:3], v1, off
.LBB24_1677:
	s_mov_b32 s3, 0
.LBB24_1678:
	s_delay_alu instid0(SALU_CYCLE_1)
	s_and_not1_b32 vcc_lo, exec_lo, s3
	s_cbranch_vccnz .LBB24_1694
; %bb.1679:
	s_cmp_lt_i32 s0, 2
	s_mov_b32 s3, -1
	s_cbranch_scc1 .LBB24_1689
; %bb.1680:
	s_cmp_lt_i32 s0, 3
	s_cbranch_scc1 .LBB24_1686
; %bb.1681:
	s_cmp_gt_i32 s0, 3
	s_cbranch_scc0 .LBB24_1683
; %bb.1682:
	s_wait_xcnt 0x0
	v_cvt_f32_f16_e32 v4, v1
	s_mov_b32 s3, 0
	s_delay_alu instid0(VALU_DEP_1) | instskip(NEXT) | instid1(VALU_DEP_1)
	v_cvt_i32_f32_e32 v4, v4
	v_ashrrev_i32_e32 v5, 31, v4
	global_store_b64 v[2:3], v[4:5], off
.LBB24_1683:
	s_and_not1_b32 vcc_lo, exec_lo, s3
	s_cbranch_vccnz .LBB24_1685
; %bb.1684:
	s_wait_xcnt 0x0
	v_cvt_f32_f16_e32 v4, v1
	s_delay_alu instid0(VALU_DEP_1)
	v_cvt_i32_f32_e32 v4, v4
	global_store_b32 v[2:3], v4, off
.LBB24_1685:
	s_mov_b32 s3, 0
.LBB24_1686:
	s_delay_alu instid0(SALU_CYCLE_1)
	s_and_not1_b32 vcc_lo, exec_lo, s3
	s_cbranch_vccnz .LBB24_1688
; %bb.1687:
	s_wait_xcnt 0x0
	v_cvt_i16_f16_e32 v4, v1
	global_store_b16 v[2:3], v4, off
.LBB24_1688:
	s_mov_b32 s3, 0
.LBB24_1689:
	s_delay_alu instid0(SALU_CYCLE_1)
	s_and_not1_b32 vcc_lo, exec_lo, s3
	s_cbranch_vccnz .LBB24_1694
; %bb.1690:
	s_cmp_gt_i32 s0, 0
	s_mov_b32 s0, -1
	s_cbranch_scc0 .LBB24_1692
; %bb.1691:
	s_wait_xcnt 0x0
	v_cvt_i16_f16_e32 v4, v1
	s_mov_b32 s0, 0
	global_store_b8 v[2:3], v4, off
.LBB24_1692:
	s_and_not1_b32 vcc_lo, exec_lo, s0
	s_cbranch_vccnz .LBB24_1694
; %bb.1693:
	s_wait_xcnt 0x0
	v_cvt_f32_f16_e32 v1, v1
	s_delay_alu instid0(VALU_DEP_1)
	v_cvt_i32_f32_e32 v1, v1
	global_store_b8 v[2:3], v1, off
.LBB24_1694:
.LBB24_1695:
	s_wait_xcnt 0x0
	v_dual_mul_f32 v1, v11, v11 :: v_dual_bitop2_b32 v4, 1, v12 bitop3:0x40
	s_mov_b32 s0, 0xb94c1982
	s_mov_b32 s3, 0x37d75334
	s_lshl_b32 s2, s2, 7
	s_delay_alu instid0(VALU_DEP_1) | instskip(SKIP_3) | instid1(VALU_DEP_2)
	v_dual_fmaak_f32 v2, s0, v1, 0x3c0881c4 :: v_dual_lshlrev_b32 v5, 30, v12
	v_cmp_eq_u32_e32 vcc_lo, 0, v4
	s_mov_b32 s7, 0
	s_cmp_lt_i32 s1, 11
	v_fmaak_f32 v2, v1, v2, 0xbe2aaa9d
	v_fmaak_f32 v3, s3, v1, 0xbab64f3b
	s_mov_b32 s0, -1
	s_delay_alu instid0(VALU_DEP_2) | instskip(NEXT) | instid1(VALU_DEP_2)
	v_dual_add_nc_u32 v0, s2, v0 :: v_dual_mul_f32 v2, v1, v2
	v_fmaak_f32 v3, v1, v3, 0x3d2aabf7
	s_delay_alu instid0(VALU_DEP_2) | instskip(NEXT) | instid1(VALU_DEP_2)
	v_fmac_f32_e32 v11, v11, v2
	v_fmaak_f32 v3, v1, v3, 0xbf000004
	v_and_b32_e32 v2, 0x80000000, v5
	s_delay_alu instid0(VALU_DEP_2) | instskip(NEXT) | instid1(VALU_DEP_1)
	v_fma_f32 v1, v1, v3, 1.0
	v_dual_cndmask_b32 v1, v1, v11, vcc_lo :: v_dual_bitop2_b32 v3, v10, v9 bitop3:0x14
	v_cmp_class_f32_e64 vcc_lo, v9, 0x1f8
	s_delay_alu instid0(VALU_DEP_2) | instskip(NEXT) | instid1(VALU_DEP_1)
	v_xor3_b32 v2, v3, v2, v1
	v_dual_cndmask_b32 v4, 0x7fc00000, v2 :: v_dual_ashrrev_i32 v1, 31, v0
	s_delay_alu instid0(VALU_DEP_1) | instskip(NEXT) | instid1(VALU_DEP_2)
	v_add_nc_u64_e32 v[2:3], s[4:5], v[0:1]
	v_cvt_f16_f32_e32 v1, v4
	s_cbranch_scc1 .LBB24_1774
; %bb.1696:
	s_and_b32 s3, 0xffff, s1
	s_mov_b32 s8, -1
	s_mov_b32 s6, 0
	s_cmp_gt_i32 s3, 25
	s_mov_b32 s0, 0
	s_cbranch_scc0 .LBB24_1729
; %bb.1697:
	s_cmp_gt_i32 s3, 28
	s_cbranch_scc0 .LBB24_1712
; %bb.1698:
	s_cmp_gt_i32 s3, 43
	;; [unrolled: 3-line block ×3, first 2 shown]
	s_cbranch_scc0 .LBB24_1702
; %bb.1700:
	s_mov_b32 s0, -1
	s_mov_b32 s8, 0
	s_cmp_eq_u32 s3, 46
	s_cbranch_scc0 .LBB24_1702
; %bb.1701:
	v_cvt_f32_f16_e32 v4, v1
	v_cmp_o_f16_e32 vcc_lo, v1, v1
	s_mov_b32 s0, 0
	s_mov_b32 s7, -1
	s_delay_alu instid0(VALU_DEP_2) | instskip(NEXT) | instid1(VALU_DEP_1)
	v_bfe_u32 v5, v4, 16, 1
	v_add3_u32 v4, v4, v5, 0x7fff
	s_delay_alu instid0(VALU_DEP_1) | instskip(NEXT) | instid1(VALU_DEP_1)
	v_lshrrev_b32_e32 v4, 16, v4
	v_cndmask_b32_e32 v4, 0x7fc0, v4, vcc_lo
	global_store_b32 v[2:3], v4, off
.LBB24_1702:
	s_and_b32 vcc_lo, exec_lo, s8
	s_cbranch_vccz .LBB24_1707
; %bb.1703:
	s_cmp_eq_u32 s3, 44
	s_mov_b32 s0, -1
	s_cbranch_scc0 .LBB24_1707
; %bb.1704:
	s_wait_xcnt 0x0
	v_cvt_f32_f16_e32 v4, v1
	v_mov_b32_e32 v5, 0xff
	s_mov_b32 s7, exec_lo
	s_delay_alu instid0(VALU_DEP_2) | instskip(NEXT) | instid1(VALU_DEP_1)
	v_bfe_u32 v6, v4, 23, 8
	v_cmpx_ne_u32_e32 0xff, v6
	s_cbranch_execz .LBB24_1706
; %bb.1705:
	v_and_b32_e32 v5, 0x400000, v4
	v_and_or_b32 v6, 0x3fffff, v4, v6
	v_lshrrev_b32_e32 v4, 23, v4
	s_delay_alu instid0(VALU_DEP_3) | instskip(NEXT) | instid1(VALU_DEP_3)
	v_cmp_ne_u32_e32 vcc_lo, 0, v5
	v_cmp_ne_u32_e64 s0, 0, v6
	s_and_b32 s0, vcc_lo, s0
	s_delay_alu instid0(SALU_CYCLE_1) | instskip(NEXT) | instid1(VALU_DEP_1)
	v_cndmask_b32_e64 v5, 0, 1, s0
	v_add_nc_u32_e32 v5, v4, v5
.LBB24_1706:
	s_or_b32 exec_lo, exec_lo, s7
	s_mov_b32 s0, 0
	s_mov_b32 s7, -1
	global_store_b8 v[2:3], v5, off
.LBB24_1707:
	s_mov_b32 s8, 0
.LBB24_1708:
	s_delay_alu instid0(SALU_CYCLE_1)
	s_and_b32 vcc_lo, exec_lo, s8
	s_cbranch_vccz .LBB24_1711
; %bb.1709:
	s_cmp_eq_u32 s3, 29
	s_mov_b32 s0, -1
	s_cbranch_scc0 .LBB24_1711
; %bb.1710:
	s_wait_xcnt 0x0
	v_cvt_f32_f16_e32 v4, v1
	v_mov_b32_e32 v5, 0
	s_mov_b32 s0, 0
	s_mov_b32 s7, -1
	s_delay_alu instid0(VALU_DEP_2)
	v_cvt_u32_f32_e32 v4, v4
	global_store_b64 v[2:3], v[4:5], off
.LBB24_1711:
	s_mov_b32 s8, 0
.LBB24_1712:
	s_delay_alu instid0(SALU_CYCLE_1)
	s_and_b32 vcc_lo, exec_lo, s8
	s_cbranch_vccz .LBB24_1728
; %bb.1713:
	s_cmp_lt_i32 s3, 27
	s_mov_b32 s7, -1
	s_cbranch_scc1 .LBB24_1719
; %bb.1714:
	s_cmp_gt_i32 s3, 27
	s_cbranch_scc0 .LBB24_1716
; %bb.1715:
	s_wait_xcnt 0x0
	v_cvt_f32_f16_e32 v4, v1
	s_mov_b32 s7, 0
	s_delay_alu instid0(VALU_DEP_1)
	v_cvt_u32_f32_e32 v4, v4
	global_store_b32 v[2:3], v4, off
.LBB24_1716:
	s_and_not1_b32 vcc_lo, exec_lo, s7
	s_cbranch_vccnz .LBB24_1718
; %bb.1717:
	s_wait_xcnt 0x0
	v_cvt_u16_f16_e32 v4, v1
	global_store_b16 v[2:3], v4, off
.LBB24_1718:
	s_mov_b32 s7, 0
.LBB24_1719:
	s_delay_alu instid0(SALU_CYCLE_1)
	s_and_not1_b32 vcc_lo, exec_lo, s7
	s_cbranch_vccnz .LBB24_1727
; %bb.1720:
	s_wait_xcnt 0x0
	v_cvt_f32_f16_e32 v4, v1
	v_mov_b32_e32 v6, 0x80
	s_mov_b32 s7, exec_lo
	s_delay_alu instid0(VALU_DEP_2) | instskip(NEXT) | instid1(VALU_DEP_1)
	v_and_b32_e32 v5, 0x7fffffff, v4
	v_cmpx_gt_u32_e32 0x43800000, v5
	s_cbranch_execz .LBB24_1726
; %bb.1721:
	v_cmp_lt_u32_e32 vcc_lo, 0x3bffffff, v5
	s_mov_b32 s8, 0
                                        ; implicit-def: $vgpr5
	s_and_saveexec_b32 s10, vcc_lo
	s_delay_alu instid0(SALU_CYCLE_1)
	s_xor_b32 s10, exec_lo, s10
	s_cbranch_execz .LBB24_2058
; %bb.1722:
	v_bfe_u32 v5, v4, 20, 1
	s_mov_b32 s8, exec_lo
	s_delay_alu instid0(VALU_DEP_1) | instskip(NEXT) | instid1(VALU_DEP_1)
	v_add3_u32 v5, v4, v5, 0x487ffff
	v_lshrrev_b32_e32 v5, 20, v5
	s_and_not1_saveexec_b32 s10, s10
	s_cbranch_execnz .LBB24_2059
.LBB24_1723:
	s_or_b32 exec_lo, exec_lo, s10
	v_mov_b32_e32 v6, 0
	s_and_saveexec_b32 s10, s8
.LBB24_1724:
	v_lshrrev_b32_e32 v4, 24, v4
	s_delay_alu instid0(VALU_DEP_1)
	v_and_or_b32 v6, 0x80, v4, v5
.LBB24_1725:
	s_or_b32 exec_lo, exec_lo, s10
.LBB24_1726:
	s_delay_alu instid0(SALU_CYCLE_1)
	s_or_b32 exec_lo, exec_lo, s7
	global_store_b8 v[2:3], v6, off
.LBB24_1727:
	s_mov_b32 s7, -1
.LBB24_1728:
	s_mov_b32 s8, 0
.LBB24_1729:
	s_delay_alu instid0(SALU_CYCLE_1)
	s_and_b32 vcc_lo, exec_lo, s8
	s_cbranch_vccz .LBB24_1769
; %bb.1730:
	s_cmp_gt_i32 s3, 22
	s_mov_b32 s6, -1
	s_cbranch_scc0 .LBB24_1762
; %bb.1731:
	s_cmp_lt_i32 s3, 24
	s_cbranch_scc1 .LBB24_1751
; %bb.1732:
	s_cmp_gt_i32 s3, 24
	s_cbranch_scc0 .LBB24_1740
; %bb.1733:
	s_wait_xcnt 0x0
	v_cvt_f32_f16_e32 v4, v1
	v_mov_b32_e32 v6, 0x80
	s_mov_b32 s6, exec_lo
	s_delay_alu instid0(VALU_DEP_2) | instskip(NEXT) | instid1(VALU_DEP_1)
	v_and_b32_e32 v5, 0x7fffffff, v4
	v_cmpx_gt_u32_e32 0x47800000, v5
	s_cbranch_execz .LBB24_1739
; %bb.1734:
	v_cmp_lt_u32_e32 vcc_lo, 0x37ffffff, v5
	s_mov_b32 s7, 0
                                        ; implicit-def: $vgpr5
	s_and_saveexec_b32 s8, vcc_lo
	s_delay_alu instid0(SALU_CYCLE_1)
	s_xor_b32 s8, exec_lo, s8
	s_cbranch_execz .LBB24_2061
; %bb.1735:
	v_bfe_u32 v5, v4, 21, 1
	s_mov_b32 s7, exec_lo
	s_delay_alu instid0(VALU_DEP_1) | instskip(NEXT) | instid1(VALU_DEP_1)
	v_add3_u32 v5, v4, v5, 0x88fffff
	v_lshrrev_b32_e32 v5, 21, v5
	s_and_not1_saveexec_b32 s8, s8
	s_cbranch_execnz .LBB24_2062
.LBB24_1736:
	s_or_b32 exec_lo, exec_lo, s8
	v_mov_b32_e32 v6, 0
	s_and_saveexec_b32 s8, s7
.LBB24_1737:
	v_lshrrev_b32_e32 v4, 24, v4
	s_delay_alu instid0(VALU_DEP_1)
	v_and_or_b32 v6, 0x80, v4, v5
.LBB24_1738:
	s_or_b32 exec_lo, exec_lo, s8
.LBB24_1739:
	s_delay_alu instid0(SALU_CYCLE_1)
	s_or_b32 exec_lo, exec_lo, s6
	s_mov_b32 s6, 0
	global_store_b8 v[2:3], v6, off
.LBB24_1740:
	s_and_b32 vcc_lo, exec_lo, s6
	s_cbranch_vccz .LBB24_1750
; %bb.1741:
	s_wait_xcnt 0x0
	v_cvt_f32_f16_e32 v4, v1
	s_mov_b32 s6, exec_lo
                                        ; implicit-def: $vgpr5
	s_delay_alu instid0(VALU_DEP_1) | instskip(NEXT) | instid1(VALU_DEP_1)
	v_and_b32_e32 v6, 0x7fffffff, v4
	v_cmpx_gt_u32_e32 0x43f00000, v6
	s_xor_b32 s6, exec_lo, s6
	s_cbranch_execz .LBB24_1747
; %bb.1742:
	s_mov_b32 s7, exec_lo
                                        ; implicit-def: $vgpr5
	v_cmpx_lt_u32_e32 0x3c7fffff, v6
	s_xor_b32 s7, exec_lo, s7
; %bb.1743:
	v_bfe_u32 v5, v4, 20, 1
	s_delay_alu instid0(VALU_DEP_1) | instskip(NEXT) | instid1(VALU_DEP_1)
	v_add3_u32 v5, v4, v5, 0x407ffff
	v_and_b32_e32 v6, 0xff00000, v5
	v_lshrrev_b32_e32 v5, 20, v5
	s_delay_alu instid0(VALU_DEP_2) | instskip(NEXT) | instid1(VALU_DEP_2)
	v_cmp_ne_u32_e32 vcc_lo, 0x7f00000, v6
	v_cndmask_b32_e32 v5, 0x7e, v5, vcc_lo
; %bb.1744:
	s_and_not1_saveexec_b32 s7, s7
; %bb.1745:
	v_add_f32_e64 v5, 0x46800000, |v4|
; %bb.1746:
	s_or_b32 exec_lo, exec_lo, s7
                                        ; implicit-def: $vgpr6
.LBB24_1747:
	s_and_not1_saveexec_b32 s6, s6
; %bb.1748:
	v_mov_b32_e32 v5, 0x7f
	v_cmp_lt_u32_e32 vcc_lo, 0x7f800000, v6
	s_delay_alu instid0(VALU_DEP_2)
	v_cndmask_b32_e32 v5, 0x7e, v5, vcc_lo
; %bb.1749:
	s_or_b32 exec_lo, exec_lo, s6
	v_lshrrev_b32_e32 v4, 24, v4
	s_delay_alu instid0(VALU_DEP_1)
	v_and_or_b32 v4, 0x80, v4, v5
	global_store_b8 v[2:3], v4, off
.LBB24_1750:
	s_mov_b32 s6, 0
.LBB24_1751:
	s_delay_alu instid0(SALU_CYCLE_1)
	s_and_not1_b32 vcc_lo, exec_lo, s6
	s_cbranch_vccnz .LBB24_1761
; %bb.1752:
	s_wait_xcnt 0x0
	v_cvt_f32_f16_e32 v4, v1
	s_mov_b32 s6, exec_lo
                                        ; implicit-def: $vgpr5
	s_delay_alu instid0(VALU_DEP_1) | instskip(NEXT) | instid1(VALU_DEP_1)
	v_and_b32_e32 v6, 0x7fffffff, v4
	v_cmpx_gt_u32_e32 0x47800000, v6
	s_xor_b32 s6, exec_lo, s6
	s_cbranch_execz .LBB24_1758
; %bb.1753:
	s_mov_b32 s7, exec_lo
                                        ; implicit-def: $vgpr5
	v_cmpx_lt_u32_e32 0x387fffff, v6
	s_xor_b32 s7, exec_lo, s7
; %bb.1754:
	v_bfe_u32 v5, v4, 21, 1
	s_delay_alu instid0(VALU_DEP_1) | instskip(NEXT) | instid1(VALU_DEP_1)
	v_add3_u32 v5, v4, v5, 0x80fffff
	v_lshrrev_b32_e32 v5, 21, v5
; %bb.1755:
	s_and_not1_saveexec_b32 s7, s7
; %bb.1756:
	v_add_f32_e64 v5, 0x43000000, |v4|
; %bb.1757:
	s_or_b32 exec_lo, exec_lo, s7
                                        ; implicit-def: $vgpr6
.LBB24_1758:
	s_and_not1_saveexec_b32 s6, s6
; %bb.1759:
	v_mov_b32_e32 v5, 0x7f
	v_cmp_lt_u32_e32 vcc_lo, 0x7f800000, v6
	s_delay_alu instid0(VALU_DEP_2)
	v_cndmask_b32_e32 v5, 0x7c, v5, vcc_lo
; %bb.1760:
	s_or_b32 exec_lo, exec_lo, s6
	v_lshrrev_b32_e32 v4, 24, v4
	s_delay_alu instid0(VALU_DEP_1)
	v_and_or_b32 v4, 0x80, v4, v5
	global_store_b8 v[2:3], v4, off
.LBB24_1761:
	s_mov_b32 s6, 0
	s_mov_b32 s7, -1
.LBB24_1762:
	s_and_not1_b32 vcc_lo, exec_lo, s6
	s_mov_b32 s6, 0
	s_cbranch_vccnz .LBB24_1769
; %bb.1763:
	s_cmp_gt_i32 s3, 14
	s_mov_b32 s6, -1
	s_cbranch_scc0 .LBB24_1767
; %bb.1764:
	s_cmp_eq_u32 s3, 15
	s_mov_b32 s0, -1
	s_cbranch_scc0 .LBB24_1766
; %bb.1765:
	s_wait_xcnt 0x0
	v_cvt_f32_f16_e32 v4, v1
	v_cmp_o_f16_e32 vcc_lo, v1, v1
	s_mov_b32 s0, 0
	s_mov_b32 s7, -1
	s_delay_alu instid0(VALU_DEP_2) | instskip(NEXT) | instid1(VALU_DEP_1)
	v_bfe_u32 v5, v4, 16, 1
	v_add3_u32 v4, v4, v5, 0x7fff
	s_delay_alu instid0(VALU_DEP_1) | instskip(NEXT) | instid1(VALU_DEP_1)
	v_lshrrev_b32_e32 v4, 16, v4
	v_cndmask_b32_e32 v4, 0x7fc0, v4, vcc_lo
	global_store_b16 v[2:3], v4, off
.LBB24_1766:
	s_mov_b32 s6, 0
.LBB24_1767:
	s_delay_alu instid0(SALU_CYCLE_1)
	s_and_b32 vcc_lo, exec_lo, s6
	s_mov_b32 s6, 0
	s_cbranch_vccz .LBB24_1769
; %bb.1768:
	s_cmp_lg_u32 s3, 11
	s_mov_b32 s6, -1
	s_cselect_b32 s0, -1, 0
.LBB24_1769:
	s_delay_alu instid0(SALU_CYCLE_1)
	s_and_b32 vcc_lo, exec_lo, s0
	s_cbranch_vccnz .LBB24_2060
; %bb.1770:
	s_and_not1_b32 vcc_lo, exec_lo, s6
	s_cbranch_vccnz .LBB24_1772
.LBB24_1771:
	v_cmp_neq_f16_e32 vcc_lo, 0, v1
	s_mov_b32 s7, -1
	s_wait_xcnt 0x0
	v_cndmask_b32_e64 v4, 0, 1, vcc_lo
	global_store_b8 v[2:3], v4, off
.LBB24_1772:
.LBB24_1773:
	s_and_not1_b32 vcc_lo, exec_lo, s7
	s_cbranch_vccz .LBB24_1813
	s_branch .LBB24_2007
.LBB24_1774:
	s_and_b32 vcc_lo, exec_lo, s0
	s_cbranch_vccz .LBB24_1773
; %bb.1775:
	s_and_b32 s0, 0xffff, s1
	s_mov_b32 s3, -1
	s_cmp_lt_i32 s0, 5
	s_cbranch_scc1 .LBB24_1796
; %bb.1776:
	s_cmp_lt_i32 s0, 8
	s_cbranch_scc1 .LBB24_1786
; %bb.1777:
	;; [unrolled: 3-line block ×3, first 2 shown]
	s_cmp_gt_i32 s0, 9
	s_cbranch_scc0 .LBB24_1780
; %bb.1779:
	s_wait_xcnt 0x0
	v_cvt_f32_f16_e32 v4, v1
	v_mov_b32_e32 v6, 0
	s_mov_b32 s3, 0
	s_delay_alu instid0(VALU_DEP_2) | instskip(NEXT) | instid1(VALU_DEP_2)
	v_cvt_f64_f32_e32 v[4:5], v4
	v_mov_b32_e32 v7, v6
	global_store_b128 v[2:3], v[4:7], off
.LBB24_1780:
	s_and_not1_b32 vcc_lo, exec_lo, s3
	s_cbranch_vccnz .LBB24_1782
; %bb.1781:
	s_wait_xcnt 0x0
	v_cvt_f32_f16_e32 v4, v1
	v_mov_b32_e32 v5, 0
	global_store_b64 v[2:3], v[4:5], off
.LBB24_1782:
	s_mov_b32 s3, 0
.LBB24_1783:
	s_delay_alu instid0(SALU_CYCLE_1)
	s_and_not1_b32 vcc_lo, exec_lo, s3
	s_cbranch_vccnz .LBB24_1785
; %bb.1784:
	s_wait_xcnt 0x0
	v_and_b32_e32 v4, 0xffff, v1
	global_store_b32 v[2:3], v4, off
.LBB24_1785:
	s_mov_b32 s3, 0
.LBB24_1786:
	s_delay_alu instid0(SALU_CYCLE_1)
	s_and_not1_b32 vcc_lo, exec_lo, s3
	s_cbranch_vccnz .LBB24_1795
; %bb.1787:
	s_cmp_lt_i32 s0, 6
	s_mov_b32 s3, -1
	s_cbranch_scc1 .LBB24_1793
; %bb.1788:
	s_cmp_gt_i32 s0, 6
	s_cbranch_scc0 .LBB24_1790
; %bb.1789:
	s_wait_xcnt 0x0
	v_cvt_f32_f16_e32 v4, v1
	s_mov_b32 s3, 0
	s_delay_alu instid0(VALU_DEP_1)
	v_cvt_f64_f32_e32 v[4:5], v4
	global_store_b64 v[2:3], v[4:5], off
.LBB24_1790:
	s_and_not1_b32 vcc_lo, exec_lo, s3
	s_cbranch_vccnz .LBB24_1792
; %bb.1791:
	s_wait_xcnt 0x0
	v_cvt_f32_f16_e32 v4, v1
	global_store_b32 v[2:3], v4, off
.LBB24_1792:
	s_mov_b32 s3, 0
.LBB24_1793:
	s_delay_alu instid0(SALU_CYCLE_1)
	s_and_not1_b32 vcc_lo, exec_lo, s3
	s_cbranch_vccnz .LBB24_1795
; %bb.1794:
	global_store_b16 v[2:3], v1, off
.LBB24_1795:
	s_mov_b32 s3, 0
.LBB24_1796:
	s_delay_alu instid0(SALU_CYCLE_1)
	s_and_not1_b32 vcc_lo, exec_lo, s3
	s_cbranch_vccnz .LBB24_1812
; %bb.1797:
	s_cmp_lt_i32 s0, 2
	s_mov_b32 s3, -1
	s_cbranch_scc1 .LBB24_1807
; %bb.1798:
	s_cmp_lt_i32 s0, 3
	s_cbranch_scc1 .LBB24_1804
; %bb.1799:
	s_cmp_gt_i32 s0, 3
	s_cbranch_scc0 .LBB24_1801
; %bb.1800:
	s_wait_xcnt 0x0
	v_cvt_f32_f16_e32 v4, v1
	s_mov_b32 s3, 0
	s_delay_alu instid0(VALU_DEP_1) | instskip(NEXT) | instid1(VALU_DEP_1)
	v_cvt_i32_f32_e32 v4, v4
	v_ashrrev_i32_e32 v5, 31, v4
	global_store_b64 v[2:3], v[4:5], off
.LBB24_1801:
	s_and_not1_b32 vcc_lo, exec_lo, s3
	s_cbranch_vccnz .LBB24_1803
; %bb.1802:
	s_wait_xcnt 0x0
	v_cvt_f32_f16_e32 v4, v1
	s_delay_alu instid0(VALU_DEP_1)
	v_cvt_i32_f32_e32 v4, v4
	global_store_b32 v[2:3], v4, off
.LBB24_1803:
	s_mov_b32 s3, 0
.LBB24_1804:
	s_delay_alu instid0(SALU_CYCLE_1)
	s_and_not1_b32 vcc_lo, exec_lo, s3
	s_cbranch_vccnz .LBB24_1806
; %bb.1805:
	s_wait_xcnt 0x0
	v_cvt_i16_f16_e32 v4, v1
	global_store_b16 v[2:3], v4, off
.LBB24_1806:
	s_mov_b32 s3, 0
.LBB24_1807:
	s_delay_alu instid0(SALU_CYCLE_1)
	s_and_not1_b32 vcc_lo, exec_lo, s3
	s_cbranch_vccnz .LBB24_1812
; %bb.1808:
	s_cmp_gt_i32 s0, 0
	s_mov_b32 s0, -1
	s_cbranch_scc0 .LBB24_1810
; %bb.1809:
	s_wait_xcnt 0x0
	v_cvt_i16_f16_e32 v4, v1
	s_mov_b32 s0, 0
	global_store_b8 v[2:3], v4, off
.LBB24_1810:
	s_and_not1_b32 vcc_lo, exec_lo, s0
	s_cbranch_vccnz .LBB24_1812
; %bb.1811:
	s_wait_xcnt 0x0
	v_cvt_f32_f16_e32 v1, v1
	s_delay_alu instid0(VALU_DEP_1)
	v_cvt_i32_f32_e32 v1, v1
	global_store_b8 v[2:3], v1, off
.LBB24_1812:
.LBB24_1813:
	s_wait_xcnt 0x0
	v_dual_mul_f32 v1, v15, v15 :: v_dual_bitop2_b32 v4, 1, v16 bitop3:0x40
	s_mov_b32 s0, 0xb94c1982
	s_mov_b32 s3, 0x37d75334
	;; [unrolled: 1-line block ×3, first 2 shown]
	s_delay_alu instid0(VALU_DEP_1) | instskip(SKIP_3) | instid1(VALU_DEP_2)
	v_dual_fmaak_f32 v2, s0, v1, 0x3c0881c4 :: v_dual_lshlrev_b32 v5, 30, v16
	v_cmp_eq_u32_e32 vcc_lo, 0, v4
	s_cmp_lt_i32 s1, 11
	s_mov_b32 s0, -1
	v_fmaak_f32 v2, v1, v2, 0xbe2aaa9d
	v_fmaak_f32 v3, s3, v1, 0xbab64f3b
	s_delay_alu instid0(VALU_DEP_2) | instskip(NEXT) | instid1(VALU_DEP_2)
	v_dual_add_nc_u32 v0, s2, v0 :: v_dual_mul_f32 v2, v1, v2
	v_fmaak_f32 v3, v1, v3, 0x3d2aabf7
	s_delay_alu instid0(VALU_DEP_2) | instskip(NEXT) | instid1(VALU_DEP_2)
	v_fmac_f32_e32 v15, v15, v2
	v_fmaak_f32 v3, v1, v3, 0xbf000004
	v_and_b32_e32 v2, 0x80000000, v5
	s_delay_alu instid0(VALU_DEP_2) | instskip(NEXT) | instid1(VALU_DEP_1)
	v_fma_f32 v1, v1, v3, 1.0
	v_dual_cndmask_b32 v1, v1, v15, vcc_lo :: v_dual_bitop2_b32 v3, v14, v13 bitop3:0x14
	v_cmp_class_f32_e64 vcc_lo, v13, 0x1f8
	s_delay_alu instid0(VALU_DEP_2) | instskip(NEXT) | instid1(VALU_DEP_1)
	v_xor3_b32 v2, v3, v2, v1
	v_dual_cndmask_b32 v4, 0x7fc00000, v2 :: v_dual_ashrrev_i32 v1, 31, v0
	s_delay_alu instid0(VALU_DEP_1) | instskip(NEXT) | instid1(VALU_DEP_2)
	v_add_nc_u64_e32 v[2:3], s[4:5], v[0:1]
	v_cvt_f16_f32_e32 v1, v4
	s_cbranch_scc1 .LBB24_1968
; %bb.1814:
	s_and_b32 s3, 0xffff, s1
	s_mov_b32 s8, -1
	s_mov_b32 s6, 0
	s_cmp_gt_i32 s3, 25
	s_mov_b32 s0, 0
	s_cbranch_scc0 .LBB24_1847
; %bb.1815:
	s_cmp_gt_i32 s3, 28
	s_cbranch_scc0 .LBB24_1830
; %bb.1816:
	s_cmp_gt_i32 s3, 43
	s_cbranch_scc0 .LBB24_1826
; %bb.1817:
	s_cmp_gt_i32 s3, 45
	s_cbranch_scc0 .LBB24_1820
; %bb.1818:
	s_mov_b32 s0, -1
	s_mov_b32 s8, 0
	s_cmp_eq_u32 s3, 46
	s_cbranch_scc0 .LBB24_1820
; %bb.1819:
	v_cvt_f32_f16_e32 v4, v1
	v_cmp_o_f16_e32 vcc_lo, v1, v1
	s_mov_b32 s0, 0
	s_mov_b32 s7, -1
	s_delay_alu instid0(VALU_DEP_2) | instskip(NEXT) | instid1(VALU_DEP_1)
	v_bfe_u32 v5, v4, 16, 1
	v_add3_u32 v4, v4, v5, 0x7fff
	s_delay_alu instid0(VALU_DEP_1) | instskip(NEXT) | instid1(VALU_DEP_1)
	v_lshrrev_b32_e32 v4, 16, v4
	v_cndmask_b32_e32 v4, 0x7fc0, v4, vcc_lo
	global_store_b32 v[2:3], v4, off
.LBB24_1820:
	s_and_b32 vcc_lo, exec_lo, s8
	s_cbranch_vccz .LBB24_1825
; %bb.1821:
	s_cmp_eq_u32 s3, 44
	s_mov_b32 s0, -1
	s_cbranch_scc0 .LBB24_1825
; %bb.1822:
	s_wait_xcnt 0x0
	v_cvt_f32_f16_e32 v4, v1
	v_mov_b32_e32 v5, 0xff
	s_mov_b32 s7, exec_lo
	s_delay_alu instid0(VALU_DEP_2) | instskip(NEXT) | instid1(VALU_DEP_1)
	v_bfe_u32 v6, v4, 23, 8
	v_cmpx_ne_u32_e32 0xff, v6
	s_cbranch_execz .LBB24_1824
; %bb.1823:
	v_and_b32_e32 v5, 0x400000, v4
	v_and_or_b32 v6, 0x3fffff, v4, v6
	v_lshrrev_b32_e32 v4, 23, v4
	s_delay_alu instid0(VALU_DEP_3) | instskip(NEXT) | instid1(VALU_DEP_3)
	v_cmp_ne_u32_e32 vcc_lo, 0, v5
	v_cmp_ne_u32_e64 s0, 0, v6
	s_and_b32 s0, vcc_lo, s0
	s_delay_alu instid0(SALU_CYCLE_1) | instskip(NEXT) | instid1(VALU_DEP_1)
	v_cndmask_b32_e64 v5, 0, 1, s0
	v_add_nc_u32_e32 v5, v4, v5
.LBB24_1824:
	s_or_b32 exec_lo, exec_lo, s7
	s_mov_b32 s0, 0
	s_mov_b32 s7, -1
	global_store_b8 v[2:3], v5, off
.LBB24_1825:
	s_mov_b32 s8, 0
.LBB24_1826:
	s_delay_alu instid0(SALU_CYCLE_1)
	s_and_b32 vcc_lo, exec_lo, s8
	s_cbranch_vccz .LBB24_1829
; %bb.1827:
	s_cmp_eq_u32 s3, 29
	s_mov_b32 s0, -1
	s_cbranch_scc0 .LBB24_1829
; %bb.1828:
	s_wait_xcnt 0x0
	v_cvt_f32_f16_e32 v4, v1
	v_mov_b32_e32 v5, 0
	s_mov_b32 s0, 0
	s_mov_b32 s7, -1
	s_delay_alu instid0(VALU_DEP_2)
	v_cvt_u32_f32_e32 v4, v4
	global_store_b64 v[2:3], v[4:5], off
.LBB24_1829:
	s_mov_b32 s8, 0
.LBB24_1830:
	s_delay_alu instid0(SALU_CYCLE_1)
	s_and_b32 vcc_lo, exec_lo, s8
	s_cbranch_vccz .LBB24_1846
; %bb.1831:
	s_cmp_lt_i32 s3, 27
	s_mov_b32 s7, -1
	s_cbranch_scc1 .LBB24_1837
; %bb.1832:
	s_cmp_gt_i32 s3, 27
	s_cbranch_scc0 .LBB24_1834
; %bb.1833:
	s_wait_xcnt 0x0
	v_cvt_f32_f16_e32 v4, v1
	s_mov_b32 s7, 0
	s_delay_alu instid0(VALU_DEP_1)
	v_cvt_u32_f32_e32 v4, v4
	global_store_b32 v[2:3], v4, off
.LBB24_1834:
	s_and_not1_b32 vcc_lo, exec_lo, s7
	s_cbranch_vccnz .LBB24_1836
; %bb.1835:
	s_wait_xcnt 0x0
	v_cvt_u16_f16_e32 v4, v1
	global_store_b16 v[2:3], v4, off
.LBB24_1836:
	s_mov_b32 s7, 0
.LBB24_1837:
	s_delay_alu instid0(SALU_CYCLE_1)
	s_and_not1_b32 vcc_lo, exec_lo, s7
	s_cbranch_vccnz .LBB24_1845
; %bb.1838:
	s_wait_xcnt 0x0
	v_cvt_f32_f16_e32 v4, v1
	v_mov_b32_e32 v6, 0x80
	s_mov_b32 s7, exec_lo
	s_delay_alu instid0(VALU_DEP_2) | instskip(NEXT) | instid1(VALU_DEP_1)
	v_and_b32_e32 v5, 0x7fffffff, v4
	v_cmpx_gt_u32_e32 0x43800000, v5
	s_cbranch_execz .LBB24_1844
; %bb.1839:
	v_cmp_lt_u32_e32 vcc_lo, 0x3bffffff, v5
	s_mov_b32 s8, 0
                                        ; implicit-def: $vgpr5
	s_and_saveexec_b32 s10, vcc_lo
	s_delay_alu instid0(SALU_CYCLE_1)
	s_xor_b32 s10, exec_lo, s10
	s_cbranch_execz .LBB24_2063
; %bb.1840:
	v_bfe_u32 v5, v4, 20, 1
	s_mov_b32 s8, exec_lo
	s_delay_alu instid0(VALU_DEP_1) | instskip(NEXT) | instid1(VALU_DEP_1)
	v_add3_u32 v5, v4, v5, 0x487ffff
	v_lshrrev_b32_e32 v5, 20, v5
	s_and_not1_saveexec_b32 s10, s10
	s_cbranch_execnz .LBB24_2064
.LBB24_1841:
	s_or_b32 exec_lo, exec_lo, s10
	v_mov_b32_e32 v6, 0
	s_and_saveexec_b32 s10, s8
.LBB24_1842:
	v_lshrrev_b32_e32 v4, 24, v4
	s_delay_alu instid0(VALU_DEP_1)
	v_and_or_b32 v6, 0x80, v4, v5
.LBB24_1843:
	s_or_b32 exec_lo, exec_lo, s10
.LBB24_1844:
	s_delay_alu instid0(SALU_CYCLE_1)
	s_or_b32 exec_lo, exec_lo, s7
	global_store_b8 v[2:3], v6, off
.LBB24_1845:
	s_mov_b32 s7, -1
.LBB24_1846:
	s_mov_b32 s8, 0
.LBB24_1847:
	s_delay_alu instid0(SALU_CYCLE_1)
	s_and_b32 vcc_lo, exec_lo, s8
	s_cbranch_vccz .LBB24_1887
; %bb.1848:
	s_cmp_gt_i32 s3, 22
	s_mov_b32 s6, -1
	s_cbranch_scc0 .LBB24_1880
; %bb.1849:
	s_cmp_lt_i32 s3, 24
	s_cbranch_scc1 .LBB24_1869
; %bb.1850:
	s_cmp_gt_i32 s3, 24
	s_cbranch_scc0 .LBB24_1858
; %bb.1851:
	s_wait_xcnt 0x0
	v_cvt_f32_f16_e32 v4, v1
	v_mov_b32_e32 v6, 0x80
	s_mov_b32 s6, exec_lo
	s_delay_alu instid0(VALU_DEP_2) | instskip(NEXT) | instid1(VALU_DEP_1)
	v_and_b32_e32 v5, 0x7fffffff, v4
	v_cmpx_gt_u32_e32 0x47800000, v5
	s_cbranch_execz .LBB24_1857
; %bb.1852:
	v_cmp_lt_u32_e32 vcc_lo, 0x37ffffff, v5
	s_mov_b32 s7, 0
                                        ; implicit-def: $vgpr5
	s_and_saveexec_b32 s8, vcc_lo
	s_delay_alu instid0(SALU_CYCLE_1)
	s_xor_b32 s8, exec_lo, s8
	s_cbranch_execz .LBB24_2066
; %bb.1853:
	v_bfe_u32 v5, v4, 21, 1
	s_mov_b32 s7, exec_lo
	s_delay_alu instid0(VALU_DEP_1) | instskip(NEXT) | instid1(VALU_DEP_1)
	v_add3_u32 v5, v4, v5, 0x88fffff
	v_lshrrev_b32_e32 v5, 21, v5
	s_and_not1_saveexec_b32 s8, s8
	s_cbranch_execnz .LBB24_2067
.LBB24_1854:
	s_or_b32 exec_lo, exec_lo, s8
	v_mov_b32_e32 v6, 0
	s_and_saveexec_b32 s8, s7
.LBB24_1855:
	v_lshrrev_b32_e32 v4, 24, v4
	s_delay_alu instid0(VALU_DEP_1)
	v_and_or_b32 v6, 0x80, v4, v5
.LBB24_1856:
	s_or_b32 exec_lo, exec_lo, s8
.LBB24_1857:
	s_delay_alu instid0(SALU_CYCLE_1)
	s_or_b32 exec_lo, exec_lo, s6
	s_mov_b32 s6, 0
	global_store_b8 v[2:3], v6, off
.LBB24_1858:
	s_and_b32 vcc_lo, exec_lo, s6
	s_cbranch_vccz .LBB24_1868
; %bb.1859:
	s_wait_xcnt 0x0
	v_cvt_f32_f16_e32 v4, v1
	s_mov_b32 s6, exec_lo
                                        ; implicit-def: $vgpr5
	s_delay_alu instid0(VALU_DEP_1) | instskip(NEXT) | instid1(VALU_DEP_1)
	v_and_b32_e32 v6, 0x7fffffff, v4
	v_cmpx_gt_u32_e32 0x43f00000, v6
	s_xor_b32 s6, exec_lo, s6
	s_cbranch_execz .LBB24_1865
; %bb.1860:
	s_mov_b32 s7, exec_lo
                                        ; implicit-def: $vgpr5
	v_cmpx_lt_u32_e32 0x3c7fffff, v6
	s_xor_b32 s7, exec_lo, s7
; %bb.1861:
	v_bfe_u32 v5, v4, 20, 1
	s_delay_alu instid0(VALU_DEP_1) | instskip(NEXT) | instid1(VALU_DEP_1)
	v_add3_u32 v5, v4, v5, 0x407ffff
	v_and_b32_e32 v6, 0xff00000, v5
	v_lshrrev_b32_e32 v5, 20, v5
	s_delay_alu instid0(VALU_DEP_2) | instskip(NEXT) | instid1(VALU_DEP_2)
	v_cmp_ne_u32_e32 vcc_lo, 0x7f00000, v6
	v_cndmask_b32_e32 v5, 0x7e, v5, vcc_lo
; %bb.1862:
	s_and_not1_saveexec_b32 s7, s7
; %bb.1863:
	v_add_f32_e64 v5, 0x46800000, |v4|
; %bb.1864:
	s_or_b32 exec_lo, exec_lo, s7
                                        ; implicit-def: $vgpr6
.LBB24_1865:
	s_and_not1_saveexec_b32 s6, s6
; %bb.1866:
	v_mov_b32_e32 v5, 0x7f
	v_cmp_lt_u32_e32 vcc_lo, 0x7f800000, v6
	s_delay_alu instid0(VALU_DEP_2)
	v_cndmask_b32_e32 v5, 0x7e, v5, vcc_lo
; %bb.1867:
	s_or_b32 exec_lo, exec_lo, s6
	v_lshrrev_b32_e32 v4, 24, v4
	s_delay_alu instid0(VALU_DEP_1)
	v_and_or_b32 v4, 0x80, v4, v5
	global_store_b8 v[2:3], v4, off
.LBB24_1868:
	s_mov_b32 s6, 0
.LBB24_1869:
	s_delay_alu instid0(SALU_CYCLE_1)
	s_and_not1_b32 vcc_lo, exec_lo, s6
	s_cbranch_vccnz .LBB24_1879
; %bb.1870:
	s_wait_xcnt 0x0
	v_cvt_f32_f16_e32 v4, v1
	s_mov_b32 s6, exec_lo
                                        ; implicit-def: $vgpr5
	s_delay_alu instid0(VALU_DEP_1) | instskip(NEXT) | instid1(VALU_DEP_1)
	v_and_b32_e32 v6, 0x7fffffff, v4
	v_cmpx_gt_u32_e32 0x47800000, v6
	s_xor_b32 s6, exec_lo, s6
	s_cbranch_execz .LBB24_1876
; %bb.1871:
	s_mov_b32 s7, exec_lo
                                        ; implicit-def: $vgpr5
	v_cmpx_lt_u32_e32 0x387fffff, v6
	s_xor_b32 s7, exec_lo, s7
; %bb.1872:
	v_bfe_u32 v5, v4, 21, 1
	s_delay_alu instid0(VALU_DEP_1) | instskip(NEXT) | instid1(VALU_DEP_1)
	v_add3_u32 v5, v4, v5, 0x80fffff
	v_lshrrev_b32_e32 v5, 21, v5
; %bb.1873:
	s_and_not1_saveexec_b32 s7, s7
; %bb.1874:
	v_add_f32_e64 v5, 0x43000000, |v4|
; %bb.1875:
	s_or_b32 exec_lo, exec_lo, s7
                                        ; implicit-def: $vgpr6
.LBB24_1876:
	s_and_not1_saveexec_b32 s6, s6
; %bb.1877:
	v_mov_b32_e32 v5, 0x7f
	v_cmp_lt_u32_e32 vcc_lo, 0x7f800000, v6
	s_delay_alu instid0(VALU_DEP_2)
	v_cndmask_b32_e32 v5, 0x7c, v5, vcc_lo
; %bb.1878:
	s_or_b32 exec_lo, exec_lo, s6
	v_lshrrev_b32_e32 v4, 24, v4
	s_delay_alu instid0(VALU_DEP_1)
	v_and_or_b32 v4, 0x80, v4, v5
	global_store_b8 v[2:3], v4, off
.LBB24_1879:
	s_mov_b32 s6, 0
	s_mov_b32 s7, -1
.LBB24_1880:
	s_and_not1_b32 vcc_lo, exec_lo, s6
	s_mov_b32 s6, 0
	s_cbranch_vccnz .LBB24_1887
; %bb.1881:
	s_cmp_gt_i32 s3, 14
	s_mov_b32 s6, -1
	s_cbranch_scc0 .LBB24_1885
; %bb.1882:
	s_cmp_eq_u32 s3, 15
	s_mov_b32 s0, -1
	s_cbranch_scc0 .LBB24_1884
; %bb.1883:
	s_wait_xcnt 0x0
	v_cvt_f32_f16_e32 v4, v1
	v_cmp_o_f16_e32 vcc_lo, v1, v1
	s_mov_b32 s0, 0
	s_mov_b32 s7, -1
	s_delay_alu instid0(VALU_DEP_2) | instskip(NEXT) | instid1(VALU_DEP_1)
	v_bfe_u32 v5, v4, 16, 1
	v_add3_u32 v4, v4, v5, 0x7fff
	s_delay_alu instid0(VALU_DEP_1) | instskip(NEXT) | instid1(VALU_DEP_1)
	v_lshrrev_b32_e32 v4, 16, v4
	v_cndmask_b32_e32 v4, 0x7fc0, v4, vcc_lo
	global_store_b16 v[2:3], v4, off
.LBB24_1884:
	s_mov_b32 s6, 0
.LBB24_1885:
	s_delay_alu instid0(SALU_CYCLE_1)
	s_and_b32 vcc_lo, exec_lo, s6
	s_mov_b32 s6, 0
	s_cbranch_vccz .LBB24_1887
; %bb.1886:
	s_cmp_lg_u32 s3, 11
	s_mov_b32 s6, -1
	s_cselect_b32 s0, -1, 0
.LBB24_1887:
	s_delay_alu instid0(SALU_CYCLE_1)
	s_and_b32 vcc_lo, exec_lo, s0
	s_cbranch_vccnz .LBB24_2065
; %bb.1888:
	s_and_not1_b32 vcc_lo, exec_lo, s6
	s_cbranch_vccnz .LBB24_1890
.LBB24_1889:
	v_cmp_neq_f16_e32 vcc_lo, 0, v1
	s_mov_b32 s7, -1
	s_wait_xcnt 0x0
	v_cndmask_b32_e64 v4, 0, 1, vcc_lo
	global_store_b8 v[2:3], v4, off
.LBB24_1890:
.LBB24_1891:
	s_and_not1_b32 vcc_lo, exec_lo, s7
	s_cbranch_vccnz .LBB24_2007
.LBB24_1892:
	s_wait_xcnt 0x0
	v_dual_mul_f32 v1, v19, v19 :: v_dual_bitop2_b32 v4, 1, v20 bitop3:0x40
	s_mov_b32 s0, 0xb94c1982
	s_mov_b32 s3, 0x37d75334
	s_cmp_lt_i32 s1, 11
	s_delay_alu instid0(VALU_DEP_1) | instskip(SKIP_3) | instid1(VALU_DEP_3)
	v_dual_fmaak_f32 v2, s0, v1, 0x3c0881c4 :: v_dual_lshlrev_b32 v5, 30, v20
	v_cmp_eq_u32_e32 vcc_lo, 0, v4
	s_mov_b32 s0, -1
	v_add_nc_u32_e32 v0, s2, v0
	v_fmaak_f32 v2, v1, v2, 0xbe2aaa9d
	v_fmaak_f32 v3, s3, v1, 0xbab64f3b
	s_mov_b32 s3, 0
	s_delay_alu instid0(VALU_DEP_1) | instskip(NEXT) | instid1(VALU_DEP_1)
	v_dual_mul_f32 v2, v1, v2 :: v_dual_fmaak_f32 v3, v1, v3, 0x3d2aabf7
	v_fmac_f32_e32 v19, v19, v2
	s_delay_alu instid0(VALU_DEP_2) | instskip(SKIP_1) | instid1(VALU_DEP_2)
	v_fmaak_f32 v3, v1, v3, 0xbf000004
	v_and_b32_e32 v2, 0x80000000, v5
	v_fma_f32 v1, v1, v3, 1.0
	s_delay_alu instid0(VALU_DEP_1) | instskip(SKIP_1) | instid1(VALU_DEP_2)
	v_dual_cndmask_b32 v1, v1, v19, vcc_lo :: v_dual_bitop2_b32 v3, v18, v17 bitop3:0x14
	v_cmp_class_f32_e64 vcc_lo, v17, 0x1f8
	v_xor3_b32 v2, v3, v2, v1
	s_delay_alu instid0(VALU_DEP_1) | instskip(NEXT) | instid1(VALU_DEP_1)
	v_dual_cndmask_b32 v2, 0x7fc00000, v2 :: v_dual_ashrrev_i32 v1, 31, v0
	v_add_nc_u64_e32 v[0:1], s[4:5], v[0:1]
	s_delay_alu instid0(VALU_DEP_2)
	v_cvt_f16_f32_e32 v2, v2
	s_cbranch_scc1 .LBB24_2008
; %bb.1893:
	s_and_b32 s2, 0xffff, s1
	s_mov_b32 s4, -1
	s_cmp_gt_i32 s2, 25
	s_mov_b32 s0, 0
	s_cbranch_scc0 .LBB24_1926
; %bb.1894:
	s_cmp_gt_i32 s2, 28
	s_cbranch_scc0 .LBB24_1910
; %bb.1895:
	s_cmp_gt_i32 s2, 43
	;; [unrolled: 3-line block ×3, first 2 shown]
	s_cbranch_scc0 .LBB24_1900
; %bb.1897:
	s_cmp_eq_u32 s2, 46
	s_mov_b32 s0, -1
	s_cbranch_scc0 .LBB24_1899
; %bb.1898:
	v_cvt_f32_f16_e32 v3, v2
	v_cmp_o_f16_e32 vcc_lo, v2, v2
	s_mov_b32 s0, 0
	s_delay_alu instid0(VALU_DEP_2) | instskip(NEXT) | instid1(VALU_DEP_1)
	v_bfe_u32 v4, v3, 16, 1
	v_add3_u32 v3, v3, v4, 0x7fff
	s_delay_alu instid0(VALU_DEP_1) | instskip(NEXT) | instid1(VALU_DEP_1)
	v_lshrrev_b32_e32 v3, 16, v3
	v_cndmask_b32_e32 v3, 0x7fc0, v3, vcc_lo
	global_store_b32 v[0:1], v3, off
.LBB24_1899:
	s_mov_b32 s4, 0
.LBB24_1900:
	s_delay_alu instid0(SALU_CYCLE_1)
	s_and_b32 vcc_lo, exec_lo, s4
	s_cbranch_vccz .LBB24_1905
; %bb.1901:
	s_cmp_eq_u32 s2, 44
	s_mov_b32 s0, -1
	s_cbranch_scc0 .LBB24_1905
; %bb.1902:
	s_wait_xcnt 0x0
	v_cvt_f32_f16_e32 v3, v2
	v_mov_b32_e32 v4, 0xff
	s_mov_b32 s4, exec_lo
	s_delay_alu instid0(VALU_DEP_2) | instskip(NEXT) | instid1(VALU_DEP_1)
	v_bfe_u32 v5, v3, 23, 8
	v_cmpx_ne_u32_e32 0xff, v5
	s_cbranch_execz .LBB24_1904
; %bb.1903:
	v_and_b32_e32 v4, 0x400000, v3
	v_and_or_b32 v5, 0x3fffff, v3, v5
	v_lshrrev_b32_e32 v3, 23, v3
	s_delay_alu instid0(VALU_DEP_3) | instskip(NEXT) | instid1(VALU_DEP_3)
	v_cmp_ne_u32_e32 vcc_lo, 0, v4
	v_cmp_ne_u32_e64 s0, 0, v5
	s_and_b32 s0, vcc_lo, s0
	s_delay_alu instid0(SALU_CYCLE_1) | instskip(NEXT) | instid1(VALU_DEP_1)
	v_cndmask_b32_e64 v4, 0, 1, s0
	v_add_nc_u32_e32 v4, v3, v4
.LBB24_1904:
	s_or_b32 exec_lo, exec_lo, s4
	s_mov_b32 s0, 0
	global_store_b8 v[0:1], v4, off
.LBB24_1905:
	s_mov_b32 s4, 0
.LBB24_1906:
	s_delay_alu instid0(SALU_CYCLE_1)
	s_and_b32 vcc_lo, exec_lo, s4
	s_cbranch_vccz .LBB24_1909
; %bb.1907:
	s_cmp_eq_u32 s2, 29
	s_mov_b32 s0, -1
	s_cbranch_scc0 .LBB24_1909
; %bb.1908:
	s_wait_xcnt 0x0
	v_cvt_f32_f16_e32 v3, v2
	v_mov_b32_e32 v5, 0
	s_mov_b32 s0, 0
	s_delay_alu instid0(VALU_DEP_2)
	v_cvt_u32_f32_e32 v4, v3
	global_store_b64 v[0:1], v[4:5], off
.LBB24_1909:
	s_mov_b32 s4, 0
.LBB24_1910:
	s_delay_alu instid0(SALU_CYCLE_1)
	s_and_b32 vcc_lo, exec_lo, s4
	s_cbranch_vccz .LBB24_1925
; %bb.1911:
	s_cmp_lt_i32 s2, 27
	s_mov_b32 s4, -1
	s_cbranch_scc1 .LBB24_1917
; %bb.1912:
	s_cmp_gt_i32 s2, 27
	s_cbranch_scc0 .LBB24_1914
; %bb.1913:
	s_wait_xcnt 0x0
	v_cvt_f32_f16_e32 v3, v2
	s_mov_b32 s4, 0
	s_delay_alu instid0(VALU_DEP_1)
	v_cvt_u32_f32_e32 v3, v3
	global_store_b32 v[0:1], v3, off
.LBB24_1914:
	s_and_not1_b32 vcc_lo, exec_lo, s4
	s_cbranch_vccnz .LBB24_1916
; %bb.1915:
	s_wait_xcnt 0x0
	v_cvt_u16_f16_e32 v3, v2
	global_store_b16 v[0:1], v3, off
.LBB24_1916:
	s_mov_b32 s4, 0
.LBB24_1917:
	s_delay_alu instid0(SALU_CYCLE_1)
	s_and_not1_b32 vcc_lo, exec_lo, s4
	s_cbranch_vccnz .LBB24_1925
; %bb.1918:
	s_wait_xcnt 0x0
	v_cvt_f32_f16_e32 v3, v2
	v_mov_b32_e32 v5, 0x80
	s_mov_b32 s4, exec_lo
	s_delay_alu instid0(VALU_DEP_2) | instskip(NEXT) | instid1(VALU_DEP_1)
	v_and_b32_e32 v4, 0x7fffffff, v3
	v_cmpx_gt_u32_e32 0x43800000, v4
	s_cbranch_execz .LBB24_1924
; %bb.1919:
	v_cmp_lt_u32_e32 vcc_lo, 0x3bffffff, v4
	s_mov_b32 s5, 0
                                        ; implicit-def: $vgpr4
	s_and_saveexec_b32 s6, vcc_lo
	s_delay_alu instid0(SALU_CYCLE_1)
	s_xor_b32 s6, exec_lo, s6
	s_cbranch_execz .LBB24_2068
; %bb.1920:
	v_bfe_u32 v4, v3, 20, 1
	s_mov_b32 s5, exec_lo
	s_delay_alu instid0(VALU_DEP_1) | instskip(NEXT) | instid1(VALU_DEP_1)
	v_add3_u32 v4, v3, v4, 0x487ffff
	v_lshrrev_b32_e32 v4, 20, v4
	s_and_not1_saveexec_b32 s6, s6
	s_cbranch_execnz .LBB24_2069
.LBB24_1921:
	s_or_b32 exec_lo, exec_lo, s6
	v_mov_b32_e32 v5, 0
	s_and_saveexec_b32 s6, s5
.LBB24_1922:
	v_lshrrev_b32_e32 v3, 24, v3
	s_delay_alu instid0(VALU_DEP_1)
	v_and_or_b32 v5, 0x80, v3, v4
.LBB24_1923:
	s_or_b32 exec_lo, exec_lo, s6
.LBB24_1924:
	s_delay_alu instid0(SALU_CYCLE_1)
	s_or_b32 exec_lo, exec_lo, s4
	global_store_b8 v[0:1], v5, off
.LBB24_1925:
	s_mov_b32 s4, 0
.LBB24_1926:
	s_delay_alu instid0(SALU_CYCLE_1)
	s_and_b32 vcc_lo, exec_lo, s4
	s_cbranch_vccz .LBB24_1966
; %bb.1927:
	s_cmp_gt_i32 s2, 22
	s_mov_b32 s3, -1
	s_cbranch_scc0 .LBB24_1959
; %bb.1928:
	s_cmp_lt_i32 s2, 24
	s_cbranch_scc1 .LBB24_1948
; %bb.1929:
	s_cmp_gt_i32 s2, 24
	s_cbranch_scc0 .LBB24_1937
; %bb.1930:
	s_wait_xcnt 0x0
	v_cvt_f32_f16_e32 v3, v2
	v_mov_b32_e32 v5, 0x80
	s_mov_b32 s3, exec_lo
	s_delay_alu instid0(VALU_DEP_2) | instskip(NEXT) | instid1(VALU_DEP_1)
	v_and_b32_e32 v4, 0x7fffffff, v3
	v_cmpx_gt_u32_e32 0x47800000, v4
	s_cbranch_execz .LBB24_1936
; %bb.1931:
	v_cmp_lt_u32_e32 vcc_lo, 0x37ffffff, v4
	s_mov_b32 s4, 0
                                        ; implicit-def: $vgpr4
	s_and_saveexec_b32 s5, vcc_lo
	s_delay_alu instid0(SALU_CYCLE_1)
	s_xor_b32 s5, exec_lo, s5
	s_cbranch_execz .LBB24_2071
; %bb.1932:
	v_bfe_u32 v4, v3, 21, 1
	s_mov_b32 s4, exec_lo
	s_delay_alu instid0(VALU_DEP_1) | instskip(NEXT) | instid1(VALU_DEP_1)
	v_add3_u32 v4, v3, v4, 0x88fffff
	v_lshrrev_b32_e32 v4, 21, v4
	s_and_not1_saveexec_b32 s5, s5
	s_cbranch_execnz .LBB24_2072
.LBB24_1933:
	s_or_b32 exec_lo, exec_lo, s5
	v_mov_b32_e32 v5, 0
	s_and_saveexec_b32 s5, s4
.LBB24_1934:
	v_lshrrev_b32_e32 v3, 24, v3
	s_delay_alu instid0(VALU_DEP_1)
	v_and_or_b32 v5, 0x80, v3, v4
.LBB24_1935:
	s_or_b32 exec_lo, exec_lo, s5
.LBB24_1936:
	s_delay_alu instid0(SALU_CYCLE_1)
	s_or_b32 exec_lo, exec_lo, s3
	s_mov_b32 s3, 0
	global_store_b8 v[0:1], v5, off
.LBB24_1937:
	s_and_b32 vcc_lo, exec_lo, s3
	s_cbranch_vccz .LBB24_1947
; %bb.1938:
	s_wait_xcnt 0x0
	v_cvt_f32_f16_e32 v3, v2
	s_mov_b32 s3, exec_lo
                                        ; implicit-def: $vgpr4
	s_delay_alu instid0(VALU_DEP_1) | instskip(NEXT) | instid1(VALU_DEP_1)
	v_and_b32_e32 v5, 0x7fffffff, v3
	v_cmpx_gt_u32_e32 0x43f00000, v5
	s_xor_b32 s3, exec_lo, s3
	s_cbranch_execz .LBB24_1944
; %bb.1939:
	s_mov_b32 s4, exec_lo
                                        ; implicit-def: $vgpr4
	v_cmpx_lt_u32_e32 0x3c7fffff, v5
	s_xor_b32 s4, exec_lo, s4
; %bb.1940:
	v_bfe_u32 v4, v3, 20, 1
	s_delay_alu instid0(VALU_DEP_1) | instskip(NEXT) | instid1(VALU_DEP_1)
	v_add3_u32 v4, v3, v4, 0x407ffff
	v_and_b32_e32 v5, 0xff00000, v4
	v_lshrrev_b32_e32 v4, 20, v4
	s_delay_alu instid0(VALU_DEP_2) | instskip(NEXT) | instid1(VALU_DEP_2)
	v_cmp_ne_u32_e32 vcc_lo, 0x7f00000, v5
	v_cndmask_b32_e32 v4, 0x7e, v4, vcc_lo
; %bb.1941:
	s_and_not1_saveexec_b32 s4, s4
; %bb.1942:
	v_add_f32_e64 v4, 0x46800000, |v3|
; %bb.1943:
	s_or_b32 exec_lo, exec_lo, s4
                                        ; implicit-def: $vgpr5
.LBB24_1944:
	s_and_not1_saveexec_b32 s3, s3
; %bb.1945:
	v_mov_b32_e32 v4, 0x7f
	v_cmp_lt_u32_e32 vcc_lo, 0x7f800000, v5
	s_delay_alu instid0(VALU_DEP_2)
	v_cndmask_b32_e32 v4, 0x7e, v4, vcc_lo
; %bb.1946:
	s_or_b32 exec_lo, exec_lo, s3
	v_lshrrev_b32_e32 v3, 24, v3
	s_delay_alu instid0(VALU_DEP_1)
	v_and_or_b32 v3, 0x80, v3, v4
	global_store_b8 v[0:1], v3, off
.LBB24_1947:
	s_mov_b32 s3, 0
.LBB24_1948:
	s_delay_alu instid0(SALU_CYCLE_1)
	s_and_not1_b32 vcc_lo, exec_lo, s3
	s_cbranch_vccnz .LBB24_1958
; %bb.1949:
	s_wait_xcnt 0x0
	v_cvt_f32_f16_e32 v3, v2
	s_mov_b32 s3, exec_lo
                                        ; implicit-def: $vgpr4
	s_delay_alu instid0(VALU_DEP_1) | instskip(NEXT) | instid1(VALU_DEP_1)
	v_and_b32_e32 v5, 0x7fffffff, v3
	v_cmpx_gt_u32_e32 0x47800000, v5
	s_xor_b32 s3, exec_lo, s3
	s_cbranch_execz .LBB24_1955
; %bb.1950:
	s_mov_b32 s4, exec_lo
                                        ; implicit-def: $vgpr4
	v_cmpx_lt_u32_e32 0x387fffff, v5
	s_xor_b32 s4, exec_lo, s4
; %bb.1951:
	v_bfe_u32 v4, v3, 21, 1
	s_delay_alu instid0(VALU_DEP_1) | instskip(NEXT) | instid1(VALU_DEP_1)
	v_add3_u32 v4, v3, v4, 0x80fffff
	v_lshrrev_b32_e32 v4, 21, v4
; %bb.1952:
	s_and_not1_saveexec_b32 s4, s4
; %bb.1953:
	v_add_f32_e64 v4, 0x43000000, |v3|
; %bb.1954:
	s_or_b32 exec_lo, exec_lo, s4
                                        ; implicit-def: $vgpr5
.LBB24_1955:
	s_and_not1_saveexec_b32 s3, s3
; %bb.1956:
	v_mov_b32_e32 v4, 0x7f
	v_cmp_lt_u32_e32 vcc_lo, 0x7f800000, v5
	s_delay_alu instid0(VALU_DEP_2)
	v_cndmask_b32_e32 v4, 0x7c, v4, vcc_lo
; %bb.1957:
	s_or_b32 exec_lo, exec_lo, s3
	v_lshrrev_b32_e32 v3, 24, v3
	s_delay_alu instid0(VALU_DEP_1)
	v_and_or_b32 v3, 0x80, v3, v4
	global_store_b8 v[0:1], v3, off
.LBB24_1958:
	s_mov_b32 s3, 0
.LBB24_1959:
	s_delay_alu instid0(SALU_CYCLE_1)
	s_and_not1_b32 vcc_lo, exec_lo, s3
	s_mov_b32 s3, 0
	s_cbranch_vccnz .LBB24_1966
; %bb.1960:
	s_cmp_gt_i32 s2, 14
	s_mov_b32 s3, -1
	s_cbranch_scc0 .LBB24_1964
; %bb.1961:
	s_cmp_eq_u32 s2, 15
	s_mov_b32 s0, -1
	s_cbranch_scc0 .LBB24_1963
; %bb.1962:
	s_wait_xcnt 0x0
	v_cvt_f32_f16_e32 v3, v2
	v_cmp_o_f16_e32 vcc_lo, v2, v2
	s_mov_b32 s0, 0
	s_delay_alu instid0(VALU_DEP_2) | instskip(NEXT) | instid1(VALU_DEP_1)
	v_bfe_u32 v4, v3, 16, 1
	v_add3_u32 v3, v3, v4, 0x7fff
	s_delay_alu instid0(VALU_DEP_1) | instskip(NEXT) | instid1(VALU_DEP_1)
	v_lshrrev_b32_e32 v3, 16, v3
	v_cndmask_b32_e32 v3, 0x7fc0, v3, vcc_lo
	global_store_b16 v[0:1], v3, off
.LBB24_1963:
	s_mov_b32 s3, 0
.LBB24_1964:
	s_delay_alu instid0(SALU_CYCLE_1)
	s_and_b32 vcc_lo, exec_lo, s3
	s_mov_b32 s3, 0
	s_cbranch_vccz .LBB24_1966
; %bb.1965:
	s_cmp_lg_u32 s2, 11
	s_mov_b32 s3, -1
	s_cselect_b32 s0, -1, 0
.LBB24_1966:
	s_delay_alu instid0(SALU_CYCLE_1)
	s_and_b32 vcc_lo, exec_lo, s0
	s_cbranch_vccnz .LBB24_2070
.LBB24_1967:
	s_mov_b32 s0, 0
	s_branch .LBB24_2008
.LBB24_1968:
	s_and_b32 vcc_lo, exec_lo, s0
	s_cbranch_vccz .LBB24_1891
; %bb.1969:
	s_and_b32 s0, 0xffff, s1
	s_mov_b32 s3, -1
	s_cmp_lt_i32 s0, 5
	s_cbranch_scc1 .LBB24_1990
; %bb.1970:
	s_cmp_lt_i32 s0, 8
	s_cbranch_scc1 .LBB24_1980
; %bb.1971:
	;; [unrolled: 3-line block ×3, first 2 shown]
	s_cmp_gt_i32 s0, 9
	s_cbranch_scc0 .LBB24_1974
; %bb.1973:
	s_wait_xcnt 0x0
	v_cvt_f32_f16_e32 v4, v1
	v_mov_b32_e32 v6, 0
	s_mov_b32 s3, 0
	s_delay_alu instid0(VALU_DEP_2) | instskip(NEXT) | instid1(VALU_DEP_2)
	v_cvt_f64_f32_e32 v[4:5], v4
	v_mov_b32_e32 v7, v6
	global_store_b128 v[2:3], v[4:7], off
.LBB24_1974:
	s_and_not1_b32 vcc_lo, exec_lo, s3
	s_cbranch_vccnz .LBB24_1976
; %bb.1975:
	s_wait_xcnt 0x0
	v_cvt_f32_f16_e32 v4, v1
	v_mov_b32_e32 v5, 0
	global_store_b64 v[2:3], v[4:5], off
.LBB24_1976:
	s_mov_b32 s3, 0
.LBB24_1977:
	s_delay_alu instid0(SALU_CYCLE_1)
	s_and_not1_b32 vcc_lo, exec_lo, s3
	s_cbranch_vccnz .LBB24_1979
; %bb.1978:
	s_wait_xcnt 0x0
	v_and_b32_e32 v4, 0xffff, v1
	global_store_b32 v[2:3], v4, off
.LBB24_1979:
	s_mov_b32 s3, 0
.LBB24_1980:
	s_delay_alu instid0(SALU_CYCLE_1)
	s_and_not1_b32 vcc_lo, exec_lo, s3
	s_cbranch_vccnz .LBB24_1989
; %bb.1981:
	s_cmp_lt_i32 s0, 6
	s_mov_b32 s3, -1
	s_cbranch_scc1 .LBB24_1987
; %bb.1982:
	s_cmp_gt_i32 s0, 6
	s_cbranch_scc0 .LBB24_1984
; %bb.1983:
	s_wait_xcnt 0x0
	v_cvt_f32_f16_e32 v4, v1
	s_mov_b32 s3, 0
	s_delay_alu instid0(VALU_DEP_1)
	v_cvt_f64_f32_e32 v[4:5], v4
	global_store_b64 v[2:3], v[4:5], off
.LBB24_1984:
	s_and_not1_b32 vcc_lo, exec_lo, s3
	s_cbranch_vccnz .LBB24_1986
; %bb.1985:
	s_wait_xcnt 0x0
	v_cvt_f32_f16_e32 v4, v1
	global_store_b32 v[2:3], v4, off
.LBB24_1986:
	s_mov_b32 s3, 0
.LBB24_1987:
	s_delay_alu instid0(SALU_CYCLE_1)
	s_and_not1_b32 vcc_lo, exec_lo, s3
	s_cbranch_vccnz .LBB24_1989
; %bb.1988:
	global_store_b16 v[2:3], v1, off
.LBB24_1989:
	s_mov_b32 s3, 0
.LBB24_1990:
	s_delay_alu instid0(SALU_CYCLE_1)
	s_and_not1_b32 vcc_lo, exec_lo, s3
	s_cbranch_vccnz .LBB24_2006
; %bb.1991:
	s_cmp_lt_i32 s0, 2
	s_mov_b32 s3, -1
	s_cbranch_scc1 .LBB24_2001
; %bb.1992:
	s_cmp_lt_i32 s0, 3
	s_cbranch_scc1 .LBB24_1998
; %bb.1993:
	s_cmp_gt_i32 s0, 3
	s_cbranch_scc0 .LBB24_1995
; %bb.1994:
	s_wait_xcnt 0x0
	v_cvt_f32_f16_e32 v4, v1
	s_mov_b32 s3, 0
	s_delay_alu instid0(VALU_DEP_1) | instskip(NEXT) | instid1(VALU_DEP_1)
	v_cvt_i32_f32_e32 v4, v4
	v_ashrrev_i32_e32 v5, 31, v4
	global_store_b64 v[2:3], v[4:5], off
.LBB24_1995:
	s_and_not1_b32 vcc_lo, exec_lo, s3
	s_cbranch_vccnz .LBB24_1997
; %bb.1996:
	s_wait_xcnt 0x0
	v_cvt_f32_f16_e32 v4, v1
	s_delay_alu instid0(VALU_DEP_1)
	v_cvt_i32_f32_e32 v4, v4
	global_store_b32 v[2:3], v4, off
.LBB24_1997:
	s_mov_b32 s3, 0
.LBB24_1998:
	s_delay_alu instid0(SALU_CYCLE_1)
	s_and_not1_b32 vcc_lo, exec_lo, s3
	s_cbranch_vccnz .LBB24_2000
; %bb.1999:
	s_wait_xcnt 0x0
	v_cvt_i16_f16_e32 v4, v1
	global_store_b16 v[2:3], v4, off
.LBB24_2000:
	s_mov_b32 s3, 0
.LBB24_2001:
	s_delay_alu instid0(SALU_CYCLE_1)
	s_and_not1_b32 vcc_lo, exec_lo, s3
	s_cbranch_vccnz .LBB24_2006
; %bb.2002:
	s_cmp_gt_i32 s0, 0
	s_mov_b32 s0, -1
	s_cbranch_scc0 .LBB24_2004
; %bb.2003:
	s_wait_xcnt 0x0
	v_cvt_i16_f16_e32 v4, v1
	s_mov_b32 s0, 0
	global_store_b8 v[2:3], v4, off
.LBB24_2004:
	s_and_not1_b32 vcc_lo, exec_lo, s0
	s_cbranch_vccnz .LBB24_2006
; %bb.2005:
	s_wait_xcnt 0x0
	v_cvt_f32_f16_e32 v1, v1
	s_delay_alu instid0(VALU_DEP_1)
	v_cvt_i32_f32_e32 v1, v1
	global_store_b8 v[2:3], v1, off
.LBB24_2006:
	s_branch .LBB24_1892
.LBB24_2007:
	s_mov_b32 s0, 0
	s_mov_b32 s3, 0
                                        ; implicit-def: $sgpr1
                                        ; implicit-def: $vgpr0_vgpr1
                                        ; implicit-def: $vgpr2
.LBB24_2008:
	s_and_not1_b32 s2, s12, exec_lo
	s_and_b32 s4, s9, exec_lo
	s_and_b32 s0, s0, exec_lo
	;; [unrolled: 1-line block ×3, first 2 shown]
	s_or_b32 s12, s2, s4
.LBB24_2009:
	s_wait_xcnt 0x0
	s_or_b32 exec_lo, exec_lo, s11
	s_and_saveexec_b32 s2, s12
	s_cbranch_execz .LBB24_2012
; %bb.2010:
	; divergent unreachable
	s_or_b32 exec_lo, exec_lo, s2
	s_and_saveexec_b32 s2, s9
	s_delay_alu instid0(SALU_CYCLE_1)
	s_xor_b32 s2, exec_lo, s2
	s_cbranch_execnz .LBB24_2013
.LBB24_2011:
	s_or_b32 exec_lo, exec_lo, s2
	s_and_saveexec_b32 s2, s0
	s_cbranch_execnz .LBB24_2014
	s_branch .LBB24_2051
.LBB24_2012:
	s_or_b32 exec_lo, exec_lo, s2
	s_and_saveexec_b32 s2, s9
	s_delay_alu instid0(SALU_CYCLE_1)
	s_xor_b32 s2, exec_lo, s2
	s_cbranch_execz .LBB24_2011
.LBB24_2013:
	s_wait_loadcnt 0x0
	v_cmp_neq_f16_e32 vcc_lo, 0, v2
	v_cndmask_b32_e64 v3, 0, 1, vcc_lo
	global_store_b8 v[0:1], v3, off
	s_wait_xcnt 0x0
	s_or_b32 exec_lo, exec_lo, s2
	s_and_saveexec_b32 s2, s0
	s_cbranch_execz .LBB24_2051
.LBB24_2014:
	s_sext_i32_i16 s2, s1
	s_mov_b32 s0, -1
	s_cmp_lt_i32 s2, 5
	s_cbranch_scc1 .LBB24_2035
; %bb.2015:
	s_cmp_lt_i32 s2, 8
	s_cbranch_scc1 .LBB24_2025
; %bb.2016:
	;; [unrolled: 3-line block ×3, first 2 shown]
	s_cmp_gt_i32 s2, 9
	s_cbranch_scc0 .LBB24_2019
; %bb.2018:
	s_wait_loadcnt 0x0
	v_cvt_f32_f16_e32 v3, v2
	v_mov_b32_e32 v6, 0
	s_mov_b32 s0, 0
	s_delay_alu instid0(VALU_DEP_2) | instskip(NEXT) | instid1(VALU_DEP_2)
	v_cvt_f64_f32_e32 v[4:5], v3
	v_mov_b32_e32 v7, v6
	global_store_b128 v[0:1], v[4:7], off
.LBB24_2019:
	s_and_not1_b32 vcc_lo, exec_lo, s0
	s_cbranch_vccnz .LBB24_2021
; %bb.2020:
	s_wait_loadcnt 0x0
	v_cvt_f32_f16_e32 v4, v2
	v_mov_b32_e32 v5, 0
	global_store_b64 v[0:1], v[4:5], off
.LBB24_2021:
	s_mov_b32 s0, 0
.LBB24_2022:
	s_delay_alu instid0(SALU_CYCLE_1)
	s_and_not1_b32 vcc_lo, exec_lo, s0
	s_cbranch_vccnz .LBB24_2024
; %bb.2023:
	s_wait_loadcnt 0x0
	v_and_b32_e32 v3, 0xffff, v2
	global_store_b32 v[0:1], v3, off
.LBB24_2024:
	s_mov_b32 s0, 0
.LBB24_2025:
	s_delay_alu instid0(SALU_CYCLE_1)
	s_and_not1_b32 vcc_lo, exec_lo, s0
	s_cbranch_vccnz .LBB24_2034
; %bb.2026:
	s_sext_i32_i16 s2, s1
	s_mov_b32 s0, -1
	s_cmp_lt_i32 s2, 6
	s_cbranch_scc1 .LBB24_2032
; %bb.2027:
	s_cmp_gt_i32 s2, 6
	s_cbranch_scc0 .LBB24_2029
; %bb.2028:
	s_wait_loadcnt 0x0
	v_cvt_f32_f16_e32 v3, v2
	s_mov_b32 s0, 0
	s_delay_alu instid0(VALU_DEP_1)
	v_cvt_f64_f32_e32 v[4:5], v3
	global_store_b64 v[0:1], v[4:5], off
.LBB24_2029:
	s_and_not1_b32 vcc_lo, exec_lo, s0
	s_cbranch_vccnz .LBB24_2031
; %bb.2030:
	s_wait_loadcnt 0x0
	v_cvt_f32_f16_e32 v3, v2
	global_store_b32 v[0:1], v3, off
.LBB24_2031:
	s_mov_b32 s0, 0
.LBB24_2032:
	s_delay_alu instid0(SALU_CYCLE_1)
	s_and_not1_b32 vcc_lo, exec_lo, s0
	s_cbranch_vccnz .LBB24_2034
; %bb.2033:
	s_wait_loadcnt 0x0
	global_store_b16 v[0:1], v2, off
.LBB24_2034:
	s_mov_b32 s0, 0
.LBB24_2035:
	s_delay_alu instid0(SALU_CYCLE_1)
	s_and_not1_b32 vcc_lo, exec_lo, s0
	s_cbranch_vccnz .LBB24_2051
; %bb.2036:
	s_sext_i32_i16 s2, s1
	s_mov_b32 s0, -1
	s_cmp_lt_i32 s2, 2
	s_cbranch_scc1 .LBB24_2046
; %bb.2037:
	s_cmp_lt_i32 s2, 3
	s_cbranch_scc1 .LBB24_2043
; %bb.2038:
	s_cmp_gt_i32 s2, 3
	s_cbranch_scc0 .LBB24_2040
; %bb.2039:
	s_wait_loadcnt 0x0
	v_cvt_f32_f16_e32 v3, v2
	s_mov_b32 s0, 0
	s_delay_alu instid0(VALU_DEP_1) | instskip(NEXT) | instid1(VALU_DEP_1)
	v_cvt_i32_f32_e32 v4, v3
	v_ashrrev_i32_e32 v5, 31, v4
	global_store_b64 v[0:1], v[4:5], off
.LBB24_2040:
	s_and_not1_b32 vcc_lo, exec_lo, s0
	s_cbranch_vccnz .LBB24_2042
; %bb.2041:
	s_wait_loadcnt 0x0
	v_cvt_f32_f16_e32 v3, v2
	s_delay_alu instid0(VALU_DEP_1)
	v_cvt_i32_f32_e32 v3, v3
	global_store_b32 v[0:1], v3, off
.LBB24_2042:
	s_mov_b32 s0, 0
.LBB24_2043:
	s_delay_alu instid0(SALU_CYCLE_1)
	s_and_not1_b32 vcc_lo, exec_lo, s0
	s_cbranch_vccnz .LBB24_2045
; %bb.2044:
	s_wait_loadcnt 0x0
	v_cvt_i16_f16_e32 v3, v2
	global_store_b16 v[0:1], v3, off
.LBB24_2045:
	s_mov_b32 s0, 0
.LBB24_2046:
	s_delay_alu instid0(SALU_CYCLE_1)
	s_and_not1_b32 vcc_lo, exec_lo, s0
	s_cbranch_vccnz .LBB24_2051
; %bb.2047:
	s_sext_i32_i16 s0, s1
	s_delay_alu instid0(SALU_CYCLE_1)
	s_cmp_gt_i32 s0, 0
	s_mov_b32 s0, -1
	s_cbranch_scc0 .LBB24_2049
; %bb.2048:
	s_wait_loadcnt 0x0
	v_cvt_i16_f16_e32 v3, v2
	s_mov_b32 s0, 0
	global_store_b8 v[0:1], v3, off
.LBB24_2049:
	s_and_not1_b32 vcc_lo, exec_lo, s0
	s_cbranch_vccnz .LBB24_2051
; %bb.2050:
	s_wait_loadcnt 0x0
	v_cvt_f32_f16_e32 v2, v2
	s_delay_alu instid0(VALU_DEP_1)
	v_cvt_i32_f32_e32 v2, v2
	global_store_b8 v[0:1], v2, off
	s_endpgm
.LBB24_2051:
	s_endpgm
.LBB24_2052:
	s_or_b32 s9, s9, exec_lo
	s_trap 2
	s_cbranch_execz .LBB24_1521
	s_branch .LBB24_1522
.LBB24_2053:
	s_and_not1_saveexec_b32 s10, s10
	s_cbranch_execz .LBB24_1605
.LBB24_2054:
	v_add_f32_e64 v5, 0x46000000, |v4|
	s_and_not1_b32 s8, s8, exec_lo
	s_delay_alu instid0(VALU_DEP_1) | instskip(NEXT) | instid1(VALU_DEP_1)
	v_and_b32_e32 v5, 0xff, v5
	v_cmp_ne_u32_e32 vcc_lo, 0, v5
	s_and_b32 s13, vcc_lo, exec_lo
	s_delay_alu instid0(SALU_CYCLE_1)
	s_or_b32 s8, s8, s13
	s_or_b32 exec_lo, exec_lo, s10
	v_mov_b32_e32 v6, 0
	s_and_saveexec_b32 s10, s8
	s_cbranch_execnz .LBB24_1606
	s_branch .LBB24_1607
.LBB24_2055:
	s_or_b32 s9, s9, exec_lo
	s_trap 2
	s_cbranch_execz .LBB24_1653
	s_branch .LBB24_1654
.LBB24_2056:
	s_and_not1_saveexec_b32 s8, s8
	s_cbranch_execz .LBB24_1618
.LBB24_2057:
	v_add_f32_e64 v5, 0x42800000, |v4|
	s_and_not1_b32 s7, s7, exec_lo
	s_delay_alu instid0(VALU_DEP_1) | instskip(NEXT) | instid1(VALU_DEP_1)
	v_and_b32_e32 v5, 0xff, v5
	v_cmp_ne_u32_e32 vcc_lo, 0, v5
	s_and_b32 s10, vcc_lo, exec_lo
	s_delay_alu instid0(SALU_CYCLE_1)
	s_or_b32 s7, s7, s10
	s_or_b32 exec_lo, exec_lo, s8
	v_mov_b32_e32 v6, 0
	s_and_saveexec_b32 s8, s7
	s_cbranch_execnz .LBB24_1619
	s_branch .LBB24_1620
.LBB24_2058:
	s_and_not1_saveexec_b32 s10, s10
	s_cbranch_execz .LBB24_1723
.LBB24_2059:
	v_add_f32_e64 v5, 0x46000000, |v4|
	s_and_not1_b32 s8, s8, exec_lo
	s_delay_alu instid0(VALU_DEP_1) | instskip(NEXT) | instid1(VALU_DEP_1)
	v_and_b32_e32 v5, 0xff, v5
	v_cmp_ne_u32_e32 vcc_lo, 0, v5
	s_and_b32 s13, vcc_lo, exec_lo
	s_delay_alu instid0(SALU_CYCLE_1)
	s_or_b32 s8, s8, s13
	s_or_b32 exec_lo, exec_lo, s10
	v_mov_b32_e32 v6, 0
	s_and_saveexec_b32 s10, s8
	s_cbranch_execnz .LBB24_1724
	s_branch .LBB24_1725
.LBB24_2060:
	s_or_b32 s9, s9, exec_lo
	s_trap 2
	s_cbranch_execz .LBB24_1771
	s_branch .LBB24_1772
.LBB24_2061:
	s_and_not1_saveexec_b32 s8, s8
	s_cbranch_execz .LBB24_1736
.LBB24_2062:
	v_add_f32_e64 v5, 0x42800000, |v4|
	s_and_not1_b32 s7, s7, exec_lo
	s_delay_alu instid0(VALU_DEP_1) | instskip(NEXT) | instid1(VALU_DEP_1)
	v_and_b32_e32 v5, 0xff, v5
	v_cmp_ne_u32_e32 vcc_lo, 0, v5
	s_and_b32 s10, vcc_lo, exec_lo
	s_delay_alu instid0(SALU_CYCLE_1)
	s_or_b32 s7, s7, s10
	s_or_b32 exec_lo, exec_lo, s8
	v_mov_b32_e32 v6, 0
	s_and_saveexec_b32 s8, s7
	s_cbranch_execnz .LBB24_1737
	s_branch .LBB24_1738
.LBB24_2063:
	s_and_not1_saveexec_b32 s10, s10
	s_cbranch_execz .LBB24_1841
.LBB24_2064:
	v_add_f32_e64 v5, 0x46000000, |v4|
	s_and_not1_b32 s8, s8, exec_lo
	s_delay_alu instid0(VALU_DEP_1) | instskip(NEXT) | instid1(VALU_DEP_1)
	v_and_b32_e32 v5, 0xff, v5
	v_cmp_ne_u32_e32 vcc_lo, 0, v5
	s_and_b32 s13, vcc_lo, exec_lo
	s_delay_alu instid0(SALU_CYCLE_1)
	s_or_b32 s8, s8, s13
	s_or_b32 exec_lo, exec_lo, s10
	v_mov_b32_e32 v6, 0
	s_and_saveexec_b32 s10, s8
	s_cbranch_execnz .LBB24_1842
	s_branch .LBB24_1843
.LBB24_2065:
	s_or_b32 s9, s9, exec_lo
	s_trap 2
	s_cbranch_execz .LBB24_1889
	s_branch .LBB24_1890
.LBB24_2066:
	s_and_not1_saveexec_b32 s8, s8
	s_cbranch_execz .LBB24_1854
.LBB24_2067:
	v_add_f32_e64 v5, 0x42800000, |v4|
	s_and_not1_b32 s7, s7, exec_lo
	s_delay_alu instid0(VALU_DEP_1) | instskip(NEXT) | instid1(VALU_DEP_1)
	v_and_b32_e32 v5, 0xff, v5
	v_cmp_ne_u32_e32 vcc_lo, 0, v5
	s_and_b32 s10, vcc_lo, exec_lo
	s_delay_alu instid0(SALU_CYCLE_1)
	s_or_b32 s7, s7, s10
	s_or_b32 exec_lo, exec_lo, s8
	v_mov_b32_e32 v6, 0
	s_and_saveexec_b32 s8, s7
	s_cbranch_execnz .LBB24_1855
	s_branch .LBB24_1856
.LBB24_2068:
	s_and_not1_saveexec_b32 s6, s6
	s_cbranch_execz .LBB24_1921
.LBB24_2069:
	v_add_f32_e64 v4, 0x46000000, |v3|
	s_and_not1_b32 s5, s5, exec_lo
	s_delay_alu instid0(VALU_DEP_1) | instskip(NEXT) | instid1(VALU_DEP_1)
	v_and_b32_e32 v4, 0xff, v4
	v_cmp_ne_u32_e32 vcc_lo, 0, v4
	s_and_b32 s7, vcc_lo, exec_lo
	s_delay_alu instid0(SALU_CYCLE_1)
	s_or_b32 s5, s5, s7
	s_or_b32 exec_lo, exec_lo, s6
	v_mov_b32_e32 v5, 0
	s_and_saveexec_b32 s6, s5
	s_cbranch_execnz .LBB24_1922
	s_branch .LBB24_1923
.LBB24_2070:
	s_mov_b32 s3, 0
	s_or_b32 s9, s9, exec_lo
	s_trap 2
	s_branch .LBB24_1967
.LBB24_2071:
	s_and_not1_saveexec_b32 s5, s5
	s_cbranch_execz .LBB24_1933
.LBB24_2072:
	v_add_f32_e64 v4, 0x42800000, |v3|
	s_and_not1_b32 s4, s4, exec_lo
	s_delay_alu instid0(VALU_DEP_1) | instskip(NEXT) | instid1(VALU_DEP_1)
	v_and_b32_e32 v4, 0xff, v4
	v_cmp_ne_u32_e32 vcc_lo, 0, v4
	s_and_b32 s6, vcc_lo, exec_lo
	s_delay_alu instid0(SALU_CYCLE_1)
	s_or_b32 s4, s4, s6
	s_or_b32 exec_lo, exec_lo, s5
	v_mov_b32_e32 v5, 0
	s_and_saveexec_b32 s5, s4
	s_cbranch_execnz .LBB24_1934
	s_branch .LBB24_1935
	.section	.rodata,"a",@progbits
	.p2align	6, 0x0
	.amdhsa_kernel _ZN2at6native32elementwise_kernel_manual_unrollILi128ELi4EZNS0_15gpu_kernel_implIZZZNS0_15sin_kernel_cudaERNS_18TensorIteratorBaseEENKUlvE0_clEvENKUlvE1_clEvEUlN3c104HalfEE_EEvS4_RKT_EUlibE_EEviT1_
		.amdhsa_group_segment_fixed_size 0
		.amdhsa_private_segment_fixed_size 0
		.amdhsa_kernarg_size 40
		.amdhsa_user_sgpr_count 2
		.amdhsa_user_sgpr_dispatch_ptr 0
		.amdhsa_user_sgpr_queue_ptr 0
		.amdhsa_user_sgpr_kernarg_segment_ptr 1
		.amdhsa_user_sgpr_dispatch_id 0
		.amdhsa_user_sgpr_kernarg_preload_length 0
		.amdhsa_user_sgpr_kernarg_preload_offset 0
		.amdhsa_user_sgpr_private_segment_size 0
		.amdhsa_wavefront_size32 1
		.amdhsa_uses_dynamic_stack 0
		.amdhsa_enable_private_segment 0
		.amdhsa_system_sgpr_workgroup_id_x 1
		.amdhsa_system_sgpr_workgroup_id_y 0
		.amdhsa_system_sgpr_workgroup_id_z 0
		.amdhsa_system_sgpr_workgroup_info 0
		.amdhsa_system_vgpr_workitem_id 0
		.amdhsa_next_free_vgpr 32
		.amdhsa_next_free_sgpr 26
		.amdhsa_named_barrier_count 0
		.amdhsa_reserve_vcc 1
		.amdhsa_float_round_mode_32 0
		.amdhsa_float_round_mode_16_64 0
		.amdhsa_float_denorm_mode_32 3
		.amdhsa_float_denorm_mode_16_64 3
		.amdhsa_fp16_overflow 0
		.amdhsa_memory_ordered 1
		.amdhsa_forward_progress 1
		.amdhsa_inst_pref_size 255
		.amdhsa_round_robin_scheduling 0
		.amdhsa_exception_fp_ieee_invalid_op 0
		.amdhsa_exception_fp_denorm_src 0
		.amdhsa_exception_fp_ieee_div_zero 0
		.amdhsa_exception_fp_ieee_overflow 0
		.amdhsa_exception_fp_ieee_underflow 0
		.amdhsa_exception_fp_ieee_inexact 0
		.amdhsa_exception_int_div_zero 0
	.end_amdhsa_kernel
	.section	.text._ZN2at6native32elementwise_kernel_manual_unrollILi128ELi4EZNS0_15gpu_kernel_implIZZZNS0_15sin_kernel_cudaERNS_18TensorIteratorBaseEENKUlvE0_clEvENKUlvE1_clEvEUlN3c104HalfEE_EEvS4_RKT_EUlibE_EEviT1_,"axG",@progbits,_ZN2at6native32elementwise_kernel_manual_unrollILi128ELi4EZNS0_15gpu_kernel_implIZZZNS0_15sin_kernel_cudaERNS_18TensorIteratorBaseEENKUlvE0_clEvENKUlvE1_clEvEUlN3c104HalfEE_EEvS4_RKT_EUlibE_EEviT1_,comdat
.Lfunc_end24:
	.size	_ZN2at6native32elementwise_kernel_manual_unrollILi128ELi4EZNS0_15gpu_kernel_implIZZZNS0_15sin_kernel_cudaERNS_18TensorIteratorBaseEENKUlvE0_clEvENKUlvE1_clEvEUlN3c104HalfEE_EEvS4_RKT_EUlibE_EEviT1_, .Lfunc_end24-_ZN2at6native32elementwise_kernel_manual_unrollILi128ELi4EZNS0_15gpu_kernel_implIZZZNS0_15sin_kernel_cudaERNS_18TensorIteratorBaseEENKUlvE0_clEvENKUlvE1_clEvEUlN3c104HalfEE_EEvS4_RKT_EUlibE_EEviT1_
                                        ; -- End function
	.set _ZN2at6native32elementwise_kernel_manual_unrollILi128ELi4EZNS0_15gpu_kernel_implIZZZNS0_15sin_kernel_cudaERNS_18TensorIteratorBaseEENKUlvE0_clEvENKUlvE1_clEvEUlN3c104HalfEE_EEvS4_RKT_EUlibE_EEviT1_.num_vgpr, 32
	.set _ZN2at6native32elementwise_kernel_manual_unrollILi128ELi4EZNS0_15gpu_kernel_implIZZZNS0_15sin_kernel_cudaERNS_18TensorIteratorBaseEENKUlvE0_clEvENKUlvE1_clEvEUlN3c104HalfEE_EEvS4_RKT_EUlibE_EEviT1_.num_agpr, 0
	.set _ZN2at6native32elementwise_kernel_manual_unrollILi128ELi4EZNS0_15gpu_kernel_implIZZZNS0_15sin_kernel_cudaERNS_18TensorIteratorBaseEENKUlvE0_clEvENKUlvE1_clEvEUlN3c104HalfEE_EEvS4_RKT_EUlibE_EEviT1_.numbered_sgpr, 26
	.set _ZN2at6native32elementwise_kernel_manual_unrollILi128ELi4EZNS0_15gpu_kernel_implIZZZNS0_15sin_kernel_cudaERNS_18TensorIteratorBaseEENKUlvE0_clEvENKUlvE1_clEvEUlN3c104HalfEE_EEvS4_RKT_EUlibE_EEviT1_.num_named_barrier, 0
	.set _ZN2at6native32elementwise_kernel_manual_unrollILi128ELi4EZNS0_15gpu_kernel_implIZZZNS0_15sin_kernel_cudaERNS_18TensorIteratorBaseEENKUlvE0_clEvENKUlvE1_clEvEUlN3c104HalfEE_EEvS4_RKT_EUlibE_EEviT1_.private_seg_size, 0
	.set _ZN2at6native32elementwise_kernel_manual_unrollILi128ELi4EZNS0_15gpu_kernel_implIZZZNS0_15sin_kernel_cudaERNS_18TensorIteratorBaseEENKUlvE0_clEvENKUlvE1_clEvEUlN3c104HalfEE_EEvS4_RKT_EUlibE_EEviT1_.uses_vcc, 1
	.set _ZN2at6native32elementwise_kernel_manual_unrollILi128ELi4EZNS0_15gpu_kernel_implIZZZNS0_15sin_kernel_cudaERNS_18TensorIteratorBaseEENKUlvE0_clEvENKUlvE1_clEvEUlN3c104HalfEE_EEvS4_RKT_EUlibE_EEviT1_.uses_flat_scratch, 0
	.set _ZN2at6native32elementwise_kernel_manual_unrollILi128ELi4EZNS0_15gpu_kernel_implIZZZNS0_15sin_kernel_cudaERNS_18TensorIteratorBaseEENKUlvE0_clEvENKUlvE1_clEvEUlN3c104HalfEE_EEvS4_RKT_EUlibE_EEviT1_.has_dyn_sized_stack, 0
	.set _ZN2at6native32elementwise_kernel_manual_unrollILi128ELi4EZNS0_15gpu_kernel_implIZZZNS0_15sin_kernel_cudaERNS_18TensorIteratorBaseEENKUlvE0_clEvENKUlvE1_clEvEUlN3c104HalfEE_EEvS4_RKT_EUlibE_EEviT1_.has_recursion, 0
	.set _ZN2at6native32elementwise_kernel_manual_unrollILi128ELi4EZNS0_15gpu_kernel_implIZZZNS0_15sin_kernel_cudaERNS_18TensorIteratorBaseEENKUlvE0_clEvENKUlvE1_clEvEUlN3c104HalfEE_EEvS4_RKT_EUlibE_EEviT1_.has_indirect_call, 0
	.section	.AMDGPU.csdata,"",@progbits
; Kernel info:
; codeLenInByte = 49128
; TotalNumSgprs: 28
; NumVgprs: 32
; ScratchSize: 0
; MemoryBound: 0
; FloatMode: 240
; IeeeMode: 1
; LDSByteSize: 0 bytes/workgroup (compile time only)
; SGPRBlocks: 0
; VGPRBlocks: 1
; NumSGPRsForWavesPerEU: 28
; NumVGPRsForWavesPerEU: 32
; NamedBarCnt: 0
; Occupancy: 16
; WaveLimiterHint : 0
; COMPUTE_PGM_RSRC2:SCRATCH_EN: 0
; COMPUTE_PGM_RSRC2:USER_SGPR: 2
; COMPUTE_PGM_RSRC2:TRAP_HANDLER: 0
; COMPUTE_PGM_RSRC2:TGID_X_EN: 1
; COMPUTE_PGM_RSRC2:TGID_Y_EN: 0
; COMPUTE_PGM_RSRC2:TGID_Z_EN: 0
; COMPUTE_PGM_RSRC2:TIDIG_COMP_CNT: 0
	.section	.text._ZN2at6native32elementwise_kernel_manual_unrollILi128ELi4EZNS0_15gpu_kernel_implIZZZNS0_15sin_kernel_cudaERNS_18TensorIteratorBaseEENKUlvE0_clEvENKUlvE1_clEvEUlN3c104HalfEE_EEvS4_RKT_EUlibE0_EEviT1_,"axG",@progbits,_ZN2at6native32elementwise_kernel_manual_unrollILi128ELi4EZNS0_15gpu_kernel_implIZZZNS0_15sin_kernel_cudaERNS_18TensorIteratorBaseEENKUlvE0_clEvENKUlvE1_clEvEUlN3c104HalfEE_EEvS4_RKT_EUlibE0_EEviT1_,comdat
	.globl	_ZN2at6native32elementwise_kernel_manual_unrollILi128ELi4EZNS0_15gpu_kernel_implIZZZNS0_15sin_kernel_cudaERNS_18TensorIteratorBaseEENKUlvE0_clEvENKUlvE1_clEvEUlN3c104HalfEE_EEvS4_RKT_EUlibE0_EEviT1_ ; -- Begin function _ZN2at6native32elementwise_kernel_manual_unrollILi128ELi4EZNS0_15gpu_kernel_implIZZZNS0_15sin_kernel_cudaERNS_18TensorIteratorBaseEENKUlvE0_clEvENKUlvE1_clEvEUlN3c104HalfEE_EEvS4_RKT_EUlibE0_EEviT1_
	.p2align	8
	.type	_ZN2at6native32elementwise_kernel_manual_unrollILi128ELi4EZNS0_15gpu_kernel_implIZZZNS0_15sin_kernel_cudaERNS_18TensorIteratorBaseEENKUlvE0_clEvENKUlvE1_clEvEUlN3c104HalfEE_EEvS4_RKT_EUlibE0_EEviT1_,@function
_ZN2at6native32elementwise_kernel_manual_unrollILi128ELi4EZNS0_15gpu_kernel_implIZZZNS0_15sin_kernel_cudaERNS_18TensorIteratorBaseEENKUlvE0_clEvENKUlvE1_clEvEUlN3c104HalfEE_EEvS4_RKT_EUlibE0_EEviT1_: ; @_ZN2at6native32elementwise_kernel_manual_unrollILi128ELi4EZNS0_15gpu_kernel_implIZZZNS0_15sin_kernel_cudaERNS_18TensorIteratorBaseEENKUlvE0_clEvENKUlvE1_clEvEUlN3c104HalfEE_EEvS4_RKT_EUlibE0_EEviT1_
; %bb.0:
	s_clause 0x1
	s_load_b32 s28, s[0:1], 0x8
	s_load_b32 s36, s[0:1], 0x0
	s_bfe_u32 s2, ttmp6, 0x4000c
	s_and_b32 s3, ttmp6, 15
	s_add_co_i32 s2, s2, 1
	s_getreg_b32 s4, hwreg(HW_REG_IB_STS2, 6, 4)
	s_mul_i32 s2, ttmp9, s2
	s_mov_b32 s30, 0
	s_add_co_i32 s3, s3, s2
	s_cmp_eq_u32 s4, 0
	s_mov_b32 s24, -1
	s_cselect_b32 s2, ttmp9, s3
	s_mov_b32 s8, 0
	v_lshl_or_b32 v0, s2, 9, v0
	s_add_nc_u64 s[2:3], s[0:1], 8
	s_wait_xcnt 0x0
	s_mov_b32 s0, exec_lo
	s_delay_alu instid0(VALU_DEP_1) | instskip(SKIP_2) | instid1(SALU_CYCLE_1)
	v_or_b32_e32 v9, 0x180, v0
	s_wait_kmcnt 0x0
	s_add_co_i32 s29, s28, -1
	s_cmp_gt_u32 s29, 1
	s_cselect_b32 s31, -1, 0
	v_cmpx_le_i32_e64 s36, v9
	s_xor_b32 s33, exec_lo, s0
	s_cbranch_execz .LBB25_1109
; %bb.1:
	v_mov_b32_e32 v1, 0
	s_clause 0x3
	s_load_b128 s[12:15], s[2:3], 0x4
	s_load_b64 s[18:19], s[2:3], 0x14
	s_load_b128 s[8:11], s[2:3], 0xc4
	s_load_b128 s[4:7], s[2:3], 0x148
	s_cmp_lg_u32 s28, 0
	s_mov_b32 s17, 0
	s_cselect_b32 s38, -1, 0
	global_load_u16 v1, v1, s[2:3] offset:345
	s_min_u32 s37, s29, 15
	s_cmp_gt_u32 s28, 1
	s_add_nc_u64 s[22:23], s[2:3], 0xc4
	s_cselect_b32 s35, -1, 0
	s_mov_b32 s21, s17
	s_mov_b32 s39, s17
	s_mov_b32 s40, exec_lo
	s_wait_kmcnt 0x0
	s_mov_b32 s16, s13
	s_mov_b32 s20, s18
	;; [unrolled: 1-line block ×3, first 2 shown]
	s_wait_loadcnt 0x0
	v_readfirstlane_b32 s34, v1
	s_and_b32 s0, 0xffff, s34
	s_delay_alu instid0(SALU_CYCLE_1)
	s_lshr_b32 s13, s0, 8
	v_cmpx_gt_i32_e64 s36, v0
	s_cbranch_execz .LBB25_271
; %bb.2:
	s_and_not1_b32 vcc_lo, exec_lo, s31
	s_cbranch_vccnz .LBB25_8
; %bb.3:
	s_and_not1_b32 vcc_lo, exec_lo, s38
	s_cbranch_vccnz .LBB25_9
; %bb.4:
	s_add_co_i32 s1, s37, 1
	s_cmp_eq_u32 s29, 2
	s_cbranch_scc1 .LBB25_10
; %bb.5:
	v_dual_mov_b32 v2, 0 :: v_dual_mov_b32 v4, 0
	v_mov_b32_e32 v1, v0
	s_and_b32 s0, s1, 28
	s_mov_b32 s18, 0
	s_mov_b64 s[24:25], s[2:3]
	s_mov_b64 s[26:27], s[22:23]
.LBB25_6:                               ; =>This Inner Loop Header: Depth=1
	s_clause 0x1
	s_load_b256 s[44:51], s[24:25], 0x4
	s_load_b128 s[60:63], s[24:25], 0x24
	s_load_b256 s[52:59], s[26:27], 0x0
	s_add_co_i32 s18, s18, 4
	s_wait_xcnt 0x0
	s_add_nc_u64 s[24:25], s[24:25], 48
	s_cmp_lg_u32 s0, s18
	s_add_nc_u64 s[26:27], s[26:27], 32
	s_wait_kmcnt 0x0
	v_mul_hi_u32 v3, s45, v1
	s_delay_alu instid0(VALU_DEP_1) | instskip(NEXT) | instid1(VALU_DEP_1)
	v_add_nc_u32_e32 v3, v1, v3
	v_lshrrev_b32_e32 v3, s46, v3
	s_delay_alu instid0(VALU_DEP_1) | instskip(NEXT) | instid1(VALU_DEP_1)
	v_mul_hi_u32 v5, s48, v3
	v_add_nc_u32_e32 v5, v3, v5
	s_delay_alu instid0(VALU_DEP_1) | instskip(NEXT) | instid1(VALU_DEP_1)
	v_lshrrev_b32_e32 v5, s49, v5
	v_mul_hi_u32 v6, s51, v5
	s_delay_alu instid0(VALU_DEP_1) | instskip(SKIP_1) | instid1(VALU_DEP_1)
	v_add_nc_u32_e32 v6, v5, v6
	v_mul_lo_u32 v7, v3, s44
	v_sub_nc_u32_e32 v1, v1, v7
	v_mul_lo_u32 v7, v5, s47
	s_delay_alu instid0(VALU_DEP_4) | instskip(NEXT) | instid1(VALU_DEP_3)
	v_lshrrev_b32_e32 v6, s60, v6
	v_mad_u32 v4, v1, s53, v4
	v_mad_u32 v1, v1, s52, v2
	s_delay_alu instid0(VALU_DEP_4) | instskip(NEXT) | instid1(VALU_DEP_4)
	v_sub_nc_u32_e32 v2, v3, v7
	v_mul_hi_u32 v8, s62, v6
	v_mul_lo_u32 v3, v6, s50
	s_delay_alu instid0(VALU_DEP_3) | instskip(SKIP_1) | instid1(VALU_DEP_3)
	v_mad_u32 v4, v2, s55, v4
	v_mad_u32 v2, v2, s54, v1
	v_dual_add_nc_u32 v7, v6, v8 :: v_dual_sub_nc_u32 v3, v5, v3
	s_delay_alu instid0(VALU_DEP_1) | instskip(NEXT) | instid1(VALU_DEP_2)
	v_lshrrev_b32_e32 v1, s63, v7
	v_mad_u32 v4, v3, s57, v4
	s_delay_alu instid0(VALU_DEP_4) | instskip(NEXT) | instid1(VALU_DEP_3)
	v_mad_u32 v2, v3, s56, v2
	v_mul_lo_u32 v5, v1, s61
	s_delay_alu instid0(VALU_DEP_1) | instskip(NEXT) | instid1(VALU_DEP_1)
	v_sub_nc_u32_e32 v3, v6, v5
	v_mad_u32 v4, v3, s59, v4
	s_delay_alu instid0(VALU_DEP_4)
	v_mad_u32 v2, v3, s58, v2
	s_cbranch_scc1 .LBB25_6
; %bb.7:
	s_delay_alu instid0(VALU_DEP_2)
	v_mov_b32_e32 v3, v4
	s_and_b32 s18, s1, 3
	s_mov_b32 s1, 0
	s_cmp_eq_u32 s18, 0
	s_cbranch_scc0 .LBB25_11
	s_branch .LBB25_14
.LBB25_8:
                                        ; implicit-def: $vgpr4
                                        ; implicit-def: $vgpr2
	s_branch .LBB25_15
.LBB25_9:
	v_dual_mov_b32 v4, 0 :: v_dual_mov_b32 v2, 0
	s_branch .LBB25_14
.LBB25_10:
	v_mov_b64_e32 v[2:3], 0
	v_mov_b32_e32 v1, v0
	s_mov_b32 s0, 0
                                        ; implicit-def: $vgpr4
	s_and_b32 s18, s1, 3
	s_mov_b32 s1, 0
	s_cmp_eq_u32 s18, 0
	s_cbranch_scc1 .LBB25_14
.LBB25_11:
	s_lshl_b32 s24, s0, 3
	s_mov_b32 s25, s1
	s_mul_u64 s[26:27], s[0:1], 12
	s_add_nc_u64 s[24:25], s[2:3], s[24:25]
	s_delay_alu instid0(SALU_CYCLE_1)
	s_add_nc_u64 s[0:1], s[24:25], 0xc4
	s_add_nc_u64 s[24:25], s[2:3], s[26:27]
.LBB25_12:                              ; =>This Inner Loop Header: Depth=1
	s_load_b96 s[44:46], s[24:25], 0x4
	s_load_b64 s[26:27], s[0:1], 0x0
	s_add_co_i32 s18, s18, -1
	s_wait_xcnt 0x0
	s_add_nc_u64 s[24:25], s[24:25], 12
	s_cmp_lg_u32 s18, 0
	s_add_nc_u64 s[0:1], s[0:1], 8
	s_wait_kmcnt 0x0
	v_mul_hi_u32 v4, s45, v1
	s_delay_alu instid0(VALU_DEP_1) | instskip(NEXT) | instid1(VALU_DEP_1)
	v_add_nc_u32_e32 v4, v1, v4
	v_lshrrev_b32_e32 v4, s46, v4
	s_delay_alu instid0(VALU_DEP_1) | instskip(NEXT) | instid1(VALU_DEP_1)
	v_mul_lo_u32 v5, v4, s44
	v_sub_nc_u32_e32 v1, v1, v5
	s_delay_alu instid0(VALU_DEP_1)
	v_mad_u32 v3, v1, s27, v3
	v_mad_u32 v2, v1, s26, v2
	v_mov_b32_e32 v1, v4
	s_cbranch_scc1 .LBB25_12
; %bb.13:
	s_delay_alu instid0(VALU_DEP_3)
	v_mov_b32_e32 v4, v3
.LBB25_14:
	s_cbranch_execnz .LBB25_17
.LBB25_15:
	v_mov_b32_e32 v1, 0
	s_and_not1_b32 vcc_lo, exec_lo, s35
	s_delay_alu instid0(VALU_DEP_1) | instskip(NEXT) | instid1(VALU_DEP_1)
	v_mul_u64_e32 v[2:3], s[16:17], v[0:1]
	v_add_nc_u32_e32 v2, v0, v3
	s_delay_alu instid0(VALU_DEP_1) | instskip(NEXT) | instid1(VALU_DEP_1)
	v_lshrrev_b32_e32 v6, s14, v2
	v_mul_lo_u32 v2, v6, s12
	s_delay_alu instid0(VALU_DEP_1) | instskip(NEXT) | instid1(VALU_DEP_1)
	v_sub_nc_u32_e32 v2, v0, v2
	v_mul_lo_u32 v4, v2, s9
	v_mul_lo_u32 v2, v2, s8
	s_cbranch_vccnz .LBB25_17
; %bb.16:
	v_mov_b32_e32 v7, v1
	s_delay_alu instid0(VALU_DEP_1) | instskip(NEXT) | instid1(VALU_DEP_1)
	v_mul_u64_e32 v[8:9], s[20:21], v[6:7]
	v_add_nc_u32_e32 v1, v6, v9
	s_delay_alu instid0(VALU_DEP_1) | instskip(NEXT) | instid1(VALU_DEP_1)
	v_lshrrev_b32_e32 v1, s19, v1
	v_mul_lo_u32 v1, v1, s15
	s_delay_alu instid0(VALU_DEP_1) | instskip(NEXT) | instid1(VALU_DEP_1)
	v_sub_nc_u32_e32 v1, v6, v1
	v_mad_u32 v2, v1, s10, v2
	v_mad_u32 v4, v1, s11, v4
.LBB25_17:
	v_mov_b32_e32 v5, 0
	s_and_b32 s0, 0xffff, s13
	s_delay_alu instid0(SALU_CYCLE_1) | instskip(NEXT) | instid1(VALU_DEP_1)
	s_cmp_lt_i32 s0, 11
	v_add_nc_u64_e32 v[4:5], s[6:7], v[4:5]
	s_cbranch_scc1 .LBB25_24
; %bb.18:
	s_cmp_gt_i32 s0, 25
	s_cbranch_scc0 .LBB25_76
; %bb.19:
	s_cmp_gt_i32 s0, 28
	s_cbranch_scc0 .LBB25_77
	;; [unrolled: 3-line block ×4, first 2 shown]
; %bb.22:
	s_cmp_eq_u32 s0, 46
	s_mov_b32 s18, 0
	s_cbranch_scc0 .LBB25_83
; %bb.23:
	global_load_b32 v1, v[4:5], off
	s_mov_b32 s1, -1
	s_mov_b32 s24, 0
	s_wait_loadcnt 0x0
	v_lshlrev_b32_e32 v1, 16, v1
	s_delay_alu instid0(VALU_DEP_1)
	v_cvt_f16_f32_e32 v1, v1
	s_branch .LBB25_85
.LBB25_24:
	s_mov_b32 s24, 0
	s_mov_b32 s1, 0
                                        ; implicit-def: $vgpr1
	s_cbranch_execnz .LBB25_221
.LBB25_25:
	s_and_not1_b32 vcc_lo, exec_lo, s1
	s_cbranch_vccnz .LBB25_268
.LBB25_26:
	s_wait_loadcnt 0x0
	s_delay_alu instid0(VALU_DEP_1) | instskip(SKIP_1) | instid1(VALU_DEP_1)
	v_cvt_f32_f16_e32 v1, v1
                                        ; implicit-def: $vgpr5
                                        ; implicit-def: $vgpr4
	s_mov_b32 s1, exec_lo
	v_and_b32_e32 v3, 0x7fffffff, v1
	v_cmpx_ngt_f32_e64 0x48000000, |v1|
	s_xor_b32 s18, exec_lo, s1
	s_cbranch_execz .LBB25_28
; %bb.27:
	s_mov_b32 s0, 0x7fffff
	v_mov_b32_e32 v5, 0
	v_and_or_b32 v4, v3, s0, 0x800000
	s_mov_b64 s[0:1], 0xfe5163ab
	s_delay_alu instid0(VALU_DEP_1) | instid1(SALU_CYCLE_1)
	v_mul_u64_e32 v[6:7], s[0:1], v[4:5]
	s_delay_alu instid0(VALU_DEP_1) | instskip(SKIP_2) | instid1(VALU_DEP_3)
	v_dual_mov_b32 v8, v7 :: v_dual_mov_b32 v9, v5
	v_dual_mov_b32 v11, v5 :: v_dual_mov_b32 v13, v5
	v_dual_mov_b32 v15, v5 :: v_dual_lshrrev_b32 v7, 23, v3
	v_mad_nc_u64_u32 v[8:9], 0x3c439041, v4, v[8:9]
	s_delay_alu instid0(VALU_DEP_1) | instskip(NEXT) | instid1(VALU_DEP_1)
	v_mov_b32_e32 v10, v9
	v_mad_nc_u64_u32 v[10:11], 0xdb629599, v4, v[10:11]
	s_delay_alu instid0(VALU_DEP_1) | instskip(NEXT) | instid1(VALU_DEP_1)
	v_mov_b32_e32 v12, v11
	;; [unrolled: 3-line block ×3, first 2 shown]
	v_mad_nc_u64_u32 v[14:15], 0xfc2757d1, v4, v[14:15]
	s_delay_alu instid0(VALU_DEP_1) | instskip(NEXT) | instid1(VALU_DEP_1)
	v_dual_mov_b32 v17, v5 :: v_dual_mov_b32 v16, v15
	v_mad_nc_u64_u32 v[16:17], 0x4e441529, v4, v[16:17]
	s_delay_alu instid0(VALU_DEP_1) | instskip(NEXT) | instid1(VALU_DEP_1)
	v_dual_mov_b32 v18, v17 :: v_dual_add_nc_u32 v7, 0xffffff88, v7
	v_cmp_lt_u32_e32 vcc_lo, 63, v7
	v_mov_b32_e32 v19, v5
	v_cndmask_b32_e64 v9, 0, 0xffffffc0, vcc_lo
	s_delay_alu instid0(VALU_DEP_2) | instskip(SKIP_1) | instid1(VALU_DEP_3)
	v_mad_nc_u64_u32 v[4:5], 0xa2f9836e, v4, v[18:19]
	v_dual_cndmask_b32 v11, v16, v12, vcc_lo :: v_dual_cndmask_b32 v13, v14, v10, vcc_lo
	v_dual_cndmask_b32 v8, v12, v8 :: v_dual_add_nc_u32 v7, v9, v7
	v_cndmask_b32_e32 v6, v10, v6, vcc_lo
	s_delay_alu instid0(VALU_DEP_2) | instskip(SKIP_1) | instid1(VALU_DEP_2)
	v_cmp_lt_u32_e64 s0, 31, v7
	v_dual_cndmask_b32 v4, v4, v14 :: v_dual_cndmask_b32 v5, v5, v16
	v_cndmask_b32_e64 v9, 0, 0xffffffe0, s0
	s_delay_alu instid0(VALU_DEP_4) | instskip(NEXT) | instid1(VALU_DEP_2)
	v_dual_cndmask_b32 v12, v13, v8, s0 :: v_dual_cndmask_b32 v6, v8, v6, s0
	v_add_nc_u32_e32 v7, v9, v7
	s_delay_alu instid0(VALU_DEP_1) | instskip(NEXT) | instid1(VALU_DEP_1)
	v_cmp_lt_u32_e64 s1, 31, v7
	v_cndmask_b32_e64 v9, 0, 0xffffffe0, s1
	s_delay_alu instid0(VALU_DEP_1) | instskip(SKIP_1) | instid1(VALU_DEP_2)
	v_dual_cndmask_b32 v6, v12, v6, s1 :: v_dual_add_nc_u32 v7, v9, v7
	v_dual_cndmask_b32 v9, v4, v11, s0 :: v_dual_cndmask_b32 v4, v5, v4, s0
	v_dual_cndmask_b32 v5, v11, v13, s0 :: v_dual_sub_nc_u32 v11, 32, v7
	v_cmp_eq_u32_e32 vcc_lo, 0, v7
	s_delay_alu instid0(VALU_DEP_3) | instskip(NEXT) | instid1(VALU_DEP_3)
	v_cndmask_b32_e64 v4, v4, v9, s1
	v_cndmask_b32_e64 v9, v9, v5, s1
	;; [unrolled: 1-line block ×3, first 2 shown]
	s_delay_alu instid0(VALU_DEP_2) | instskip(NEXT) | instid1(VALU_DEP_2)
	v_alignbit_b32 v13, v4, v9, v11
	v_alignbit_b32 v10, v9, v5, v11
	;; [unrolled: 1-line block ×3, first 2 shown]
	s_delay_alu instid0(VALU_DEP_2) | instskip(NEXT) | instid1(VALU_DEP_2)
	v_dual_cndmask_b32 v4, v13, v4 :: v_dual_cndmask_b32 v7, v10, v9
	v_cndmask_b32_e32 v5, v11, v5, vcc_lo
	s_delay_alu instid0(VALU_DEP_2) | instskip(NEXT) | instid1(VALU_DEP_3)
	v_bfe_u32 v8, v4, 29, 1
	v_alignbit_b32 v9, v4, v7, 30
	s_delay_alu instid0(VALU_DEP_3) | instskip(SKIP_1) | instid1(VALU_DEP_4)
	v_alignbit_b32 v7, v7, v5, 30
	v_alignbit_b32 v5, v5, v6, 30
	v_sub_nc_u32_e32 v10, 0, v8
	s_delay_alu instid0(VALU_DEP_1) | instskip(NEXT) | instid1(VALU_DEP_4)
	v_xor_b32_e32 v9, v9, v10
	v_xor_b32_e32 v6, v7, v10
	s_delay_alu instid0(VALU_DEP_4) | instskip(NEXT) | instid1(VALU_DEP_3)
	v_dual_lshrrev_b32 v10, 29, v4 :: v_dual_bitop2_b32 v5, v5, v10 bitop3:0x14
	v_clz_i32_u32_e32 v11, v9
	s_delay_alu instid0(VALU_DEP_1) | instskip(NEXT) | instid1(VALU_DEP_1)
	v_min_u32_e32 v11, 32, v11
	v_dual_sub_nc_u32 v7, 31, v11 :: v_dual_lshlrev_b32 v12, 23, v11
	s_delay_alu instid0(VALU_DEP_1) | instskip(SKIP_2) | instid1(VALU_DEP_2)
	v_alignbit_b32 v9, v9, v6, v7
	v_alignbit_b32 v5, v6, v5, v7
	v_lshlrev_b32_e32 v6, 31, v10
	v_alignbit_b32 v7, v9, v5, 9
	s_delay_alu instid0(VALU_DEP_2) | instskip(SKIP_1) | instid1(VALU_DEP_3)
	v_dual_lshrrev_b32 v9, 9, v9 :: v_dual_bitop2_b32 v10, 0.5, v6 bitop3:0x54
	v_or_b32_e32 v6, 0x33000000, v6
	v_clz_i32_u32_e32 v13, v7
	s_delay_alu instid0(VALU_DEP_3) | instskip(NEXT) | instid1(VALU_DEP_2)
	v_sub_nc_u32_e32 v10, v10, v12
	v_min_u32_e32 v12, 32, v13
	s_delay_alu instid0(VALU_DEP_1) | instskip(NEXT) | instid1(VALU_DEP_3)
	v_add_lshl_u32 v11, v12, v11, 23
	v_or_b32_e32 v9, v9, v10
	v_not_b32_e32 v10, v12
	s_delay_alu instid0(VALU_DEP_2) | instskip(NEXT) | instid1(VALU_DEP_2)
	v_dual_mul_f32 v13, 0x3fc90fda, v9 :: v_dual_sub_nc_u32 v6, v6, v11
	v_alignbit_b32 v5, v7, v5, v10
	s_delay_alu instid0(VALU_DEP_2) | instskip(NEXT) | instid1(VALU_DEP_2)
	v_fma_f32 v7, 0x3fc90fda, v9, -v13
	v_lshrrev_b32_e32 v5, 9, v5
	s_delay_alu instid0(VALU_DEP_2) | instskip(NEXT) | instid1(VALU_DEP_2)
	v_fmamk_f32 v7, v9, 0x33a22168, v7
	v_or_b32_e32 v5, v6, v5
	s_delay_alu instid0(VALU_DEP_1) | instskip(NEXT) | instid1(VALU_DEP_1)
	v_fmac_f32_e32 v7, 0x3fc90fda, v5
	v_dual_add_f32 v4, v13, v7 :: v_dual_lshrrev_b32 v5, 30, v4
	s_delay_alu instid0(VALU_DEP_1)
	v_add_nc_u32_e32 v5, v8, v5
.LBB25_28:
	s_and_not1_saveexec_b32 s0, s18
; %bb.29:
	v_mul_f32_e64 v4, 0x3f22f983, |v1|
	s_delay_alu instid0(VALU_DEP_1) | instskip(NEXT) | instid1(VALU_DEP_1)
	v_rndne_f32_e32 v5, v4
	v_fma_f32 v4, 0xbfc90fda, v5, |v1|
	s_delay_alu instid0(VALU_DEP_1) | instskip(NEXT) | instid1(VALU_DEP_1)
	v_fmamk_f32 v4, v5, 0xb3a22168, v4
	v_fmamk_f32 v4, v5, 0xa7c234c4, v4
	v_cvt_i32_f32_e32 v5, v5
; %bb.30:
	s_or_b32 exec_lo, exec_lo, s0
	s_delay_alu instid0(VALU_DEP_1) | instskip(SKIP_3) | instid1(VALU_DEP_1)
	v_dual_mul_f32 v6, v4, v4 :: v_dual_bitop2_b32 v9, 1, v5 bitop3:0x40
	s_mov_b32 s0, 0xb94c1982
	s_mov_b32 s1, 0x37d75334
	s_mov_b32 s18, -1
	v_fmaak_f32 v7, s0, v6, 0x3c0881c4
	v_cmp_eq_u32_e32 vcc_lo, 0, v9
	s_mov_b32 s0, 0
	s_mov_b32 s25, 0
	v_lshlrev_b32_e32 v5, 30, v5
	v_fmaak_f32 v7, v6, v7, 0xbe2aaa9d
	v_fmaak_f32 v8, s1, v6, 0xbab64f3b
	s_and_b32 s1, s34, 0xff
	v_xor_b32_e32 v3, v3, v1
	v_and_b32_e32 v5, 0x80000000, v5
	s_delay_alu instid0(VALU_DEP_3) | instskip(SKIP_1) | instid1(VALU_DEP_1)
	v_dual_mul_f32 v7, v6, v7 :: v_dual_fmaak_f32 v8, v6, v8, 0x3d2aabf7
	s_cmp_lt_i32 s1, 11
	v_fmac_f32_e32 v4, v4, v7
	s_delay_alu instid0(VALU_DEP_2) | instskip(NEXT) | instid1(VALU_DEP_1)
	v_fmaak_f32 v8, v6, v8, 0xbf000004
	v_fma_f32 v6, v6, v8, 1.0
	s_delay_alu instid0(VALU_DEP_1) | instskip(SKIP_1) | instid1(VALU_DEP_2)
	v_cndmask_b32_e32 v4, v6, v4, vcc_lo
	v_cmp_class_f32_e64 vcc_lo, v1, 0x1f8
	v_xor3_b32 v4, v3, v5, v4
	v_mov_b32_e32 v3, 0
	s_delay_alu instid0(VALU_DEP_2) | instskip(NEXT) | instid1(VALU_DEP_2)
	v_cndmask_b32_e32 v1, 0x7fc00000, v4, vcc_lo
	v_add_nc_u64_e32 v[2:3], s[4:5], v[2:3]
	s_delay_alu instid0(VALU_DEP_2)
	v_cvt_f16_f32_e32 v1, v1
	s_cbranch_scc1 .LBB25_37
; %bb.31:
	s_and_b32 s18, 0xffff, s1
	s_delay_alu instid0(SALU_CYCLE_1)
	s_cmp_gt_i32 s18, 25
	s_cbranch_scc0 .LBB25_78
; %bb.32:
	s_cmp_gt_i32 s18, 28
	s_cbranch_scc0 .LBB25_80
; %bb.33:
	;; [unrolled: 3-line block ×4, first 2 shown]
	s_mov_b32 s26, 0
	s_mov_b32 s0, -1
	s_cmp_eq_u32 s18, 46
	s_cbranch_scc0 .LBB25_89
; %bb.36:
	v_cvt_f32_f16_e32 v4, v1
	v_cmp_o_f16_e32 vcc_lo, v1, v1
	s_mov_b32 s25, -1
	s_mov_b32 s0, 0
	s_delay_alu instid0(VALU_DEP_2) | instskip(NEXT) | instid1(VALU_DEP_1)
	v_bfe_u32 v5, v4, 16, 1
	v_add3_u32 v4, v4, v5, 0x7fff
	s_delay_alu instid0(VALU_DEP_1) | instskip(NEXT) | instid1(VALU_DEP_1)
	v_lshrrev_b32_e32 v4, 16, v4
	v_cndmask_b32_e32 v4, 0x7fc0, v4, vcc_lo
	global_store_b32 v[2:3], v4, off
	s_branch .LBB25_89
.LBB25_37:
	s_and_b32 vcc_lo, exec_lo, s18
	s_cbranch_vccz .LBB25_158
; %bb.38:
	s_and_b32 s1, 0xffff, s1
	s_mov_b32 s18, -1
	s_cmp_lt_i32 s1, 5
	s_cbranch_scc1 .LBB25_59
; %bb.39:
	s_cmp_lt_i32 s1, 8
	s_cbranch_scc1 .LBB25_49
; %bb.40:
	;; [unrolled: 3-line block ×3, first 2 shown]
	s_cmp_gt_i32 s1, 9
	s_cbranch_scc0 .LBB25_43
; %bb.42:
	s_wait_xcnt 0x0
	v_cvt_f32_f16_e32 v4, v1
	v_mov_b32_e32 v6, 0
	s_mov_b32 s18, 0
	s_delay_alu instid0(VALU_DEP_2) | instskip(NEXT) | instid1(VALU_DEP_2)
	v_cvt_f64_f32_e32 v[4:5], v4
	v_mov_b32_e32 v7, v6
	global_store_b128 v[2:3], v[4:7], off
.LBB25_43:
	s_and_not1_b32 vcc_lo, exec_lo, s18
	s_cbranch_vccnz .LBB25_45
; %bb.44:
	s_wait_xcnt 0x0
	v_cvt_f32_f16_e32 v4, v1
	v_mov_b32_e32 v5, 0
	global_store_b64 v[2:3], v[4:5], off
.LBB25_45:
	s_mov_b32 s18, 0
.LBB25_46:
	s_delay_alu instid0(SALU_CYCLE_1)
	s_and_not1_b32 vcc_lo, exec_lo, s18
	s_cbranch_vccnz .LBB25_48
; %bb.47:
	s_wait_xcnt 0x0
	v_and_b32_e32 v4, 0xffff, v1
	global_store_b32 v[2:3], v4, off
.LBB25_48:
	s_mov_b32 s18, 0
.LBB25_49:
	s_delay_alu instid0(SALU_CYCLE_1)
	s_and_not1_b32 vcc_lo, exec_lo, s18
	s_cbranch_vccnz .LBB25_58
; %bb.50:
	s_cmp_lt_i32 s1, 6
	s_mov_b32 s18, -1
	s_cbranch_scc1 .LBB25_56
; %bb.51:
	s_cmp_gt_i32 s1, 6
	s_cbranch_scc0 .LBB25_53
; %bb.52:
	s_wait_xcnt 0x0
	v_cvt_f32_f16_e32 v4, v1
	s_mov_b32 s18, 0
	s_delay_alu instid0(VALU_DEP_1)
	v_cvt_f64_f32_e32 v[4:5], v4
	global_store_b64 v[2:3], v[4:5], off
.LBB25_53:
	s_and_not1_b32 vcc_lo, exec_lo, s18
	s_cbranch_vccnz .LBB25_55
; %bb.54:
	s_wait_xcnt 0x0
	v_cvt_f32_f16_e32 v4, v1
	global_store_b32 v[2:3], v4, off
.LBB25_55:
	s_mov_b32 s18, 0
.LBB25_56:
	s_delay_alu instid0(SALU_CYCLE_1)
	s_and_not1_b32 vcc_lo, exec_lo, s18
	s_cbranch_vccnz .LBB25_58
; %bb.57:
	global_store_b16 v[2:3], v1, off
.LBB25_58:
	s_mov_b32 s18, 0
.LBB25_59:
	s_delay_alu instid0(SALU_CYCLE_1)
	s_and_not1_b32 vcc_lo, exec_lo, s18
	s_cbranch_vccnz .LBB25_75
; %bb.60:
	s_cmp_lt_i32 s1, 2
	s_mov_b32 s18, -1
	s_cbranch_scc1 .LBB25_70
; %bb.61:
	s_cmp_lt_i32 s1, 3
	s_cbranch_scc1 .LBB25_67
; %bb.62:
	s_cmp_gt_i32 s1, 3
	s_cbranch_scc0 .LBB25_64
; %bb.63:
	s_wait_xcnt 0x0
	v_cvt_f32_f16_e32 v4, v1
	s_mov_b32 s18, 0
	s_delay_alu instid0(VALU_DEP_1) | instskip(NEXT) | instid1(VALU_DEP_1)
	v_cvt_i32_f32_e32 v4, v4
	v_ashrrev_i32_e32 v5, 31, v4
	global_store_b64 v[2:3], v[4:5], off
.LBB25_64:
	s_and_not1_b32 vcc_lo, exec_lo, s18
	s_cbranch_vccnz .LBB25_66
; %bb.65:
	s_wait_xcnt 0x0
	v_cvt_f32_f16_e32 v4, v1
	s_delay_alu instid0(VALU_DEP_1)
	v_cvt_i32_f32_e32 v4, v4
	global_store_b32 v[2:3], v4, off
.LBB25_66:
	s_mov_b32 s18, 0
.LBB25_67:
	s_delay_alu instid0(SALU_CYCLE_1)
	s_and_not1_b32 vcc_lo, exec_lo, s18
	s_cbranch_vccnz .LBB25_69
; %bb.68:
	s_wait_xcnt 0x0
	v_cvt_i16_f16_e32 v4, v1
	global_store_b16 v[2:3], v4, off
.LBB25_69:
	s_mov_b32 s18, 0
.LBB25_70:
	s_delay_alu instid0(SALU_CYCLE_1)
	s_and_not1_b32 vcc_lo, exec_lo, s18
	s_cbranch_vccnz .LBB25_75
; %bb.71:
	s_cmp_gt_i32 s1, 0
	s_mov_b32 s1, -1
	s_cbranch_scc0 .LBB25_73
; %bb.72:
	s_wait_xcnt 0x0
	v_cvt_i16_f16_e32 v4, v1
	s_mov_b32 s1, 0
	global_store_b8 v[2:3], v4, off
.LBB25_73:
	s_and_not1_b32 vcc_lo, exec_lo, s1
	s_cbranch_vccnz .LBB25_75
; %bb.74:
	s_wait_xcnt 0x0
	v_cvt_f32_f16_e32 v1, v1
	s_delay_alu instid0(VALU_DEP_1)
	v_cvt_i32_f32_e32 v1, v1
	global_store_b8 v[2:3], v1, off
.LBB25_75:
	s_branch .LBB25_159
.LBB25_76:
	s_mov_b32 s24, 0
	s_mov_b32 s1, 0
                                        ; implicit-def: $vgpr1
	s_cbranch_execnz .LBB25_186
	s_branch .LBB25_220
.LBB25_77:
	s_mov_b32 s18, -1
	s_mov_b32 s24, 0
	s_mov_b32 s1, 0
                                        ; implicit-def: $vgpr1
	s_branch .LBB25_167
.LBB25_78:
	s_mov_b32 s26, -1
	s_branch .LBB25_116
.LBB25_79:
	s_mov_b32 s18, -1
	s_mov_b32 s24, 0
	s_mov_b32 s1, 0
                                        ; implicit-def: $vgpr1
	s_branch .LBB25_162
.LBB25_80:
	s_mov_b32 s26, -1
	s_branch .LBB25_99
.LBB25_81:
	s_mov_b32 s18, -1
	s_mov_b32 s24, 0
	s_branch .LBB25_84
.LBB25_82:
	s_mov_b32 s26, -1
	s_branch .LBB25_95
.LBB25_83:
	s_mov_b32 s24, -1
.LBB25_84:
	s_mov_b32 s1, 0
                                        ; implicit-def: $vgpr1
.LBB25_85:
	s_and_b32 vcc_lo, exec_lo, s18
	s_cbranch_vccz .LBB25_161
; %bb.86:
	s_cmp_eq_u32 s0, 44
	s_cbranch_scc0 .LBB25_160
; %bb.87:
	global_load_u8 v1, v[4:5], off
	s_mov_b32 s24, 0
	s_mov_b32 s1, -1
	s_wait_loadcnt 0x0
	v_lshlrev_b32_e32 v3, 23, v1
	v_cmp_ne_u32_e32 vcc_lo, 0xff, v1
	s_delay_alu instid0(VALU_DEP_2) | instskip(NEXT) | instid1(VALU_DEP_1)
	v_cvt_f16_f32_e32 v3, v3
	v_cndmask_b32_e32 v3, 0x7e00, v3, vcc_lo
	v_cmp_ne_u32_e32 vcc_lo, 0, v1
	s_delay_alu instid0(VALU_DEP_2)
	v_cndmask_b32_e32 v1, 0, v3, vcc_lo
	s_branch .LBB25_161
.LBB25_88:
	s_mov_b32 s26, -1
.LBB25_89:
	s_delay_alu instid0(SALU_CYCLE_1)
	s_and_b32 vcc_lo, exec_lo, s26
	s_cbranch_vccz .LBB25_94
; %bb.90:
	s_cmp_eq_u32 s18, 44
	s_mov_b32 s0, -1
	s_cbranch_scc0 .LBB25_94
; %bb.91:
	s_wait_xcnt 0x0
	v_cvt_f32_f16_e32 v4, v1
	v_mov_b32_e32 v5, 0xff
	s_mov_b32 s25, exec_lo
	s_delay_alu instid0(VALU_DEP_2) | instskip(NEXT) | instid1(VALU_DEP_1)
	v_bfe_u32 v6, v4, 23, 8
	v_cmpx_ne_u32_e32 0xff, v6
	s_cbranch_execz .LBB25_93
; %bb.92:
	v_and_b32_e32 v5, 0x400000, v4
	v_and_or_b32 v6, 0x3fffff, v4, v6
	v_lshrrev_b32_e32 v4, 23, v4
	s_delay_alu instid0(VALU_DEP_3) | instskip(NEXT) | instid1(VALU_DEP_3)
	v_cmp_ne_u32_e32 vcc_lo, 0, v5
	v_cmp_ne_u32_e64 s0, 0, v6
	s_and_b32 s0, vcc_lo, s0
	s_delay_alu instid0(SALU_CYCLE_1) | instskip(NEXT) | instid1(VALU_DEP_1)
	v_cndmask_b32_e64 v5, 0, 1, s0
	v_add_nc_u32_e32 v5, v4, v5
.LBB25_93:
	s_or_b32 exec_lo, exec_lo, s25
	s_mov_b32 s25, -1
	s_mov_b32 s0, 0
	global_store_b8 v[2:3], v5, off
.LBB25_94:
	s_mov_b32 s26, 0
.LBB25_95:
	s_delay_alu instid0(SALU_CYCLE_1)
	s_and_b32 vcc_lo, exec_lo, s26
	s_cbranch_vccz .LBB25_98
; %bb.96:
	s_cmp_eq_u32 s18, 29
	s_mov_b32 s0, -1
	s_cbranch_scc0 .LBB25_98
; %bb.97:
	s_wait_xcnt 0x0
	v_cvt_f32_f16_e32 v4, v1
	v_mov_b32_e32 v5, 0
	s_mov_b32 s25, -1
	s_mov_b32 s0, 0
	s_mov_b32 s26, 0
	v_cvt_u32_f32_e32 v4, v4
	global_store_b64 v[2:3], v[4:5], off
	s_branch .LBB25_99
.LBB25_98:
	s_mov_b32 s26, 0
.LBB25_99:
	s_delay_alu instid0(SALU_CYCLE_1)
	s_and_b32 vcc_lo, exec_lo, s26
	s_cbranch_vccz .LBB25_115
; %bb.100:
	s_cmp_lt_i32 s18, 27
	s_mov_b32 s25, -1
	s_cbranch_scc1 .LBB25_106
; %bb.101:
	s_cmp_gt_i32 s18, 27
	s_cbranch_scc0 .LBB25_103
; %bb.102:
	s_wait_xcnt 0x0
	v_cvt_f32_f16_e32 v4, v1
	s_mov_b32 s25, 0
	s_delay_alu instid0(VALU_DEP_1)
	v_cvt_u32_f32_e32 v4, v4
	global_store_b32 v[2:3], v4, off
.LBB25_103:
	s_and_not1_b32 vcc_lo, exec_lo, s25
	s_cbranch_vccnz .LBB25_105
; %bb.104:
	s_wait_xcnt 0x0
	v_cvt_u16_f16_e32 v4, v1
	global_store_b16 v[2:3], v4, off
.LBB25_105:
	s_mov_b32 s25, 0
.LBB25_106:
	s_delay_alu instid0(SALU_CYCLE_1)
	s_and_not1_b32 vcc_lo, exec_lo, s25
	s_cbranch_vccnz .LBB25_114
; %bb.107:
	s_wait_xcnt 0x0
	v_cvt_f32_f16_e32 v4, v1
	v_mov_b32_e32 v6, 0x80
	s_mov_b32 s25, exec_lo
	s_delay_alu instid0(VALU_DEP_2) | instskip(NEXT) | instid1(VALU_DEP_1)
	v_and_b32_e32 v5, 0x7fffffff, v4
	v_cmpx_gt_u32_e32 0x43800000, v5
	s_cbranch_execz .LBB25_113
; %bb.108:
	v_cmp_lt_u32_e32 vcc_lo, 0x3bffffff, v5
	s_mov_b32 s26, 0
                                        ; implicit-def: $vgpr5
	s_and_saveexec_b32 s27, vcc_lo
	s_delay_alu instid0(SALU_CYCLE_1)
	s_xor_b32 s27, exec_lo, s27
	s_cbranch_execz .LBB25_357
; %bb.109:
	v_bfe_u32 v5, v4, 20, 1
	s_mov_b32 s26, exec_lo
	s_delay_alu instid0(VALU_DEP_1) | instskip(NEXT) | instid1(VALU_DEP_1)
	v_add3_u32 v5, v4, v5, 0x487ffff
	v_lshrrev_b32_e32 v5, 20, v5
	s_and_not1_saveexec_b32 s27, s27
	s_cbranch_execnz .LBB25_358
.LBB25_110:
	s_or_b32 exec_lo, exec_lo, s27
	v_mov_b32_e32 v6, 0
	s_and_saveexec_b32 s27, s26
.LBB25_111:
	v_lshrrev_b32_e32 v4, 24, v4
	s_delay_alu instid0(VALU_DEP_1)
	v_and_or_b32 v6, 0x80, v4, v5
.LBB25_112:
	s_or_b32 exec_lo, exec_lo, s27
.LBB25_113:
	s_delay_alu instid0(SALU_CYCLE_1)
	s_or_b32 exec_lo, exec_lo, s25
	global_store_b8 v[2:3], v6, off
.LBB25_114:
	s_mov_b32 s25, -1
.LBB25_115:
	s_mov_b32 s26, 0
.LBB25_116:
	s_delay_alu instid0(SALU_CYCLE_1)
	s_and_b32 vcc_lo, exec_lo, s26
	s_cbranch_vccz .LBB25_157
; %bb.117:
	s_cmp_gt_i32 s18, 22
	s_mov_b32 s26, -1
	s_cbranch_scc0 .LBB25_149
; %bb.118:
	s_cmp_lt_i32 s18, 24
	s_mov_b32 s25, -1
	s_cbranch_scc1 .LBB25_138
; %bb.119:
	s_cmp_gt_i32 s18, 24
	s_cbranch_scc0 .LBB25_127
; %bb.120:
	s_wait_xcnt 0x0
	v_cvt_f32_f16_e32 v4, v1
	v_mov_b32_e32 v6, 0x80
	s_mov_b32 s25, exec_lo
	s_delay_alu instid0(VALU_DEP_2) | instskip(NEXT) | instid1(VALU_DEP_1)
	v_and_b32_e32 v5, 0x7fffffff, v4
	v_cmpx_gt_u32_e32 0x47800000, v5
	s_cbranch_execz .LBB25_126
; %bb.121:
	v_cmp_lt_u32_e32 vcc_lo, 0x37ffffff, v5
	s_mov_b32 s26, 0
                                        ; implicit-def: $vgpr5
	s_and_saveexec_b32 s27, vcc_lo
	s_delay_alu instid0(SALU_CYCLE_1)
	s_xor_b32 s27, exec_lo, s27
	s_cbranch_execz .LBB25_361
; %bb.122:
	v_bfe_u32 v5, v4, 21, 1
	s_mov_b32 s26, exec_lo
	s_delay_alu instid0(VALU_DEP_1) | instskip(NEXT) | instid1(VALU_DEP_1)
	v_add3_u32 v5, v4, v5, 0x88fffff
	v_lshrrev_b32_e32 v5, 21, v5
	s_and_not1_saveexec_b32 s27, s27
	s_cbranch_execnz .LBB25_362
.LBB25_123:
	s_or_b32 exec_lo, exec_lo, s27
	v_mov_b32_e32 v6, 0
	s_and_saveexec_b32 s27, s26
.LBB25_124:
	v_lshrrev_b32_e32 v4, 24, v4
	s_delay_alu instid0(VALU_DEP_1)
	v_and_or_b32 v6, 0x80, v4, v5
.LBB25_125:
	s_or_b32 exec_lo, exec_lo, s27
.LBB25_126:
	s_delay_alu instid0(SALU_CYCLE_1)
	s_or_b32 exec_lo, exec_lo, s25
	s_mov_b32 s25, 0
	global_store_b8 v[2:3], v6, off
.LBB25_127:
	s_and_b32 vcc_lo, exec_lo, s25
	s_cbranch_vccz .LBB25_137
; %bb.128:
	s_wait_xcnt 0x0
	v_cvt_f32_f16_e32 v4, v1
	s_mov_b32 s25, exec_lo
                                        ; implicit-def: $vgpr5
	s_delay_alu instid0(VALU_DEP_1) | instskip(NEXT) | instid1(VALU_DEP_1)
	v_and_b32_e32 v6, 0x7fffffff, v4
	v_cmpx_gt_u32_e32 0x43f00000, v6
	s_xor_b32 s25, exec_lo, s25
	s_cbranch_execz .LBB25_134
; %bb.129:
	s_mov_b32 s26, exec_lo
                                        ; implicit-def: $vgpr5
	v_cmpx_lt_u32_e32 0x3c7fffff, v6
	s_xor_b32 s26, exec_lo, s26
; %bb.130:
	v_bfe_u32 v5, v4, 20, 1
	s_delay_alu instid0(VALU_DEP_1) | instskip(NEXT) | instid1(VALU_DEP_1)
	v_add3_u32 v5, v4, v5, 0x407ffff
	v_and_b32_e32 v6, 0xff00000, v5
	v_lshrrev_b32_e32 v5, 20, v5
	s_delay_alu instid0(VALU_DEP_2) | instskip(NEXT) | instid1(VALU_DEP_2)
	v_cmp_ne_u32_e32 vcc_lo, 0x7f00000, v6
	v_cndmask_b32_e32 v5, 0x7e, v5, vcc_lo
; %bb.131:
	s_and_not1_saveexec_b32 s26, s26
; %bb.132:
	v_add_f32_e64 v5, 0x46800000, |v4|
; %bb.133:
	s_or_b32 exec_lo, exec_lo, s26
                                        ; implicit-def: $vgpr6
.LBB25_134:
	s_and_not1_saveexec_b32 s25, s25
; %bb.135:
	v_mov_b32_e32 v5, 0x7f
	v_cmp_lt_u32_e32 vcc_lo, 0x7f800000, v6
	s_delay_alu instid0(VALU_DEP_2)
	v_cndmask_b32_e32 v5, 0x7e, v5, vcc_lo
; %bb.136:
	s_or_b32 exec_lo, exec_lo, s25
	v_lshrrev_b32_e32 v4, 24, v4
	s_delay_alu instid0(VALU_DEP_1)
	v_and_or_b32 v4, 0x80, v4, v5
	global_store_b8 v[2:3], v4, off
.LBB25_137:
	s_mov_b32 s25, 0
.LBB25_138:
	s_delay_alu instid0(SALU_CYCLE_1)
	s_and_not1_b32 vcc_lo, exec_lo, s25
	s_cbranch_vccnz .LBB25_148
; %bb.139:
	s_wait_xcnt 0x0
	v_cvt_f32_f16_e32 v4, v1
	s_mov_b32 s25, exec_lo
                                        ; implicit-def: $vgpr5
	s_delay_alu instid0(VALU_DEP_1) | instskip(NEXT) | instid1(VALU_DEP_1)
	v_and_b32_e32 v6, 0x7fffffff, v4
	v_cmpx_gt_u32_e32 0x47800000, v6
	s_xor_b32 s25, exec_lo, s25
	s_cbranch_execz .LBB25_145
; %bb.140:
	s_mov_b32 s26, exec_lo
                                        ; implicit-def: $vgpr5
	v_cmpx_lt_u32_e32 0x387fffff, v6
	s_xor_b32 s26, exec_lo, s26
; %bb.141:
	v_bfe_u32 v5, v4, 21, 1
	s_delay_alu instid0(VALU_DEP_1) | instskip(NEXT) | instid1(VALU_DEP_1)
	v_add3_u32 v5, v4, v5, 0x80fffff
	v_lshrrev_b32_e32 v5, 21, v5
; %bb.142:
	s_and_not1_saveexec_b32 s26, s26
; %bb.143:
	v_add_f32_e64 v5, 0x43000000, |v4|
; %bb.144:
	s_or_b32 exec_lo, exec_lo, s26
                                        ; implicit-def: $vgpr6
.LBB25_145:
	s_and_not1_saveexec_b32 s25, s25
; %bb.146:
	v_mov_b32_e32 v5, 0x7f
	v_cmp_lt_u32_e32 vcc_lo, 0x7f800000, v6
	s_delay_alu instid0(VALU_DEP_2)
	v_cndmask_b32_e32 v5, 0x7c, v5, vcc_lo
; %bb.147:
	s_or_b32 exec_lo, exec_lo, s25
	v_lshrrev_b32_e32 v4, 24, v4
	s_delay_alu instid0(VALU_DEP_1)
	v_and_or_b32 v4, 0x80, v4, v5
	global_store_b8 v[2:3], v4, off
.LBB25_148:
	s_mov_b32 s26, 0
	s_mov_b32 s25, -1
.LBB25_149:
	s_and_not1_b32 vcc_lo, exec_lo, s26
	s_cbranch_vccnz .LBB25_157
; %bb.150:
	s_cmp_gt_i32 s18, 14
	s_mov_b32 s26, -1
	s_cbranch_scc0 .LBB25_154
; %bb.151:
	s_cmp_eq_u32 s18, 15
	s_mov_b32 s0, -1
	s_cbranch_scc0 .LBB25_153
; %bb.152:
	s_wait_xcnt 0x0
	v_cvt_f32_f16_e32 v4, v1
	v_cmp_o_f16_e32 vcc_lo, v1, v1
	s_mov_b32 s25, -1
	s_mov_b32 s0, 0
	s_delay_alu instid0(VALU_DEP_2) | instskip(NEXT) | instid1(VALU_DEP_1)
	v_bfe_u32 v5, v4, 16, 1
	v_add3_u32 v4, v4, v5, 0x7fff
	s_delay_alu instid0(VALU_DEP_1) | instskip(NEXT) | instid1(VALU_DEP_1)
	v_lshrrev_b32_e32 v4, 16, v4
	v_cndmask_b32_e32 v4, 0x7fc0, v4, vcc_lo
	global_store_b16 v[2:3], v4, off
.LBB25_153:
	s_mov_b32 s26, 0
.LBB25_154:
	s_delay_alu instid0(SALU_CYCLE_1)
	s_and_b32 vcc_lo, exec_lo, s26
	s_cbranch_vccz .LBB25_157
; %bb.155:
	s_cmp_eq_u32 s18, 11
	s_mov_b32 s0, -1
	s_cbranch_scc0 .LBB25_157
; %bb.156:
	v_cmp_neq_f16_e32 vcc_lo, 0, v1
	s_mov_b32 s0, 0
	s_mov_b32 s25, -1
	s_wait_xcnt 0x0
	v_cndmask_b32_e64 v4, 0, 1, vcc_lo
	global_store_b8 v[2:3], v4, off
.LBB25_157:
.LBB25_158:
	s_and_not1_b32 vcc_lo, exec_lo, s25
	s_cbranch_vccnz .LBB25_269
.LBB25_159:
	v_add_nc_u32_e32 v0, 0x80, v0
	s_mov_b32 s1, -1
	s_branch .LBB25_270
.LBB25_160:
	s_mov_b32 s24, -1
                                        ; implicit-def: $vgpr1
.LBB25_161:
	s_mov_b32 s18, 0
.LBB25_162:
	s_delay_alu instid0(SALU_CYCLE_1)
	s_and_b32 vcc_lo, exec_lo, s18
	s_cbranch_vccz .LBB25_166
; %bb.163:
	s_cmp_eq_u32 s0, 29
	s_cbranch_scc0 .LBB25_165
; %bb.164:
	global_load_b64 v[6:7], v[4:5], off
	s_mov_b32 s1, -1
	s_mov_b32 s24, 0
	s_mov_b32 s18, 0
	s_wait_loadcnt 0x0
	v_clz_i32_u32_e32 v1, v7
	s_delay_alu instid0(VALU_DEP_1) | instskip(NEXT) | instid1(VALU_DEP_1)
	v_min_u32_e32 v1, 32, v1
	v_lshlrev_b64_e32 v[6:7], v1, v[6:7]
	v_sub_nc_u32_e32 v1, 32, v1
	s_delay_alu instid0(VALU_DEP_2) | instskip(NEXT) | instid1(VALU_DEP_1)
	v_min_u32_e32 v3, 1, v6
	v_or_b32_e32 v3, v7, v3
	s_delay_alu instid0(VALU_DEP_1) | instskip(NEXT) | instid1(VALU_DEP_1)
	v_cvt_f32_u32_e32 v3, v3
	v_ldexp_f32 v1, v3, v1
	s_delay_alu instid0(VALU_DEP_1)
	v_cvt_f16_f32_e32 v1, v1
	s_branch .LBB25_167
.LBB25_165:
	s_mov_b32 s24, -1
                                        ; implicit-def: $vgpr1
.LBB25_166:
	s_mov_b32 s18, 0
.LBB25_167:
	s_delay_alu instid0(SALU_CYCLE_1)
	s_and_b32 vcc_lo, exec_lo, s18
	s_cbranch_vccz .LBB25_185
; %bb.168:
	s_cmp_lt_i32 s0, 27
	s_cbranch_scc1 .LBB25_171
; %bb.169:
	s_cmp_gt_i32 s0, 27
	s_cbranch_scc0 .LBB25_172
; %bb.170:
	global_load_b32 v1, v[4:5], off
	s_mov_b32 s1, 0
	s_wait_loadcnt 0x0
	v_cvt_f32_u32_e32 v1, v1
	s_delay_alu instid0(VALU_DEP_1)
	v_cvt_f16_f32_e32 v1, v1
	s_branch .LBB25_173
.LBB25_171:
	s_mov_b32 s1, -1
                                        ; implicit-def: $vgpr1
	s_branch .LBB25_176
.LBB25_172:
	s_mov_b32 s1, -1
                                        ; implicit-def: $vgpr1
.LBB25_173:
	s_delay_alu instid0(SALU_CYCLE_1)
	s_and_not1_b32 vcc_lo, exec_lo, s1
	s_cbranch_vccnz .LBB25_175
; %bb.174:
	global_load_u16 v1, v[4:5], off
	s_wait_loadcnt 0x0
	v_cvt_f16_u16_e32 v1, v1
.LBB25_175:
	s_mov_b32 s1, 0
.LBB25_176:
	s_delay_alu instid0(SALU_CYCLE_1)
	s_and_not1_b32 vcc_lo, exec_lo, s1
	s_cbranch_vccnz .LBB25_184
; %bb.177:
	global_load_u8 v3, v[4:5], off
	s_mov_b32 s1, 0
	s_mov_b32 s18, exec_lo
	s_wait_loadcnt 0x0
	v_cmpx_lt_i16_e32 0x7f, v3
	s_xor_b32 s18, exec_lo, s18
	s_cbranch_execz .LBB25_197
; %bb.178:
	s_mov_b32 s1, -1
	s_mov_b32 s25, exec_lo
	v_cmpx_eq_u16_e32 0x80, v3
; %bb.179:
	s_xor_b32 s1, exec_lo, -1
; %bb.180:
	s_or_b32 exec_lo, exec_lo, s25
	s_delay_alu instid0(SALU_CYCLE_1)
	s_and_b32 s1, s1, exec_lo
	s_or_saveexec_b32 s18, s18
	v_mov_b32_e32 v1, 0x7e00
	s_xor_b32 exec_lo, exec_lo, s18
	s_cbranch_execnz .LBB25_198
.LBB25_181:
	s_or_b32 exec_lo, exec_lo, s18
	s_and_saveexec_b32 s18, s1
	s_cbranch_execz .LBB25_183
.LBB25_182:
	v_and_b32_e32 v1, 0xffff, v3
	s_delay_alu instid0(VALU_DEP_1) | instskip(SKIP_1) | instid1(VALU_DEP_2)
	v_and_b32_e32 v6, 7, v1
	v_bfe_u32 v9, v1, 3, 4
	v_clz_i32_u32_e32 v7, v6
	s_delay_alu instid0(VALU_DEP_2) | instskip(NEXT) | instid1(VALU_DEP_2)
	v_cmp_eq_u32_e32 vcc_lo, 0, v9
	v_min_u32_e32 v7, 32, v7
	s_delay_alu instid0(VALU_DEP_1) | instskip(NEXT) | instid1(VALU_DEP_1)
	v_subrev_nc_u32_e32 v8, 28, v7
	v_dual_lshlrev_b32 v1, v8, v1 :: v_dual_sub_nc_u32 v7, 29, v7
	s_delay_alu instid0(VALU_DEP_1) | instskip(NEXT) | instid1(VALU_DEP_1)
	v_dual_lshlrev_b32 v3, 24, v3 :: v_dual_bitop2_b32 v1, 7, v1 bitop3:0x40
	v_dual_cndmask_b32 v1, v6, v1, vcc_lo :: v_dual_cndmask_b32 v7, v9, v7, vcc_lo
	s_delay_alu instid0(VALU_DEP_2) | instskip(NEXT) | instid1(VALU_DEP_2)
	v_and_b32_e32 v3, 0x80000000, v3
	v_lshlrev_b32_e32 v1, 20, v1
	s_delay_alu instid0(VALU_DEP_3) | instskip(NEXT) | instid1(VALU_DEP_1)
	v_lshl_add_u32 v6, v7, 23, 0x3b800000
	v_or3_b32 v1, v3, v6, v1
	s_delay_alu instid0(VALU_DEP_1)
	v_cvt_f16_f32_e32 v1, v1
.LBB25_183:
	s_or_b32 exec_lo, exec_lo, s18
.LBB25_184:
	s_mov_b32 s1, -1
.LBB25_185:
	s_branch .LBB25_220
.LBB25_186:
	s_cmp_gt_i32 s0, 22
	s_cbranch_scc0 .LBB25_196
; %bb.187:
	s_cmp_lt_i32 s0, 24
	s_cbranch_scc1 .LBB25_199
; %bb.188:
	s_cmp_gt_i32 s0, 24
	s_cbranch_scc0 .LBB25_200
; %bb.189:
	global_load_u8 v3, v[4:5], off
	s_mov_b32 s1, 0
	s_mov_b32 s18, exec_lo
	s_wait_loadcnt 0x0
	v_cmpx_lt_i16_e32 0x7f, v3
	s_xor_b32 s18, exec_lo, s18
	s_cbranch_execz .LBB25_212
; %bb.190:
	s_mov_b32 s1, -1
	s_mov_b32 s25, exec_lo
	v_cmpx_eq_u16_e32 0x80, v3
; %bb.191:
	s_xor_b32 s1, exec_lo, -1
; %bb.192:
	s_or_b32 exec_lo, exec_lo, s25
	s_delay_alu instid0(SALU_CYCLE_1)
	s_and_b32 s1, s1, exec_lo
	s_or_saveexec_b32 s18, s18
	v_mov_b32_e32 v1, 0x7e00
	s_xor_b32 exec_lo, exec_lo, s18
	s_cbranch_execnz .LBB25_213
.LBB25_193:
	s_or_b32 exec_lo, exec_lo, s18
	s_and_saveexec_b32 s18, s1
	s_cbranch_execz .LBB25_195
.LBB25_194:
	v_and_b32_e32 v1, 0xffff, v3
	s_delay_alu instid0(VALU_DEP_1) | instskip(SKIP_1) | instid1(VALU_DEP_2)
	v_and_b32_e32 v6, 3, v1
	v_bfe_u32 v9, v1, 2, 5
	v_clz_i32_u32_e32 v7, v6
	s_delay_alu instid0(VALU_DEP_2) | instskip(NEXT) | instid1(VALU_DEP_2)
	v_cmp_eq_u32_e32 vcc_lo, 0, v9
	v_min_u32_e32 v7, 32, v7
	s_delay_alu instid0(VALU_DEP_1) | instskip(NEXT) | instid1(VALU_DEP_1)
	v_subrev_nc_u32_e32 v8, 29, v7
	v_dual_lshlrev_b32 v1, v8, v1 :: v_dual_sub_nc_u32 v7, 30, v7
	s_delay_alu instid0(VALU_DEP_1) | instskip(NEXT) | instid1(VALU_DEP_1)
	v_dual_lshlrev_b32 v3, 24, v3 :: v_dual_bitop2_b32 v1, 3, v1 bitop3:0x40
	v_dual_cndmask_b32 v1, v6, v1, vcc_lo :: v_dual_cndmask_b32 v7, v9, v7, vcc_lo
	s_delay_alu instid0(VALU_DEP_2) | instskip(NEXT) | instid1(VALU_DEP_2)
	v_and_b32_e32 v3, 0x80000000, v3
	v_lshlrev_b32_e32 v1, 21, v1
	s_delay_alu instid0(VALU_DEP_3) | instskip(NEXT) | instid1(VALU_DEP_1)
	v_lshl_add_u32 v6, v7, 23, 0x37800000
	v_or3_b32 v1, v3, v6, v1
	s_delay_alu instid0(VALU_DEP_1)
	v_cvt_f16_f32_e32 v1, v1
.LBB25_195:
	s_or_b32 exec_lo, exec_lo, s18
	s_mov_b32 s1, 0
	s_branch .LBB25_201
.LBB25_196:
	s_mov_b32 s18, -1
                                        ; implicit-def: $vgpr1
	s_branch .LBB25_207
.LBB25_197:
	s_or_saveexec_b32 s18, s18
	v_mov_b32_e32 v1, 0x7e00
	s_xor_b32 exec_lo, exec_lo, s18
	s_cbranch_execz .LBB25_181
.LBB25_198:
	v_cmp_ne_u16_e32 vcc_lo, 0, v3
	v_mov_b32_e32 v1, v3
	s_and_not1_b32 s1, s1, exec_lo
	s_and_b32 s25, vcc_lo, exec_lo
	s_delay_alu instid0(SALU_CYCLE_1)
	s_or_b32 s1, s1, s25
	s_or_b32 exec_lo, exec_lo, s18
	s_and_saveexec_b32 s18, s1
	s_cbranch_execnz .LBB25_182
	s_branch .LBB25_183
.LBB25_199:
	s_mov_b32 s1, -1
                                        ; implicit-def: $vgpr1
	s_branch .LBB25_204
.LBB25_200:
	s_mov_b32 s1, -1
                                        ; implicit-def: $vgpr1
.LBB25_201:
	s_delay_alu instid0(SALU_CYCLE_1)
	s_and_b32 vcc_lo, exec_lo, s1
	s_cbranch_vccz .LBB25_203
; %bb.202:
	global_load_u8 v1, v[4:5], off
	s_wait_loadcnt 0x0
	v_lshlrev_b32_e32 v1, 24, v1
	s_delay_alu instid0(VALU_DEP_1) | instskip(NEXT) | instid1(VALU_DEP_1)
	v_and_b32_e32 v3, 0x7f000000, v1
	v_clz_i32_u32_e32 v6, v3
	v_cmp_ne_u32_e32 vcc_lo, 0, v3
	v_add_nc_u32_e32 v8, 0x1000000, v3
	s_delay_alu instid0(VALU_DEP_3) | instskip(NEXT) | instid1(VALU_DEP_1)
	v_min_u32_e32 v6, 32, v6
	v_sub_nc_u32_e64 v6, v6, 4 clamp
	s_delay_alu instid0(VALU_DEP_1) | instskip(NEXT) | instid1(VALU_DEP_1)
	v_dual_lshlrev_b32 v7, v6, v3 :: v_dual_lshlrev_b32 v6, 23, v6
	v_lshrrev_b32_e32 v7, 4, v7
	s_delay_alu instid0(VALU_DEP_1) | instskip(NEXT) | instid1(VALU_DEP_1)
	v_dual_sub_nc_u32 v6, v7, v6 :: v_dual_ashrrev_i32 v7, 8, v8
	v_add_nc_u32_e32 v6, 0x3c000000, v6
	s_delay_alu instid0(VALU_DEP_1) | instskip(NEXT) | instid1(VALU_DEP_1)
	v_and_or_b32 v6, 0x7f800000, v7, v6
	v_cndmask_b32_e32 v3, 0, v6, vcc_lo
	s_delay_alu instid0(VALU_DEP_1) | instskip(NEXT) | instid1(VALU_DEP_1)
	v_and_or_b32 v1, 0x80000000, v1, v3
	v_cvt_f16_f32_e32 v1, v1
.LBB25_203:
	s_mov_b32 s1, 0
.LBB25_204:
	s_delay_alu instid0(SALU_CYCLE_1)
	s_and_not1_b32 vcc_lo, exec_lo, s1
	s_cbranch_vccnz .LBB25_206
; %bb.205:
	global_load_u8 v1, v[4:5], off
	s_wait_loadcnt 0x0
	v_lshlrev_b32_e32 v3, 25, v1
	v_lshlrev_b16 v1, 8, v1
	s_delay_alu instid0(VALU_DEP_1) | instskip(SKIP_1) | instid1(VALU_DEP_2)
	v_and_or_b32 v7, 0x7f00, v1, 0.5
	v_bfe_i32 v1, v1, 0, 16
	v_add_f32_e32 v7, -0.5, v7
	v_lshrrev_b32_e32 v6, 4, v3
	v_cmp_gt_u32_e32 vcc_lo, 0x8000000, v3
	s_delay_alu instid0(VALU_DEP_2) | instskip(NEXT) | instid1(VALU_DEP_1)
	v_or_b32_e32 v6, 0x70000000, v6
	v_mul_f32_e32 v6, 0x7800000, v6
	s_delay_alu instid0(VALU_DEP_1) | instskip(NEXT) | instid1(VALU_DEP_1)
	v_cndmask_b32_e32 v3, v6, v7, vcc_lo
	v_and_or_b32 v1, 0x80000000, v1, v3
	s_delay_alu instid0(VALU_DEP_1)
	v_cvt_f16_f32_e32 v1, v1
.LBB25_206:
	s_mov_b32 s18, 0
	s_mov_b32 s1, -1
.LBB25_207:
	s_and_not1_b32 vcc_lo, exec_lo, s18
	s_cbranch_vccnz .LBB25_220
; %bb.208:
	s_cmp_gt_i32 s0, 14
	s_cbranch_scc0 .LBB25_211
; %bb.209:
	s_cmp_eq_u32 s0, 15
	s_cbranch_scc0 .LBB25_214
; %bb.210:
	global_load_u16 v1, v[4:5], off
	s_mov_b32 s1, -1
	s_mov_b32 s24, 0
	s_wait_loadcnt 0x0
	v_lshlrev_b32_e32 v1, 16, v1
	s_delay_alu instid0(VALU_DEP_1)
	v_cvt_f16_f32_e32 v1, v1
	s_branch .LBB25_215
.LBB25_211:
	s_mov_b32 s18, -1
                                        ; implicit-def: $vgpr1
	s_branch .LBB25_216
.LBB25_212:
	s_or_saveexec_b32 s18, s18
	v_mov_b32_e32 v1, 0x7e00
	s_xor_b32 exec_lo, exec_lo, s18
	s_cbranch_execz .LBB25_193
.LBB25_213:
	v_cmp_ne_u16_e32 vcc_lo, 0, v3
	v_mov_b32_e32 v1, v3
	s_and_not1_b32 s1, s1, exec_lo
	s_and_b32 s25, vcc_lo, exec_lo
	s_delay_alu instid0(SALU_CYCLE_1)
	s_or_b32 s1, s1, s25
	s_or_b32 exec_lo, exec_lo, s18
	s_and_saveexec_b32 s18, s1
	s_cbranch_execnz .LBB25_194
	s_branch .LBB25_195
.LBB25_214:
	s_mov_b32 s24, -1
                                        ; implicit-def: $vgpr1
.LBB25_215:
	s_mov_b32 s18, 0
.LBB25_216:
	s_delay_alu instid0(SALU_CYCLE_1)
	s_and_b32 vcc_lo, exec_lo, s18
	s_cbranch_vccz .LBB25_220
; %bb.217:
	s_cmp_eq_u32 s0, 11
	s_cbranch_scc0 .LBB25_219
; %bb.218:
	global_load_u8 v1, v[4:5], off
	s_mov_b32 s24, 0
	s_mov_b32 s1, -1
	s_wait_loadcnt 0x0
	v_cmp_ne_u16_e32 vcc_lo, 0, v1
	v_cndmask_b32_e64 v1, 0, 0x3c00, vcc_lo
	s_branch .LBB25_220
.LBB25_219:
	s_mov_b32 s24, -1
                                        ; implicit-def: $vgpr1
.LBB25_220:
	s_branch .LBB25_25
.LBB25_221:
	s_cmp_lt_i32 s0, 5
	s_cbranch_scc1 .LBB25_226
; %bb.222:
	s_cmp_lt_i32 s0, 8
	s_cbranch_scc1 .LBB25_227
; %bb.223:
	;; [unrolled: 3-line block ×3, first 2 shown]
	s_cmp_gt_i32 s0, 9
	s_cbranch_scc0 .LBB25_229
; %bb.225:
	global_load_b64 v[6:7], v[4:5], off
	s_mov_b32 s1, 0
	s_wait_loadcnt 0x0
	v_and_or_b32 v1, 0x1ff, v7, v6
	v_lshrrev_b32_e32 v3, 8, v7
	v_bfe_u32 v6, v7, 20, 11
	s_delay_alu instid0(VALU_DEP_3) | instskip(NEXT) | instid1(VALU_DEP_2)
	v_cmp_ne_u32_e32 vcc_lo, 0, v1
	v_sub_nc_u32_e32 v8, 0x3f1, v6
	v_add_nc_u32_e32 v6, 0xfffffc10, v6
	v_cndmask_b32_e64 v1, 0, 1, vcc_lo
	s_delay_alu instid0(VALU_DEP_1) | instskip(NEXT) | instid1(VALU_DEP_4)
	v_and_or_b32 v1, 0xffe, v3, v1
	v_med3_i32 v3, v8, 0, 13
	s_delay_alu instid0(VALU_DEP_2) | instskip(NEXT) | instid1(VALU_DEP_1)
	v_or_b32_e32 v8, 0x1000, v1
	v_lshrrev_b32_e32 v9, v3, v8
	s_delay_alu instid0(VALU_DEP_1) | instskip(NEXT) | instid1(VALU_DEP_1)
	v_lshlrev_b32_e32 v3, v3, v9
	v_cmp_ne_u32_e32 vcc_lo, v3, v8
	v_lshl_or_b32 v8, v6, 12, v1
	v_cndmask_b32_e64 v3, 0, 1, vcc_lo
	v_cmp_gt_i32_e32 vcc_lo, 1, v6
	s_delay_alu instid0(VALU_DEP_2) | instskip(NEXT) | instid1(VALU_DEP_1)
	v_or_b32_e32 v3, v9, v3
	v_cndmask_b32_e32 v3, v8, v3, vcc_lo
	s_delay_alu instid0(VALU_DEP_1) | instskip(NEXT) | instid1(VALU_DEP_1)
	v_dual_lshrrev_b32 v3, 2, v3 :: v_dual_bitop2_b32 v8, 7, v3 bitop3:0x40
	v_cmp_lt_i32_e32 vcc_lo, 5, v8
	v_cndmask_b32_e64 v9, 0, 1, vcc_lo
	v_cmp_eq_u32_e32 vcc_lo, 3, v8
	v_cndmask_b32_e64 v8, 0, 1, vcc_lo
	v_cmp_ne_u32_e32 vcc_lo, 0, v1
	s_delay_alu instid0(VALU_DEP_2) | instskip(SKIP_1) | instid1(VALU_DEP_2)
	v_or_b32_e32 v8, v8, v9
	v_mov_b32_e32 v9, 0x7e00
	v_add_nc_u32_e32 v3, v3, v8
	s_delay_alu instid0(VALU_DEP_2) | instskip(SKIP_1) | instid1(VALU_DEP_3)
	v_cndmask_b32_e32 v1, 0x7c00, v9, vcc_lo
	v_cmp_gt_i32_e32 vcc_lo, 31, v6
	v_cndmask_b32_e32 v3, 0x7c00, v3, vcc_lo
	v_cmp_eq_u32_e32 vcc_lo, 0x40f, v6
	s_delay_alu instid0(VALU_DEP_2) | instskip(NEXT) | instid1(VALU_DEP_1)
	v_dual_cndmask_b32 v1, v3, v1, vcc_lo :: v_dual_lshrrev_b32 v3, 16, v7
	v_and_or_b32 v1, 0x8000, v3, v1
	s_branch .LBB25_230
.LBB25_226:
                                        ; implicit-def: $vgpr1
	s_branch .LBB25_248
.LBB25_227:
	s_mov_b32 s1, -1
                                        ; implicit-def: $vgpr1
	s_branch .LBB25_236
.LBB25_228:
	s_mov_b32 s1, -1
                                        ; implicit-def: $vgpr1
	s_branch .LBB25_233
.LBB25_229:
	s_mov_b32 s1, -1
                                        ; implicit-def: $vgpr1
.LBB25_230:
	s_delay_alu instid0(SALU_CYCLE_1)
	s_and_not1_b32 vcc_lo, exec_lo, s1
	s_cbranch_vccnz .LBB25_232
; %bb.231:
	global_load_b32 v1, v[4:5], off
	s_wait_loadcnt 0x0
	v_cvt_f16_f32_e32 v1, v1
.LBB25_232:
	s_mov_b32 s1, 0
.LBB25_233:
	s_delay_alu instid0(SALU_CYCLE_1)
	s_and_not1_b32 vcc_lo, exec_lo, s1
	s_cbranch_vccnz .LBB25_235
; %bb.234:
	global_load_b32 v1, v[4:5], off
.LBB25_235:
	s_mov_b32 s1, 0
.LBB25_236:
	s_delay_alu instid0(SALU_CYCLE_1)
	s_and_not1_b32 vcc_lo, exec_lo, s1
	s_cbranch_vccnz .LBB25_247
; %bb.237:
	s_cmp_lt_i32 s0, 6
	s_cbranch_scc1 .LBB25_240
; %bb.238:
	s_cmp_gt_i32 s0, 6
	s_cbranch_scc0 .LBB25_241
; %bb.239:
	global_load_b64 v[6:7], v[4:5], off
	s_mov_b32 s1, 0
	s_wait_loadcnt 0x0
	v_and_or_b32 v1, 0x1ff, v7, v6
	v_lshrrev_b32_e32 v3, 8, v7
	v_bfe_u32 v6, v7, 20, 11
	s_delay_alu instid0(VALU_DEP_3) | instskip(NEXT) | instid1(VALU_DEP_2)
	v_cmp_ne_u32_e32 vcc_lo, 0, v1
	v_sub_nc_u32_e32 v8, 0x3f1, v6
	v_add_nc_u32_e32 v6, 0xfffffc10, v6
	v_cndmask_b32_e64 v1, 0, 1, vcc_lo
	s_delay_alu instid0(VALU_DEP_1) | instskip(NEXT) | instid1(VALU_DEP_4)
	v_and_or_b32 v1, 0xffe, v3, v1
	v_med3_i32 v3, v8, 0, 13
	s_delay_alu instid0(VALU_DEP_2) | instskip(NEXT) | instid1(VALU_DEP_1)
	v_or_b32_e32 v8, 0x1000, v1
	v_lshrrev_b32_e32 v9, v3, v8
	s_delay_alu instid0(VALU_DEP_1) | instskip(NEXT) | instid1(VALU_DEP_1)
	v_lshlrev_b32_e32 v3, v3, v9
	v_cmp_ne_u32_e32 vcc_lo, v3, v8
	v_lshl_or_b32 v8, v6, 12, v1
	v_cndmask_b32_e64 v3, 0, 1, vcc_lo
	v_cmp_gt_i32_e32 vcc_lo, 1, v6
	s_delay_alu instid0(VALU_DEP_2) | instskip(NEXT) | instid1(VALU_DEP_1)
	v_or_b32_e32 v3, v9, v3
	v_cndmask_b32_e32 v3, v8, v3, vcc_lo
	s_delay_alu instid0(VALU_DEP_1) | instskip(NEXT) | instid1(VALU_DEP_1)
	v_dual_lshrrev_b32 v3, 2, v3 :: v_dual_bitop2_b32 v8, 7, v3 bitop3:0x40
	v_cmp_lt_i32_e32 vcc_lo, 5, v8
	v_cndmask_b32_e64 v9, 0, 1, vcc_lo
	v_cmp_eq_u32_e32 vcc_lo, 3, v8
	v_cndmask_b32_e64 v8, 0, 1, vcc_lo
	v_cmp_ne_u32_e32 vcc_lo, 0, v1
	s_delay_alu instid0(VALU_DEP_2) | instskip(SKIP_1) | instid1(VALU_DEP_2)
	v_or_b32_e32 v8, v8, v9
	v_mov_b32_e32 v9, 0x7e00
	v_add_nc_u32_e32 v3, v3, v8
	s_delay_alu instid0(VALU_DEP_2) | instskip(SKIP_1) | instid1(VALU_DEP_3)
	v_cndmask_b32_e32 v1, 0x7c00, v9, vcc_lo
	v_cmp_gt_i32_e32 vcc_lo, 31, v6
	v_cndmask_b32_e32 v3, 0x7c00, v3, vcc_lo
	v_cmp_eq_u32_e32 vcc_lo, 0x40f, v6
	s_delay_alu instid0(VALU_DEP_2) | instskip(NEXT) | instid1(VALU_DEP_1)
	v_dual_cndmask_b32 v1, v3, v1, vcc_lo :: v_dual_lshrrev_b32 v3, 16, v7
	v_and_or_b32 v1, 0x8000, v3, v1
	s_branch .LBB25_242
.LBB25_240:
	s_mov_b32 s1, -1
                                        ; implicit-def: $vgpr1
	s_branch .LBB25_245
.LBB25_241:
	s_mov_b32 s1, -1
                                        ; implicit-def: $vgpr1
.LBB25_242:
	s_delay_alu instid0(SALU_CYCLE_1)
	s_and_not1_b32 vcc_lo, exec_lo, s1
	s_cbranch_vccnz .LBB25_244
; %bb.243:
	s_wait_loadcnt 0x0
	global_load_b32 v1, v[4:5], off
	s_wait_loadcnt 0x0
	v_cvt_f16_f32_e32 v1, v1
.LBB25_244:
	s_mov_b32 s1, 0
.LBB25_245:
	s_delay_alu instid0(SALU_CYCLE_1)
	s_and_not1_b32 vcc_lo, exec_lo, s1
	s_cbranch_vccnz .LBB25_247
; %bb.246:
	s_wait_loadcnt 0x0
	global_load_u16 v1, v[4:5], off
.LBB25_247:
	s_cbranch_execnz .LBB25_267
.LBB25_248:
	s_cmp_lt_i32 s0, 2
	s_cbranch_scc1 .LBB25_252
; %bb.249:
	s_cmp_lt_i32 s0, 3
	s_cbranch_scc1 .LBB25_253
; %bb.250:
	s_cmp_gt_i32 s0, 3
	s_cbranch_scc0 .LBB25_254
; %bb.251:
	global_load_b64 v[6:7], v[4:5], off
	s_mov_b32 s1, 0
	s_wait_loadcnt 0x0
	v_xor_b32_e32 v1, v6, v7
	v_cls_i32_e32 v3, v7
	s_delay_alu instid0(VALU_DEP_2) | instskip(NEXT) | instid1(VALU_DEP_1)
	v_ashrrev_i32_e32 v1, 31, v1
	v_add_nc_u32_e32 v1, 32, v1
	s_delay_alu instid0(VALU_DEP_1) | instskip(NEXT) | instid1(VALU_DEP_1)
	v_add_min_u32_e64 v1, v3, -1, v1
	v_lshlrev_b64_e32 v[6:7], v1, v[6:7]
	v_sub_nc_u32_e32 v1, 32, v1
	s_delay_alu instid0(VALU_DEP_2) | instskip(NEXT) | instid1(VALU_DEP_1)
	v_min_u32_e32 v3, 1, v6
	v_or_b32_e32 v3, v7, v3
	s_delay_alu instid0(VALU_DEP_1) | instskip(NEXT) | instid1(VALU_DEP_1)
	v_cvt_f32_i32_e32 v3, v3
	v_ldexp_f32 v1, v3, v1
	s_delay_alu instid0(VALU_DEP_1)
	v_cvt_f16_f32_e32 v1, v1
	s_branch .LBB25_255
.LBB25_252:
	s_mov_b32 s1, -1
                                        ; implicit-def: $vgpr1
	s_branch .LBB25_261
.LBB25_253:
	s_mov_b32 s1, -1
                                        ; implicit-def: $vgpr1
	s_branch .LBB25_258
.LBB25_254:
	s_mov_b32 s1, -1
                                        ; implicit-def: $vgpr1
.LBB25_255:
	s_delay_alu instid0(SALU_CYCLE_1)
	s_and_not1_b32 vcc_lo, exec_lo, s1
	s_cbranch_vccnz .LBB25_257
; %bb.256:
	s_wait_loadcnt 0x0
	global_load_b32 v1, v[4:5], off
	s_wait_loadcnt 0x0
	v_cvt_f32_i32_e32 v1, v1
	s_delay_alu instid0(VALU_DEP_1)
	v_cvt_f16_f32_e32 v1, v1
.LBB25_257:
	s_mov_b32 s1, 0
.LBB25_258:
	s_delay_alu instid0(SALU_CYCLE_1)
	s_and_not1_b32 vcc_lo, exec_lo, s1
	s_cbranch_vccnz .LBB25_260
; %bb.259:
	s_wait_loadcnt 0x0
	global_load_u16 v1, v[4:5], off
	s_wait_loadcnt 0x0
	v_cvt_f16_i16_e32 v1, v1
.LBB25_260:
	s_mov_b32 s1, 0
.LBB25_261:
	s_delay_alu instid0(SALU_CYCLE_1)
	s_and_not1_b32 vcc_lo, exec_lo, s1
	s_cbranch_vccnz .LBB25_267
; %bb.262:
	s_cmp_gt_i32 s0, 0
	s_mov_b32 s0, 0
	s_cbranch_scc0 .LBB25_264
; %bb.263:
	s_wait_loadcnt 0x0
	global_load_i8 v1, v[4:5], off
	s_wait_loadcnt 0x0
	v_cvt_f16_i16_e32 v1, v1
	s_branch .LBB25_265
.LBB25_264:
	s_mov_b32 s0, -1
                                        ; implicit-def: $vgpr1
.LBB25_265:
	s_delay_alu instid0(SALU_CYCLE_1)
	s_and_not1_b32 vcc_lo, exec_lo, s0
	s_cbranch_vccnz .LBB25_267
; %bb.266:
	s_wait_loadcnt 0x0
	global_load_u8 v1, v[4:5], off
	s_wait_loadcnt 0x0
	v_cvt_f16_u16_e32 v1, v1
.LBB25_267:
	s_branch .LBB25_26
.LBB25_268:
	s_mov_b32 s0, 0
.LBB25_269:
	s_mov_b32 s1, 0
                                        ; implicit-def: $vgpr0
.LBB25_270:
	s_and_b32 s18, s0, exec_lo
	s_and_b32 s39, s24, exec_lo
	s_or_not1_b32 s24, s1, exec_lo
.LBB25_271:
	s_wait_xcnt 0x0
	s_or_b32 exec_lo, exec_lo, s40
	s_mov_b32 s25, 0
	s_mov_b32 s0, 0
                                        ; implicit-def: $vgpr4_vgpr5
                                        ; implicit-def: $vgpr2
                                        ; implicit-def: $vgpr6
	s_and_saveexec_b32 s40, s24
	s_cbranch_execz .LBB25_279
; %bb.272:
	s_mov_b32 s0, -1
	s_mov_b32 s41, s39
	s_mov_b32 s42, s18
	s_mov_b32 s43, exec_lo
	v_cmpx_gt_i32_e64 s36, v0
	s_cbranch_execz .LBB25_553
; %bb.273:
	s_and_not1_b32 vcc_lo, exec_lo, s31
	s_cbranch_vccnz .LBB25_282
; %bb.274:
	s_and_not1_b32 vcc_lo, exec_lo, s38
	s_cbranch_vccnz .LBB25_283
; %bb.275:
	s_add_co_i32 s1, s37, 1
	s_cmp_eq_u32 s29, 2
	s_cbranch_scc1 .LBB25_284
; %bb.276:
	v_dual_mov_b32 v2, 0 :: v_dual_mov_b32 v4, 0
	s_wait_loadcnt 0x0
	v_mov_b32_e32 v1, v0
	s_and_b32 s0, s1, 28
	s_mov_b32 s41, 0
	s_mov_b64 s[24:25], s[2:3]
	s_mov_b64 s[26:27], s[22:23]
.LBB25_277:                             ; =>This Inner Loop Header: Depth=1
	s_clause 0x1
	s_load_b256 s[44:51], s[24:25], 0x4
	s_load_b128 s[60:63], s[24:25], 0x24
	s_load_b256 s[52:59], s[26:27], 0x0
	s_add_co_i32 s41, s41, 4
	s_wait_xcnt 0x0
	s_add_nc_u64 s[24:25], s[24:25], 48
	s_cmp_eq_u32 s0, s41
	s_add_nc_u64 s[26:27], s[26:27], 32
	s_wait_kmcnt 0x0
	v_mul_hi_u32 v3, s45, v1
	s_delay_alu instid0(VALU_DEP_1) | instskip(NEXT) | instid1(VALU_DEP_1)
	v_add_nc_u32_e32 v3, v1, v3
	v_lshrrev_b32_e32 v3, s46, v3
	s_delay_alu instid0(VALU_DEP_1) | instskip(NEXT) | instid1(VALU_DEP_1)
	v_mul_hi_u32 v5, s48, v3
	v_add_nc_u32_e32 v5, v3, v5
	s_delay_alu instid0(VALU_DEP_1) | instskip(NEXT) | instid1(VALU_DEP_1)
	v_lshrrev_b32_e32 v5, s49, v5
	v_mul_hi_u32 v6, s51, v5
	s_delay_alu instid0(VALU_DEP_1) | instskip(SKIP_1) | instid1(VALU_DEP_1)
	v_add_nc_u32_e32 v6, v5, v6
	v_mul_lo_u32 v7, v3, s44
	v_sub_nc_u32_e32 v1, v1, v7
	v_mul_lo_u32 v7, v5, s47
	s_delay_alu instid0(VALU_DEP_4) | instskip(NEXT) | instid1(VALU_DEP_3)
	v_lshrrev_b32_e32 v6, s60, v6
	v_mad_u32 v4, v1, s53, v4
	v_mad_u32 v1, v1, s52, v2
	s_delay_alu instid0(VALU_DEP_4) | instskip(NEXT) | instid1(VALU_DEP_4)
	v_sub_nc_u32_e32 v2, v3, v7
	v_mul_hi_u32 v8, s62, v6
	v_mul_lo_u32 v3, v6, s50
	s_delay_alu instid0(VALU_DEP_3) | instskip(SKIP_1) | instid1(VALU_DEP_3)
	v_mad_u32 v4, v2, s55, v4
	v_mad_u32 v2, v2, s54, v1
	v_dual_add_nc_u32 v7, v6, v8 :: v_dual_sub_nc_u32 v3, v5, v3
	s_delay_alu instid0(VALU_DEP_1) | instskip(NEXT) | instid1(VALU_DEP_2)
	v_lshrrev_b32_e32 v1, s63, v7
	v_mad_u32 v4, v3, s57, v4
	s_delay_alu instid0(VALU_DEP_4) | instskip(NEXT) | instid1(VALU_DEP_3)
	v_mad_u32 v2, v3, s56, v2
	v_mul_lo_u32 v5, v1, s61
	s_delay_alu instid0(VALU_DEP_1) | instskip(NEXT) | instid1(VALU_DEP_1)
	v_sub_nc_u32_e32 v3, v6, v5
	v_mad_u32 v4, v3, s59, v4
	s_delay_alu instid0(VALU_DEP_4)
	v_mad_u32 v2, v3, s58, v2
	s_cbranch_scc0 .LBB25_277
; %bb.278:
	s_delay_alu instid0(VALU_DEP_2)
	v_mov_b32_e32 v3, v4
	s_branch .LBB25_285
.LBB25_279:
	s_or_b32 exec_lo, exec_lo, s40
	s_mov_b32 s6, 0
	s_and_saveexec_b32 s1, s39
	s_cbranch_execnz .LBB25_938
.LBB25_280:
	s_or_b32 exec_lo, exec_lo, s1
	s_and_saveexec_b32 s1, s17
	s_delay_alu instid0(SALU_CYCLE_1)
	s_xor_b32 s1, exec_lo, s1
	s_cbranch_execz .LBB25_939
.LBB25_281:
	global_load_u8 v0, v[4:5], off
	s_or_b32 s0, s0, exec_lo
	s_wait_loadcnt 0x0
	v_cmp_ne_u16_e32 vcc_lo, 0, v0
	v_cndmask_b32_e64 v6, 0, 0x3c00, vcc_lo
	s_wait_xcnt 0x0
	s_or_b32 exec_lo, exec_lo, s1
	s_and_saveexec_b32 s1, s25
	s_cbranch_execz .LBB25_985
	s_branch .LBB25_940
.LBB25_282:
                                        ; implicit-def: $vgpr4
                                        ; implicit-def: $vgpr2
	s_and_not1_b32 vcc_lo, exec_lo, s0
	s_cbranch_vccnz .LBB25_292
	s_branch .LBB25_290
.LBB25_283:
	v_dual_mov_b32 v4, 0 :: v_dual_mov_b32 v2, 0
	s_branch .LBB25_289
.LBB25_284:
	v_mov_b64_e32 v[2:3], 0
	s_wait_loadcnt 0x0
	v_mov_b32_e32 v1, v0
	s_mov_b32 s0, 0
                                        ; implicit-def: $vgpr4
.LBB25_285:
	s_and_b32 s26, s1, 3
	s_mov_b32 s1, 0
	s_cmp_eq_u32 s26, 0
	s_cbranch_scc1 .LBB25_289
; %bb.286:
	s_lshl_b32 s24, s0, 3
	s_mov_b32 s25, s1
	s_mul_u64 s[44:45], s[0:1], 12
	s_add_nc_u64 s[24:25], s[2:3], s[24:25]
	s_delay_alu instid0(SALU_CYCLE_1)
	s_add_nc_u64 s[0:1], s[24:25], 0xc4
	s_add_nc_u64 s[24:25], s[2:3], s[44:45]
.LBB25_287:                             ; =>This Inner Loop Header: Depth=1
	s_load_b96 s[44:46], s[24:25], 0x4
	s_add_co_i32 s26, s26, -1
	s_wait_xcnt 0x0
	s_add_nc_u64 s[24:25], s[24:25], 12
	s_cmp_lg_u32 s26, 0
	s_wait_kmcnt 0x0
	v_mul_hi_u32 v4, s45, v1
	s_delay_alu instid0(VALU_DEP_1) | instskip(NEXT) | instid1(VALU_DEP_1)
	v_add_nc_u32_e32 v4, v1, v4
	v_lshrrev_b32_e32 v4, s46, v4
	s_load_b64 s[46:47], s[0:1], 0x0
	s_wait_xcnt 0x0
	s_add_nc_u64 s[0:1], s[0:1], 8
	s_delay_alu instid0(VALU_DEP_1) | instskip(NEXT) | instid1(VALU_DEP_1)
	v_mul_lo_u32 v5, v4, s44
	v_sub_nc_u32_e32 v1, v1, v5
	s_wait_kmcnt 0x0
	s_delay_alu instid0(VALU_DEP_1)
	v_mad_u32 v3, v1, s47, v3
	v_mad_u32 v2, v1, s46, v2
	v_mov_b32_e32 v1, v4
	s_cbranch_scc1 .LBB25_287
; %bb.288:
	s_delay_alu instid0(VALU_DEP_3)
	v_mov_b32_e32 v4, v3
.LBB25_289:
	s_cbranch_execnz .LBB25_292
.LBB25_290:
	s_wait_loadcnt 0x0
	v_mov_b32_e32 v1, 0
	s_and_not1_b32 vcc_lo, exec_lo, s35
	s_delay_alu instid0(VALU_DEP_1) | instskip(NEXT) | instid1(VALU_DEP_1)
	v_mul_u64_e32 v[2:3], s[16:17], v[0:1]
	v_add_nc_u32_e32 v2, v0, v3
	s_delay_alu instid0(VALU_DEP_1) | instskip(NEXT) | instid1(VALU_DEP_1)
	v_lshrrev_b32_e32 v6, s14, v2
	v_mul_lo_u32 v2, v6, s12
	s_delay_alu instid0(VALU_DEP_1) | instskip(NEXT) | instid1(VALU_DEP_1)
	v_sub_nc_u32_e32 v2, v0, v2
	v_mul_lo_u32 v4, v2, s9
	v_mul_lo_u32 v2, v2, s8
	s_cbranch_vccnz .LBB25_292
; %bb.291:
	v_mov_b32_e32 v7, v1
	s_delay_alu instid0(VALU_DEP_1) | instskip(NEXT) | instid1(VALU_DEP_1)
	v_mul_u64_e32 v[8:9], s[20:21], v[6:7]
	v_add_nc_u32_e32 v1, v6, v9
	s_delay_alu instid0(VALU_DEP_1) | instskip(NEXT) | instid1(VALU_DEP_1)
	v_lshrrev_b32_e32 v1, s19, v1
	v_mul_lo_u32 v1, v1, s15
	s_delay_alu instid0(VALU_DEP_1) | instskip(NEXT) | instid1(VALU_DEP_1)
	v_sub_nc_u32_e32 v1, v6, v1
	v_mad_u32 v2, v1, s10, v2
	v_mad_u32 v4, v1, s11, v4
.LBB25_292:
	v_mov_b32_e32 v5, 0
	s_and_b32 s0, 0xffff, s13
	s_delay_alu instid0(SALU_CYCLE_1) | instskip(NEXT) | instid1(VALU_DEP_1)
	s_cmp_lt_i32 s0, 11
	v_add_nc_u64_e32 v[4:5], s[6:7], v[4:5]
	s_cbranch_scc1 .LBB25_299
; %bb.293:
	s_cmp_gt_i32 s0, 25
	s_cbranch_scc0 .LBB25_352
; %bb.294:
	s_cmp_gt_i32 s0, 28
	s_cbranch_scc0 .LBB25_353
	;; [unrolled: 3-line block ×4, first 2 shown]
; %bb.297:
	s_cmp_eq_u32 s0, 46
	s_mov_b32 s25, 0
	s_cbranch_scc0 .LBB25_363
; %bb.298:
	s_wait_loadcnt 0x0
	global_load_b32 v1, v[4:5], off
	s_mov_b32 s1, -1
	s_mov_b32 s24, 0
	s_wait_loadcnt 0x0
	v_lshlrev_b32_e32 v1, 16, v1
	s_delay_alu instid0(VALU_DEP_1)
	v_cvt_f16_f32_e32 v1, v1
	s_branch .LBB25_365
.LBB25_299:
	s_mov_b32 s1, 0
	s_mov_b32 s24, s39
                                        ; implicit-def: $vgpr1
	s_cbranch_execnz .LBB25_502
.LBB25_300:
	s_and_not1_b32 vcc_lo, exec_lo, s1
	s_cbranch_vccnz .LBB25_550
.LBB25_301:
	s_wait_loadcnt 0x0
	s_delay_alu instid0(VALU_DEP_1) | instskip(SKIP_1) | instid1(VALU_DEP_1)
	v_cvt_f32_f16_e32 v1, v1
                                        ; implicit-def: $vgpr5
                                        ; implicit-def: $vgpr4
	s_mov_b32 s1, exec_lo
	v_and_b32_e32 v3, 0x7fffffff, v1
	s_wait_xcnt 0x0
	v_cmpx_ngt_f32_e64 0x48000000, |v1|
	s_xor_b32 s25, exec_lo, s1
	s_cbranch_execz .LBB25_303
; %bb.302:
	s_mov_b32 s0, 0x7fffff
	v_mov_b32_e32 v5, 0
	v_and_or_b32 v4, v3, s0, 0x800000
	s_mov_b64 s[0:1], 0xfe5163ab
	s_delay_alu instid0(VALU_DEP_1) | instid1(SALU_CYCLE_1)
	v_mul_u64_e32 v[6:7], s[0:1], v[4:5]
	s_delay_alu instid0(VALU_DEP_1) | instskip(SKIP_2) | instid1(VALU_DEP_3)
	v_dual_mov_b32 v8, v7 :: v_dual_mov_b32 v9, v5
	v_dual_mov_b32 v11, v5 :: v_dual_mov_b32 v13, v5
	v_dual_mov_b32 v15, v5 :: v_dual_lshrrev_b32 v7, 23, v3
	v_mad_nc_u64_u32 v[8:9], 0x3c439041, v4, v[8:9]
	s_delay_alu instid0(VALU_DEP_1) | instskip(NEXT) | instid1(VALU_DEP_1)
	v_mov_b32_e32 v10, v9
	v_mad_nc_u64_u32 v[10:11], 0xdb629599, v4, v[10:11]
	s_delay_alu instid0(VALU_DEP_1) | instskip(NEXT) | instid1(VALU_DEP_1)
	v_mov_b32_e32 v12, v11
	;; [unrolled: 3-line block ×3, first 2 shown]
	v_mad_nc_u64_u32 v[14:15], 0xfc2757d1, v4, v[14:15]
	s_delay_alu instid0(VALU_DEP_1) | instskip(NEXT) | instid1(VALU_DEP_1)
	v_dual_mov_b32 v17, v5 :: v_dual_mov_b32 v16, v15
	v_mad_nc_u64_u32 v[16:17], 0x4e441529, v4, v[16:17]
	s_delay_alu instid0(VALU_DEP_1) | instskip(NEXT) | instid1(VALU_DEP_1)
	v_dual_mov_b32 v18, v17 :: v_dual_add_nc_u32 v7, 0xffffff88, v7
	v_cmp_lt_u32_e32 vcc_lo, 63, v7
	v_mov_b32_e32 v19, v5
	v_cndmask_b32_e64 v9, 0, 0xffffffc0, vcc_lo
	s_delay_alu instid0(VALU_DEP_2) | instskip(SKIP_1) | instid1(VALU_DEP_3)
	v_mad_nc_u64_u32 v[4:5], 0xa2f9836e, v4, v[18:19]
	v_dual_cndmask_b32 v11, v16, v12, vcc_lo :: v_dual_cndmask_b32 v13, v14, v10, vcc_lo
	v_dual_cndmask_b32 v8, v12, v8 :: v_dual_add_nc_u32 v7, v9, v7
	v_cndmask_b32_e32 v6, v10, v6, vcc_lo
	s_delay_alu instid0(VALU_DEP_2) | instskip(SKIP_1) | instid1(VALU_DEP_2)
	v_cmp_lt_u32_e64 s0, 31, v7
	v_dual_cndmask_b32 v4, v4, v14 :: v_dual_cndmask_b32 v5, v5, v16
	v_cndmask_b32_e64 v9, 0, 0xffffffe0, s0
	s_delay_alu instid0(VALU_DEP_4) | instskip(NEXT) | instid1(VALU_DEP_2)
	v_dual_cndmask_b32 v12, v13, v8, s0 :: v_dual_cndmask_b32 v6, v8, v6, s0
	v_add_nc_u32_e32 v7, v9, v7
	s_delay_alu instid0(VALU_DEP_1) | instskip(NEXT) | instid1(VALU_DEP_1)
	v_cmp_lt_u32_e64 s1, 31, v7
	v_cndmask_b32_e64 v9, 0, 0xffffffe0, s1
	s_delay_alu instid0(VALU_DEP_1) | instskip(SKIP_1) | instid1(VALU_DEP_2)
	v_dual_cndmask_b32 v6, v12, v6, s1 :: v_dual_add_nc_u32 v7, v9, v7
	v_dual_cndmask_b32 v9, v4, v11, s0 :: v_dual_cndmask_b32 v4, v5, v4, s0
	v_dual_cndmask_b32 v5, v11, v13, s0 :: v_dual_sub_nc_u32 v11, 32, v7
	v_cmp_eq_u32_e32 vcc_lo, 0, v7
	s_delay_alu instid0(VALU_DEP_3) | instskip(NEXT) | instid1(VALU_DEP_3)
	v_cndmask_b32_e64 v4, v4, v9, s1
	v_cndmask_b32_e64 v9, v9, v5, s1
	;; [unrolled: 1-line block ×3, first 2 shown]
	s_delay_alu instid0(VALU_DEP_2) | instskip(NEXT) | instid1(VALU_DEP_2)
	v_alignbit_b32 v13, v4, v9, v11
	v_alignbit_b32 v10, v9, v5, v11
	;; [unrolled: 1-line block ×3, first 2 shown]
	s_delay_alu instid0(VALU_DEP_2) | instskip(NEXT) | instid1(VALU_DEP_2)
	v_dual_cndmask_b32 v4, v13, v4 :: v_dual_cndmask_b32 v7, v10, v9
	v_cndmask_b32_e32 v5, v11, v5, vcc_lo
	s_delay_alu instid0(VALU_DEP_2) | instskip(NEXT) | instid1(VALU_DEP_3)
	v_bfe_u32 v8, v4, 29, 1
	v_alignbit_b32 v9, v4, v7, 30
	s_delay_alu instid0(VALU_DEP_3) | instskip(SKIP_1) | instid1(VALU_DEP_4)
	v_alignbit_b32 v7, v7, v5, 30
	v_alignbit_b32 v5, v5, v6, 30
	v_sub_nc_u32_e32 v10, 0, v8
	s_delay_alu instid0(VALU_DEP_1) | instskip(NEXT) | instid1(VALU_DEP_4)
	v_xor_b32_e32 v9, v9, v10
	v_xor_b32_e32 v6, v7, v10
	s_delay_alu instid0(VALU_DEP_4) | instskip(NEXT) | instid1(VALU_DEP_3)
	v_dual_lshrrev_b32 v10, 29, v4 :: v_dual_bitop2_b32 v5, v5, v10 bitop3:0x14
	v_clz_i32_u32_e32 v11, v9
	s_delay_alu instid0(VALU_DEP_1) | instskip(NEXT) | instid1(VALU_DEP_1)
	v_min_u32_e32 v11, 32, v11
	v_dual_sub_nc_u32 v7, 31, v11 :: v_dual_lshlrev_b32 v12, 23, v11
	s_delay_alu instid0(VALU_DEP_1) | instskip(SKIP_2) | instid1(VALU_DEP_2)
	v_alignbit_b32 v9, v9, v6, v7
	v_alignbit_b32 v5, v6, v5, v7
	v_lshlrev_b32_e32 v6, 31, v10
	v_alignbit_b32 v7, v9, v5, 9
	s_delay_alu instid0(VALU_DEP_2) | instskip(SKIP_1) | instid1(VALU_DEP_3)
	v_dual_lshrrev_b32 v9, 9, v9 :: v_dual_bitop2_b32 v10, 0.5, v6 bitop3:0x54
	v_or_b32_e32 v6, 0x33000000, v6
	v_clz_i32_u32_e32 v13, v7
	s_delay_alu instid0(VALU_DEP_3) | instskip(NEXT) | instid1(VALU_DEP_2)
	v_sub_nc_u32_e32 v10, v10, v12
	v_min_u32_e32 v12, 32, v13
	s_delay_alu instid0(VALU_DEP_1) | instskip(NEXT) | instid1(VALU_DEP_3)
	v_add_lshl_u32 v11, v12, v11, 23
	v_or_b32_e32 v9, v9, v10
	v_not_b32_e32 v10, v12
	s_delay_alu instid0(VALU_DEP_2) | instskip(NEXT) | instid1(VALU_DEP_2)
	v_dual_mul_f32 v13, 0x3fc90fda, v9 :: v_dual_sub_nc_u32 v6, v6, v11
	v_alignbit_b32 v5, v7, v5, v10
	s_delay_alu instid0(VALU_DEP_2) | instskip(NEXT) | instid1(VALU_DEP_2)
	v_fma_f32 v7, 0x3fc90fda, v9, -v13
	v_lshrrev_b32_e32 v5, 9, v5
	s_delay_alu instid0(VALU_DEP_2) | instskip(NEXT) | instid1(VALU_DEP_2)
	v_fmamk_f32 v7, v9, 0x33a22168, v7
	v_or_b32_e32 v5, v6, v5
	s_delay_alu instid0(VALU_DEP_1) | instskip(NEXT) | instid1(VALU_DEP_1)
	v_fmac_f32_e32 v7, 0x3fc90fda, v5
	v_dual_add_f32 v4, v13, v7 :: v_dual_lshrrev_b32 v5, 30, v4
	s_delay_alu instid0(VALU_DEP_1)
	v_add_nc_u32_e32 v5, v8, v5
.LBB25_303:
	s_and_not1_saveexec_b32 s0, s25
; %bb.304:
	v_mul_f32_e64 v4, 0x3f22f983, |v1|
	s_delay_alu instid0(VALU_DEP_1) | instskip(NEXT) | instid1(VALU_DEP_1)
	v_rndne_f32_e32 v5, v4
	v_fma_f32 v4, 0xbfc90fda, v5, |v1|
	s_delay_alu instid0(VALU_DEP_1) | instskip(NEXT) | instid1(VALU_DEP_1)
	v_fmamk_f32 v4, v5, 0xb3a22168, v4
	v_fmamk_f32 v4, v5, 0xa7c234c4, v4
	v_cvt_i32_f32_e32 v5, v5
; %bb.305:
	s_or_b32 exec_lo, exec_lo, s0
	s_delay_alu instid0(VALU_DEP_1) | instskip(SKIP_3) | instid1(VALU_DEP_1)
	v_dual_mul_f32 v6, v4, v4 :: v_dual_bitop2_b32 v9, 1, v5 bitop3:0x40
	s_mov_b32 s0, 0xb94c1982
	s_mov_b32 s1, 0x37d75334
	;; [unrolled: 1-line block ×3, first 2 shown]
	v_fmaak_f32 v7, s0, v6, 0x3c0881c4
	v_cmp_eq_u32_e32 vcc_lo, 0, v9
	s_mov_b32 s25, -1
	s_mov_b32 s0, s18
	v_lshlrev_b32_e32 v5, 30, v5
	v_fmaak_f32 v7, v6, v7, 0xbe2aaa9d
	v_fmaak_f32 v8, s1, v6, 0xbab64f3b
	s_and_b32 s1, s34, 0xff
	v_xor_b32_e32 v3, v3, v1
	v_and_b32_e32 v5, 0x80000000, v5
	s_delay_alu instid0(VALU_DEP_3) | instskip(SKIP_1) | instid1(VALU_DEP_1)
	v_dual_mul_f32 v7, v6, v7 :: v_dual_fmaak_f32 v8, v6, v8, 0x3d2aabf7
	s_cmp_lt_i32 s1, 11
	v_fmac_f32_e32 v4, v4, v7
	s_delay_alu instid0(VALU_DEP_2) | instskip(NEXT) | instid1(VALU_DEP_1)
	v_fmaak_f32 v8, v6, v8, 0xbf000004
	v_fma_f32 v6, v6, v8, 1.0
	s_delay_alu instid0(VALU_DEP_1) | instskip(SKIP_1) | instid1(VALU_DEP_2)
	v_cndmask_b32_e32 v4, v6, v4, vcc_lo
	v_cmp_class_f32_e64 vcc_lo, v1, 0x1f8
	v_xor3_b32 v4, v3, v5, v4
	v_mov_b32_e32 v3, 0
	s_delay_alu instid0(VALU_DEP_2) | instskip(NEXT) | instid1(VALU_DEP_2)
	v_cndmask_b32_e32 v1, 0x7fc00000, v4, vcc_lo
	v_add_nc_u64_e32 v[2:3], s[4:5], v[2:3]
	s_delay_alu instid0(VALU_DEP_2)
	v_cvt_f16_f32_e32 v1, v1
	s_cbranch_scc1 .LBB25_312
; %bb.306:
	s_and_b32 s25, 0xffff, s1
	s_delay_alu instid0(SALU_CYCLE_1)
	s_cmp_gt_i32 s25, 25
	s_cbranch_scc0 .LBB25_354
; %bb.307:
	s_cmp_gt_i32 s25, 28
	s_cbranch_scc0 .LBB25_356
; %bb.308:
	;; [unrolled: 3-line block ×4, first 2 shown]
	s_mov_b32 s27, 0
	s_mov_b32 s0, -1
	s_cmp_eq_u32 s25, 46
	s_cbranch_scc0 .LBB25_369
; %bb.311:
	v_cvt_f32_f16_e32 v4, v1
	v_cmp_o_f16_e32 vcc_lo, v1, v1
	s_mov_b32 s26, -1
	s_mov_b32 s0, 0
	s_delay_alu instid0(VALU_DEP_2) | instskip(NEXT) | instid1(VALU_DEP_1)
	v_bfe_u32 v5, v4, 16, 1
	v_add3_u32 v4, v4, v5, 0x7fff
	s_delay_alu instid0(VALU_DEP_1) | instskip(NEXT) | instid1(VALU_DEP_1)
	v_lshrrev_b32_e32 v4, 16, v4
	v_cndmask_b32_e32 v4, 0x7fc0, v4, vcc_lo
	global_store_b32 v[2:3], v4, off
	s_branch .LBB25_369
.LBB25_312:
	s_and_b32 vcc_lo, exec_lo, s25
	s_cbranch_vccz .LBB25_438
; %bb.313:
	s_and_b32 s1, 0xffff, s1
	s_mov_b32 s25, -1
	s_cmp_lt_i32 s1, 5
	s_cbranch_scc1 .LBB25_334
; %bb.314:
	s_cmp_lt_i32 s1, 8
	s_cbranch_scc1 .LBB25_324
; %bb.315:
	;; [unrolled: 3-line block ×3, first 2 shown]
	s_cmp_gt_i32 s1, 9
	s_cbranch_scc0 .LBB25_318
; %bb.317:
	s_wait_xcnt 0x0
	v_cvt_f32_f16_e32 v4, v1
	v_mov_b32_e32 v6, 0
	s_mov_b32 s25, 0
	s_delay_alu instid0(VALU_DEP_2) | instskip(NEXT) | instid1(VALU_DEP_2)
	v_cvt_f64_f32_e32 v[4:5], v4
	v_mov_b32_e32 v7, v6
	global_store_b128 v[2:3], v[4:7], off
.LBB25_318:
	s_and_not1_b32 vcc_lo, exec_lo, s25
	s_cbranch_vccnz .LBB25_320
; %bb.319:
	s_wait_xcnt 0x0
	v_cvt_f32_f16_e32 v4, v1
	v_mov_b32_e32 v5, 0
	global_store_b64 v[2:3], v[4:5], off
.LBB25_320:
	s_mov_b32 s25, 0
.LBB25_321:
	s_delay_alu instid0(SALU_CYCLE_1)
	s_and_not1_b32 vcc_lo, exec_lo, s25
	s_cbranch_vccnz .LBB25_323
; %bb.322:
	s_wait_xcnt 0x0
	v_and_b32_e32 v4, 0xffff, v1
	global_store_b32 v[2:3], v4, off
.LBB25_323:
	s_mov_b32 s25, 0
.LBB25_324:
	s_delay_alu instid0(SALU_CYCLE_1)
	s_and_not1_b32 vcc_lo, exec_lo, s25
	s_cbranch_vccnz .LBB25_333
; %bb.325:
	s_cmp_lt_i32 s1, 6
	s_mov_b32 s25, -1
	s_cbranch_scc1 .LBB25_331
; %bb.326:
	s_cmp_gt_i32 s1, 6
	s_cbranch_scc0 .LBB25_328
; %bb.327:
	s_wait_xcnt 0x0
	v_cvt_f32_f16_e32 v4, v1
	s_mov_b32 s25, 0
	s_delay_alu instid0(VALU_DEP_1)
	v_cvt_f64_f32_e32 v[4:5], v4
	global_store_b64 v[2:3], v[4:5], off
.LBB25_328:
	s_and_not1_b32 vcc_lo, exec_lo, s25
	s_cbranch_vccnz .LBB25_330
; %bb.329:
	s_wait_xcnt 0x0
	v_cvt_f32_f16_e32 v4, v1
	global_store_b32 v[2:3], v4, off
.LBB25_330:
	s_mov_b32 s25, 0
.LBB25_331:
	s_delay_alu instid0(SALU_CYCLE_1)
	s_and_not1_b32 vcc_lo, exec_lo, s25
	s_cbranch_vccnz .LBB25_333
; %bb.332:
	global_store_b16 v[2:3], v1, off
.LBB25_333:
	s_mov_b32 s25, 0
.LBB25_334:
	s_delay_alu instid0(SALU_CYCLE_1)
	s_and_not1_b32 vcc_lo, exec_lo, s25
	s_cbranch_vccnz .LBB25_350
; %bb.335:
	s_cmp_lt_i32 s1, 2
	s_mov_b32 s25, -1
	s_cbranch_scc1 .LBB25_345
; %bb.336:
	s_cmp_lt_i32 s1, 3
	s_cbranch_scc1 .LBB25_342
; %bb.337:
	s_cmp_gt_i32 s1, 3
	s_cbranch_scc0 .LBB25_339
; %bb.338:
	s_wait_xcnt 0x0
	v_cvt_f32_f16_e32 v4, v1
	s_mov_b32 s25, 0
	s_delay_alu instid0(VALU_DEP_1) | instskip(NEXT) | instid1(VALU_DEP_1)
	v_cvt_i32_f32_e32 v4, v4
	v_ashrrev_i32_e32 v5, 31, v4
	global_store_b64 v[2:3], v[4:5], off
.LBB25_339:
	s_and_not1_b32 vcc_lo, exec_lo, s25
	s_cbranch_vccnz .LBB25_341
; %bb.340:
	s_wait_xcnt 0x0
	v_cvt_f32_f16_e32 v4, v1
	s_delay_alu instid0(VALU_DEP_1)
	v_cvt_i32_f32_e32 v4, v4
	global_store_b32 v[2:3], v4, off
.LBB25_341:
	s_mov_b32 s25, 0
.LBB25_342:
	s_delay_alu instid0(SALU_CYCLE_1)
	s_and_not1_b32 vcc_lo, exec_lo, s25
	s_cbranch_vccnz .LBB25_344
; %bb.343:
	s_wait_xcnt 0x0
	v_cvt_i16_f16_e32 v4, v1
	global_store_b16 v[2:3], v4, off
.LBB25_344:
	s_mov_b32 s25, 0
.LBB25_345:
	s_delay_alu instid0(SALU_CYCLE_1)
	s_and_not1_b32 vcc_lo, exec_lo, s25
	s_cbranch_vccnz .LBB25_350
; %bb.346:
	s_cmp_gt_i32 s1, 0
	s_mov_b32 s1, -1
	s_cbranch_scc0 .LBB25_348
; %bb.347:
	s_wait_xcnt 0x0
	v_cvt_i16_f16_e32 v4, v1
	s_mov_b32 s1, 0
	global_store_b8 v[2:3], v4, off
.LBB25_348:
	s_and_not1_b32 vcc_lo, exec_lo, s1
	s_cbranch_vccnz .LBB25_350
; %bb.349:
	s_wait_xcnt 0x0
	v_cvt_f32_f16_e32 v1, v1
	s_delay_alu instid0(VALU_DEP_1)
	v_cvt_i32_f32_e32 v1, v1
	global_store_b8 v[2:3], v1, off
.LBB25_350:
	s_branch .LBB25_439
.LBB25_351:
	s_mov_b32 s1, 0
	s_branch .LBB25_551
.LBB25_352:
	s_mov_b32 s25, -1
	s_mov_b32 s1, 0
	s_mov_b32 s24, s39
                                        ; implicit-def: $vgpr1
	s_branch .LBB25_466
.LBB25_353:
	s_mov_b32 s25, -1
	s_mov_b32 s1, 0
	s_mov_b32 s24, s39
                                        ; implicit-def: $vgpr1
	s_branch .LBB25_447
.LBB25_354:
	s_mov_b32 s27, -1
	s_mov_b32 s0, s18
	s_branch .LBB25_396
.LBB25_355:
	s_mov_b32 s25, -1
	s_mov_b32 s1, 0
	s_mov_b32 s24, s39
                                        ; implicit-def: $vgpr1
	s_branch .LBB25_442
.LBB25_356:
	s_mov_b32 s27, -1
	s_mov_b32 s0, s18
	s_branch .LBB25_379
.LBB25_357:
	s_and_not1_saveexec_b32 s27, s27
	s_cbranch_execz .LBB25_110
.LBB25_358:
	v_add_f32_e64 v5, 0x46000000, |v4|
	s_and_not1_b32 s26, s26, exec_lo
	s_delay_alu instid0(VALU_DEP_1) | instskip(NEXT) | instid1(VALU_DEP_1)
	v_and_b32_e32 v5, 0xff, v5
	v_cmp_ne_u32_e32 vcc_lo, 0, v5
	s_and_b32 s39, vcc_lo, exec_lo
	s_delay_alu instid0(SALU_CYCLE_1)
	s_or_b32 s26, s26, s39
	s_or_b32 exec_lo, exec_lo, s27
	v_mov_b32_e32 v6, 0
	s_and_saveexec_b32 s27, s26
	s_cbranch_execnz .LBB25_111
	s_branch .LBB25_112
.LBB25_359:
	s_mov_b32 s25, -1
	s_mov_b32 s1, 0
	s_mov_b32 s24, s39
	s_branch .LBB25_364
.LBB25_360:
	s_mov_b32 s27, -1
	s_mov_b32 s0, s18
	s_branch .LBB25_375
.LBB25_361:
	s_and_not1_saveexec_b32 s27, s27
	s_cbranch_execz .LBB25_123
.LBB25_362:
	v_add_f32_e64 v5, 0x42800000, |v4|
	s_and_not1_b32 s26, s26, exec_lo
	s_delay_alu instid0(VALU_DEP_1) | instskip(NEXT) | instid1(VALU_DEP_1)
	v_and_b32_e32 v5, 0xff, v5
	v_cmp_ne_u32_e32 vcc_lo, 0, v5
	s_and_b32 s39, vcc_lo, exec_lo
	s_delay_alu instid0(SALU_CYCLE_1)
	s_or_b32 s26, s26, s39
	s_or_b32 exec_lo, exec_lo, s27
	v_mov_b32_e32 v6, 0
	s_and_saveexec_b32 s27, s26
	s_cbranch_execnz .LBB25_124
	s_branch .LBB25_125
.LBB25_363:
	s_mov_b32 s24, -1
	s_mov_b32 s1, 0
.LBB25_364:
                                        ; implicit-def: $vgpr1
.LBB25_365:
	s_and_b32 vcc_lo, exec_lo, s25
	s_cbranch_vccz .LBB25_441
; %bb.366:
	s_cmp_eq_u32 s0, 44
	s_cbranch_scc0 .LBB25_440
; %bb.367:
	s_wait_loadcnt 0x0
	global_load_u8 v1, v[4:5], off
	s_mov_b32 s24, 0
	s_mov_b32 s1, -1
	s_wait_loadcnt 0x0
	v_lshlrev_b32_e32 v3, 23, v1
	v_cmp_ne_u32_e32 vcc_lo, 0xff, v1
	s_delay_alu instid0(VALU_DEP_2) | instskip(NEXT) | instid1(VALU_DEP_1)
	v_cvt_f16_f32_e32 v3, v3
	v_cndmask_b32_e32 v3, 0x7e00, v3, vcc_lo
	v_cmp_ne_u32_e32 vcc_lo, 0, v1
	s_delay_alu instid0(VALU_DEP_2)
	v_cndmask_b32_e32 v1, 0, v3, vcc_lo
	s_branch .LBB25_441
.LBB25_368:
	s_mov_b32 s27, -1
	s_mov_b32 s0, s18
.LBB25_369:
	s_and_b32 vcc_lo, exec_lo, s27
	s_cbranch_vccz .LBB25_374
; %bb.370:
	s_cmp_eq_u32 s25, 44
	s_mov_b32 s0, -1
	s_cbranch_scc0 .LBB25_374
; %bb.371:
	s_wait_xcnt 0x0
	v_cvt_f32_f16_e32 v4, v1
	v_mov_b32_e32 v5, 0xff
	s_mov_b32 s26, exec_lo
	s_delay_alu instid0(VALU_DEP_2) | instskip(NEXT) | instid1(VALU_DEP_1)
	v_bfe_u32 v6, v4, 23, 8
	v_cmpx_ne_u32_e32 0xff, v6
	s_cbranch_execz .LBB25_373
; %bb.372:
	v_and_b32_e32 v5, 0x400000, v4
	v_and_or_b32 v6, 0x3fffff, v4, v6
	v_lshrrev_b32_e32 v4, 23, v4
	s_delay_alu instid0(VALU_DEP_3) | instskip(NEXT) | instid1(VALU_DEP_3)
	v_cmp_ne_u32_e32 vcc_lo, 0, v5
	v_cmp_ne_u32_e64 s0, 0, v6
	s_and_b32 s0, vcc_lo, s0
	s_delay_alu instid0(SALU_CYCLE_1) | instskip(NEXT) | instid1(VALU_DEP_1)
	v_cndmask_b32_e64 v5, 0, 1, s0
	v_add_nc_u32_e32 v5, v4, v5
.LBB25_373:
	s_or_b32 exec_lo, exec_lo, s26
	s_mov_b32 s26, -1
	s_mov_b32 s0, 0
	global_store_b8 v[2:3], v5, off
.LBB25_374:
	s_mov_b32 s27, 0
.LBB25_375:
	s_delay_alu instid0(SALU_CYCLE_1)
	s_and_b32 vcc_lo, exec_lo, s27
	s_cbranch_vccz .LBB25_378
; %bb.376:
	s_cmp_eq_u32 s25, 29
	s_mov_b32 s0, -1
	s_cbranch_scc0 .LBB25_378
; %bb.377:
	s_wait_xcnt 0x0
	v_cvt_f32_f16_e32 v4, v1
	v_mov_b32_e32 v5, 0
	s_mov_b32 s26, -1
	s_mov_b32 s0, 0
	s_mov_b32 s27, 0
	v_cvt_u32_f32_e32 v4, v4
	global_store_b64 v[2:3], v[4:5], off
	s_branch .LBB25_379
.LBB25_378:
	s_mov_b32 s27, 0
.LBB25_379:
	s_delay_alu instid0(SALU_CYCLE_1)
	s_and_b32 vcc_lo, exec_lo, s27
	s_cbranch_vccz .LBB25_395
; %bb.380:
	s_cmp_lt_i32 s25, 27
	s_mov_b32 s26, -1
	s_cbranch_scc1 .LBB25_386
; %bb.381:
	s_cmp_gt_i32 s25, 27
	s_cbranch_scc0 .LBB25_383
; %bb.382:
	s_wait_xcnt 0x0
	v_cvt_f32_f16_e32 v4, v1
	s_mov_b32 s26, 0
	s_delay_alu instid0(VALU_DEP_1)
	v_cvt_u32_f32_e32 v4, v4
	global_store_b32 v[2:3], v4, off
.LBB25_383:
	s_and_not1_b32 vcc_lo, exec_lo, s26
	s_cbranch_vccnz .LBB25_385
; %bb.384:
	s_wait_xcnt 0x0
	v_cvt_u16_f16_e32 v4, v1
	global_store_b16 v[2:3], v4, off
.LBB25_385:
	s_mov_b32 s26, 0
.LBB25_386:
	s_delay_alu instid0(SALU_CYCLE_1)
	s_and_not1_b32 vcc_lo, exec_lo, s26
	s_cbranch_vccnz .LBB25_394
; %bb.387:
	s_wait_xcnt 0x0
	v_cvt_f32_f16_e32 v4, v1
	v_mov_b32_e32 v6, 0x80
	s_mov_b32 s26, exec_lo
	s_delay_alu instid0(VALU_DEP_2) | instskip(NEXT) | instid1(VALU_DEP_1)
	v_and_b32_e32 v5, 0x7fffffff, v4
	v_cmpx_gt_u32_e32 0x43800000, v5
	s_cbranch_execz .LBB25_393
; %bb.388:
	v_cmp_lt_u32_e32 vcc_lo, 0x3bffffff, v5
	s_mov_b32 s27, 0
                                        ; implicit-def: $vgpr5
	s_and_saveexec_b32 s41, vcc_lo
	s_delay_alu instid0(SALU_CYCLE_1)
	s_xor_b32 s41, exec_lo, s41
	s_cbranch_execz .LBB25_583
; %bb.389:
	v_bfe_u32 v5, v4, 20, 1
	s_mov_b32 s27, exec_lo
	s_delay_alu instid0(VALU_DEP_1) | instskip(NEXT) | instid1(VALU_DEP_1)
	v_add3_u32 v5, v4, v5, 0x487ffff
	v_lshrrev_b32_e32 v5, 20, v5
	s_and_not1_saveexec_b32 s41, s41
	s_cbranch_execnz .LBB25_584
.LBB25_390:
	s_or_b32 exec_lo, exec_lo, s41
	v_mov_b32_e32 v6, 0
	s_and_saveexec_b32 s41, s27
.LBB25_391:
	v_lshrrev_b32_e32 v4, 24, v4
	s_delay_alu instid0(VALU_DEP_1)
	v_and_or_b32 v6, 0x80, v4, v5
.LBB25_392:
	s_or_b32 exec_lo, exec_lo, s41
.LBB25_393:
	s_delay_alu instid0(SALU_CYCLE_1)
	s_or_b32 exec_lo, exec_lo, s26
	global_store_b8 v[2:3], v6, off
.LBB25_394:
	s_mov_b32 s26, -1
.LBB25_395:
	s_mov_b32 s27, 0
.LBB25_396:
	s_delay_alu instid0(SALU_CYCLE_1)
	s_and_b32 vcc_lo, exec_lo, s27
	s_cbranch_vccz .LBB25_437
; %bb.397:
	s_cmp_gt_i32 s25, 22
	s_mov_b32 s27, -1
	s_cbranch_scc0 .LBB25_429
; %bb.398:
	s_cmp_lt_i32 s25, 24
	s_mov_b32 s26, -1
	s_cbranch_scc1 .LBB25_418
; %bb.399:
	s_cmp_gt_i32 s25, 24
	s_cbranch_scc0 .LBB25_407
; %bb.400:
	s_wait_xcnt 0x0
	v_cvt_f32_f16_e32 v4, v1
	v_mov_b32_e32 v6, 0x80
	s_mov_b32 s26, exec_lo
	s_delay_alu instid0(VALU_DEP_2) | instskip(NEXT) | instid1(VALU_DEP_1)
	v_and_b32_e32 v5, 0x7fffffff, v4
	v_cmpx_gt_u32_e32 0x47800000, v5
	s_cbranch_execz .LBB25_406
; %bb.401:
	v_cmp_lt_u32_e32 vcc_lo, 0x37ffffff, v5
	s_mov_b32 s27, 0
                                        ; implicit-def: $vgpr5
	s_and_saveexec_b32 s41, vcc_lo
	s_delay_alu instid0(SALU_CYCLE_1)
	s_xor_b32 s41, exec_lo, s41
	s_cbranch_execz .LBB25_586
; %bb.402:
	v_bfe_u32 v5, v4, 21, 1
	s_mov_b32 s27, exec_lo
	s_delay_alu instid0(VALU_DEP_1) | instskip(NEXT) | instid1(VALU_DEP_1)
	v_add3_u32 v5, v4, v5, 0x88fffff
	v_lshrrev_b32_e32 v5, 21, v5
	s_and_not1_saveexec_b32 s41, s41
	s_cbranch_execnz .LBB25_587
.LBB25_403:
	s_or_b32 exec_lo, exec_lo, s41
	v_mov_b32_e32 v6, 0
	s_and_saveexec_b32 s41, s27
.LBB25_404:
	v_lshrrev_b32_e32 v4, 24, v4
	s_delay_alu instid0(VALU_DEP_1)
	v_and_or_b32 v6, 0x80, v4, v5
.LBB25_405:
	s_or_b32 exec_lo, exec_lo, s41
.LBB25_406:
	s_delay_alu instid0(SALU_CYCLE_1)
	s_or_b32 exec_lo, exec_lo, s26
	s_mov_b32 s26, 0
	global_store_b8 v[2:3], v6, off
.LBB25_407:
	s_and_b32 vcc_lo, exec_lo, s26
	s_cbranch_vccz .LBB25_417
; %bb.408:
	s_wait_xcnt 0x0
	v_cvt_f32_f16_e32 v4, v1
	s_mov_b32 s26, exec_lo
                                        ; implicit-def: $vgpr5
	s_delay_alu instid0(VALU_DEP_1) | instskip(NEXT) | instid1(VALU_DEP_1)
	v_and_b32_e32 v6, 0x7fffffff, v4
	v_cmpx_gt_u32_e32 0x43f00000, v6
	s_xor_b32 s26, exec_lo, s26
	s_cbranch_execz .LBB25_414
; %bb.409:
	s_mov_b32 s27, exec_lo
                                        ; implicit-def: $vgpr5
	v_cmpx_lt_u32_e32 0x3c7fffff, v6
	s_xor_b32 s27, exec_lo, s27
; %bb.410:
	v_bfe_u32 v5, v4, 20, 1
	s_delay_alu instid0(VALU_DEP_1) | instskip(NEXT) | instid1(VALU_DEP_1)
	v_add3_u32 v5, v4, v5, 0x407ffff
	v_and_b32_e32 v6, 0xff00000, v5
	v_lshrrev_b32_e32 v5, 20, v5
	s_delay_alu instid0(VALU_DEP_2) | instskip(NEXT) | instid1(VALU_DEP_2)
	v_cmp_ne_u32_e32 vcc_lo, 0x7f00000, v6
	v_cndmask_b32_e32 v5, 0x7e, v5, vcc_lo
; %bb.411:
	s_and_not1_saveexec_b32 s27, s27
; %bb.412:
	v_add_f32_e64 v5, 0x46800000, |v4|
; %bb.413:
	s_or_b32 exec_lo, exec_lo, s27
                                        ; implicit-def: $vgpr6
.LBB25_414:
	s_and_not1_saveexec_b32 s26, s26
; %bb.415:
	v_mov_b32_e32 v5, 0x7f
	v_cmp_lt_u32_e32 vcc_lo, 0x7f800000, v6
	s_delay_alu instid0(VALU_DEP_2)
	v_cndmask_b32_e32 v5, 0x7e, v5, vcc_lo
; %bb.416:
	s_or_b32 exec_lo, exec_lo, s26
	v_lshrrev_b32_e32 v4, 24, v4
	s_delay_alu instid0(VALU_DEP_1)
	v_and_or_b32 v4, 0x80, v4, v5
	global_store_b8 v[2:3], v4, off
.LBB25_417:
	s_mov_b32 s26, 0
.LBB25_418:
	s_delay_alu instid0(SALU_CYCLE_1)
	s_and_not1_b32 vcc_lo, exec_lo, s26
	s_cbranch_vccnz .LBB25_428
; %bb.419:
	s_wait_xcnt 0x0
	v_cvt_f32_f16_e32 v4, v1
	s_mov_b32 s26, exec_lo
                                        ; implicit-def: $vgpr5
	s_delay_alu instid0(VALU_DEP_1) | instskip(NEXT) | instid1(VALU_DEP_1)
	v_and_b32_e32 v6, 0x7fffffff, v4
	v_cmpx_gt_u32_e32 0x47800000, v6
	s_xor_b32 s26, exec_lo, s26
	s_cbranch_execz .LBB25_425
; %bb.420:
	s_mov_b32 s27, exec_lo
                                        ; implicit-def: $vgpr5
	v_cmpx_lt_u32_e32 0x387fffff, v6
	s_xor_b32 s27, exec_lo, s27
; %bb.421:
	v_bfe_u32 v5, v4, 21, 1
	s_delay_alu instid0(VALU_DEP_1) | instskip(NEXT) | instid1(VALU_DEP_1)
	v_add3_u32 v5, v4, v5, 0x80fffff
	v_lshrrev_b32_e32 v5, 21, v5
; %bb.422:
	s_and_not1_saveexec_b32 s27, s27
; %bb.423:
	v_add_f32_e64 v5, 0x43000000, |v4|
; %bb.424:
	s_or_b32 exec_lo, exec_lo, s27
                                        ; implicit-def: $vgpr6
.LBB25_425:
	s_and_not1_saveexec_b32 s26, s26
; %bb.426:
	v_mov_b32_e32 v5, 0x7f
	v_cmp_lt_u32_e32 vcc_lo, 0x7f800000, v6
	s_delay_alu instid0(VALU_DEP_2)
	v_cndmask_b32_e32 v5, 0x7c, v5, vcc_lo
; %bb.427:
	s_or_b32 exec_lo, exec_lo, s26
	v_lshrrev_b32_e32 v4, 24, v4
	s_delay_alu instid0(VALU_DEP_1)
	v_and_or_b32 v4, 0x80, v4, v5
	global_store_b8 v[2:3], v4, off
.LBB25_428:
	s_mov_b32 s27, 0
	s_mov_b32 s26, -1
.LBB25_429:
	s_and_not1_b32 vcc_lo, exec_lo, s27
	s_cbranch_vccnz .LBB25_437
; %bb.430:
	s_cmp_gt_i32 s25, 14
	s_mov_b32 s27, -1
	s_cbranch_scc0 .LBB25_434
; %bb.431:
	s_cmp_eq_u32 s25, 15
	s_mov_b32 s0, -1
	s_cbranch_scc0 .LBB25_433
; %bb.432:
	s_wait_xcnt 0x0
	v_cvt_f32_f16_e32 v4, v1
	v_cmp_o_f16_e32 vcc_lo, v1, v1
	s_mov_b32 s26, -1
	s_mov_b32 s0, 0
	s_delay_alu instid0(VALU_DEP_2) | instskip(NEXT) | instid1(VALU_DEP_1)
	v_bfe_u32 v5, v4, 16, 1
	v_add3_u32 v4, v4, v5, 0x7fff
	s_delay_alu instid0(VALU_DEP_1) | instskip(NEXT) | instid1(VALU_DEP_1)
	v_lshrrev_b32_e32 v4, 16, v4
	v_cndmask_b32_e32 v4, 0x7fc0, v4, vcc_lo
	global_store_b16 v[2:3], v4, off
.LBB25_433:
	s_mov_b32 s27, 0
.LBB25_434:
	s_delay_alu instid0(SALU_CYCLE_1)
	s_and_b32 vcc_lo, exec_lo, s27
	s_cbranch_vccz .LBB25_437
; %bb.435:
	s_cmp_eq_u32 s25, 11
	s_mov_b32 s0, -1
	s_cbranch_scc0 .LBB25_437
; %bb.436:
	v_cmp_neq_f16_e32 vcc_lo, 0, v1
	s_mov_b32 s0, 0
	s_mov_b32 s26, -1
	s_wait_xcnt 0x0
	v_cndmask_b32_e64 v4, 0, 1, vcc_lo
	global_store_b8 v[2:3], v4, off
.LBB25_437:
.LBB25_438:
	s_and_not1_b32 vcc_lo, exec_lo, s26
	s_cbranch_vccnz .LBB25_351
.LBB25_439:
	v_add_nc_u32_e32 v0, 0x80, v0
	s_mov_b32 s1, -1
	s_branch .LBB25_552
.LBB25_440:
	s_mov_b32 s24, -1
                                        ; implicit-def: $vgpr1
.LBB25_441:
	s_mov_b32 s25, 0
.LBB25_442:
	s_delay_alu instid0(SALU_CYCLE_1)
	s_and_b32 vcc_lo, exec_lo, s25
	s_cbranch_vccz .LBB25_446
; %bb.443:
	s_cmp_eq_u32 s0, 29
	s_cbranch_scc0 .LBB25_445
; %bb.444:
	global_load_b64 v[6:7], v[4:5], off
	s_mov_b32 s1, -1
	s_mov_b32 s24, 0
	s_mov_b32 s25, 0
	s_wait_loadcnt 0x0
	v_clz_i32_u32_e32 v1, v7
	s_delay_alu instid0(VALU_DEP_1) | instskip(NEXT) | instid1(VALU_DEP_1)
	v_min_u32_e32 v1, 32, v1
	v_lshlrev_b64_e32 v[6:7], v1, v[6:7]
	v_sub_nc_u32_e32 v1, 32, v1
	s_delay_alu instid0(VALU_DEP_2) | instskip(NEXT) | instid1(VALU_DEP_1)
	v_min_u32_e32 v3, 1, v6
	v_or_b32_e32 v3, v7, v3
	s_delay_alu instid0(VALU_DEP_1) | instskip(NEXT) | instid1(VALU_DEP_1)
	v_cvt_f32_u32_e32 v3, v3
	v_ldexp_f32 v1, v3, v1
	s_delay_alu instid0(VALU_DEP_1)
	v_cvt_f16_f32_e32 v1, v1
	s_branch .LBB25_447
.LBB25_445:
	s_mov_b32 s24, -1
                                        ; implicit-def: $vgpr1
.LBB25_446:
	s_mov_b32 s25, 0
.LBB25_447:
	s_delay_alu instid0(SALU_CYCLE_1)
	s_and_b32 vcc_lo, exec_lo, s25
	s_cbranch_vccz .LBB25_465
; %bb.448:
	s_cmp_lt_i32 s0, 27
	s_cbranch_scc1 .LBB25_451
; %bb.449:
	s_cmp_gt_i32 s0, 27
	s_cbranch_scc0 .LBB25_452
; %bb.450:
	s_wait_loadcnt 0x0
	global_load_b32 v1, v[4:5], off
	s_mov_b32 s1, 0
	s_wait_loadcnt 0x0
	v_cvt_f32_u32_e32 v1, v1
	s_delay_alu instid0(VALU_DEP_1)
	v_cvt_f16_f32_e32 v1, v1
	s_branch .LBB25_453
.LBB25_451:
	s_mov_b32 s1, -1
                                        ; implicit-def: $vgpr1
	s_branch .LBB25_456
.LBB25_452:
	s_mov_b32 s1, -1
                                        ; implicit-def: $vgpr1
.LBB25_453:
	s_delay_alu instid0(SALU_CYCLE_1)
	s_and_not1_b32 vcc_lo, exec_lo, s1
	s_cbranch_vccnz .LBB25_455
; %bb.454:
	s_wait_loadcnt 0x0
	global_load_u16 v1, v[4:5], off
	s_wait_loadcnt 0x0
	v_cvt_f16_u16_e32 v1, v1
.LBB25_455:
	s_mov_b32 s1, 0
.LBB25_456:
	s_delay_alu instid0(SALU_CYCLE_1)
	s_and_not1_b32 vcc_lo, exec_lo, s1
	s_cbranch_vccnz .LBB25_464
; %bb.457:
	global_load_u8 v3, v[4:5], off
	s_mov_b32 s1, 0
	s_mov_b32 s25, exec_lo
	s_wait_loadcnt 0x0
	v_cmpx_lt_i16_e32 0x7f, v3
	s_xor_b32 s25, exec_lo, s25
	s_cbranch_execz .LBB25_478
; %bb.458:
	s_mov_b32 s1, -1
	s_mov_b32 s26, exec_lo
	v_cmpx_eq_u16_e32 0x80, v3
; %bb.459:
	s_xor_b32 s1, exec_lo, -1
; %bb.460:
	s_or_b32 exec_lo, exec_lo, s26
	s_delay_alu instid0(SALU_CYCLE_1)
	s_and_b32 s1, s1, exec_lo
	s_or_saveexec_b32 s25, s25
	v_mov_b32_e32 v1, 0x7e00
	s_xor_b32 exec_lo, exec_lo, s25
	s_cbranch_execnz .LBB25_479
.LBB25_461:
	s_or_b32 exec_lo, exec_lo, s25
	s_and_saveexec_b32 s25, s1
	s_cbranch_execz .LBB25_463
.LBB25_462:
	v_and_b32_e32 v1, 0xffff, v3
	s_delay_alu instid0(VALU_DEP_1) | instskip(SKIP_1) | instid1(VALU_DEP_2)
	v_and_b32_e32 v6, 7, v1
	v_bfe_u32 v9, v1, 3, 4
	v_clz_i32_u32_e32 v7, v6
	s_delay_alu instid0(VALU_DEP_2) | instskip(NEXT) | instid1(VALU_DEP_2)
	v_cmp_eq_u32_e32 vcc_lo, 0, v9
	v_min_u32_e32 v7, 32, v7
	s_delay_alu instid0(VALU_DEP_1) | instskip(NEXT) | instid1(VALU_DEP_1)
	v_subrev_nc_u32_e32 v8, 28, v7
	v_dual_lshlrev_b32 v1, v8, v1 :: v_dual_sub_nc_u32 v7, 29, v7
	s_delay_alu instid0(VALU_DEP_1) | instskip(NEXT) | instid1(VALU_DEP_1)
	v_dual_lshlrev_b32 v3, 24, v3 :: v_dual_bitop2_b32 v1, 7, v1 bitop3:0x40
	v_dual_cndmask_b32 v1, v6, v1, vcc_lo :: v_dual_cndmask_b32 v7, v9, v7, vcc_lo
	s_delay_alu instid0(VALU_DEP_2) | instskip(NEXT) | instid1(VALU_DEP_2)
	v_and_b32_e32 v3, 0x80000000, v3
	v_lshlrev_b32_e32 v1, 20, v1
	s_delay_alu instid0(VALU_DEP_3) | instskip(NEXT) | instid1(VALU_DEP_1)
	v_lshl_add_u32 v6, v7, 23, 0x3b800000
	v_or3_b32 v1, v3, v6, v1
	s_delay_alu instid0(VALU_DEP_1)
	v_cvt_f16_f32_e32 v1, v1
.LBB25_463:
	s_or_b32 exec_lo, exec_lo, s25
.LBB25_464:
	s_mov_b32 s1, -1
.LBB25_465:
	s_mov_b32 s25, 0
.LBB25_466:
	s_delay_alu instid0(SALU_CYCLE_1)
	s_and_b32 vcc_lo, exec_lo, s25
	s_cbranch_vccz .LBB25_501
; %bb.467:
	s_cmp_gt_i32 s0, 22
	s_cbranch_scc0 .LBB25_477
; %bb.468:
	s_cmp_lt_i32 s0, 24
	s_cbranch_scc1 .LBB25_480
; %bb.469:
	s_cmp_gt_i32 s0, 24
	s_cbranch_scc0 .LBB25_481
; %bb.470:
	global_load_u8 v3, v[4:5], off
	s_mov_b32 s1, 0
	s_mov_b32 s25, exec_lo
	s_wait_loadcnt 0x0
	v_cmpx_lt_i16_e32 0x7f, v3
	s_xor_b32 s25, exec_lo, s25
	s_cbranch_execz .LBB25_493
; %bb.471:
	s_mov_b32 s1, -1
	s_mov_b32 s26, exec_lo
	v_cmpx_eq_u16_e32 0x80, v3
; %bb.472:
	s_xor_b32 s1, exec_lo, -1
; %bb.473:
	s_or_b32 exec_lo, exec_lo, s26
	s_delay_alu instid0(SALU_CYCLE_1)
	s_and_b32 s1, s1, exec_lo
	s_or_saveexec_b32 s25, s25
	v_mov_b32_e32 v1, 0x7e00
	s_xor_b32 exec_lo, exec_lo, s25
	s_cbranch_execnz .LBB25_494
.LBB25_474:
	s_or_b32 exec_lo, exec_lo, s25
	s_and_saveexec_b32 s25, s1
	s_cbranch_execz .LBB25_476
.LBB25_475:
	v_and_b32_e32 v1, 0xffff, v3
	s_delay_alu instid0(VALU_DEP_1) | instskip(SKIP_1) | instid1(VALU_DEP_2)
	v_and_b32_e32 v6, 3, v1
	v_bfe_u32 v9, v1, 2, 5
	v_clz_i32_u32_e32 v7, v6
	s_delay_alu instid0(VALU_DEP_2) | instskip(NEXT) | instid1(VALU_DEP_2)
	v_cmp_eq_u32_e32 vcc_lo, 0, v9
	v_min_u32_e32 v7, 32, v7
	s_delay_alu instid0(VALU_DEP_1) | instskip(NEXT) | instid1(VALU_DEP_1)
	v_subrev_nc_u32_e32 v8, 29, v7
	v_dual_lshlrev_b32 v1, v8, v1 :: v_dual_sub_nc_u32 v7, 30, v7
	s_delay_alu instid0(VALU_DEP_1) | instskip(NEXT) | instid1(VALU_DEP_1)
	v_dual_lshlrev_b32 v3, 24, v3 :: v_dual_bitop2_b32 v1, 3, v1 bitop3:0x40
	v_dual_cndmask_b32 v1, v6, v1, vcc_lo :: v_dual_cndmask_b32 v7, v9, v7, vcc_lo
	s_delay_alu instid0(VALU_DEP_2) | instskip(NEXT) | instid1(VALU_DEP_2)
	v_and_b32_e32 v3, 0x80000000, v3
	v_lshlrev_b32_e32 v1, 21, v1
	s_delay_alu instid0(VALU_DEP_3) | instskip(NEXT) | instid1(VALU_DEP_1)
	v_lshl_add_u32 v6, v7, 23, 0x37800000
	v_or3_b32 v1, v3, v6, v1
	s_delay_alu instid0(VALU_DEP_1)
	v_cvt_f16_f32_e32 v1, v1
.LBB25_476:
	s_or_b32 exec_lo, exec_lo, s25
	s_mov_b32 s1, 0
	s_branch .LBB25_482
.LBB25_477:
	s_mov_b32 s25, -1
                                        ; implicit-def: $vgpr1
	s_branch .LBB25_488
.LBB25_478:
	s_or_saveexec_b32 s25, s25
	v_mov_b32_e32 v1, 0x7e00
	s_xor_b32 exec_lo, exec_lo, s25
	s_cbranch_execz .LBB25_461
.LBB25_479:
	v_cmp_ne_u16_e32 vcc_lo, 0, v3
	v_mov_b32_e32 v1, v3
	s_and_not1_b32 s1, s1, exec_lo
	s_and_b32 s26, vcc_lo, exec_lo
	s_delay_alu instid0(SALU_CYCLE_1)
	s_or_b32 s1, s1, s26
	s_or_b32 exec_lo, exec_lo, s25
	s_and_saveexec_b32 s25, s1
	s_cbranch_execnz .LBB25_462
	s_branch .LBB25_463
.LBB25_480:
	s_mov_b32 s1, -1
                                        ; implicit-def: $vgpr1
	s_branch .LBB25_485
.LBB25_481:
	s_mov_b32 s1, -1
                                        ; implicit-def: $vgpr1
.LBB25_482:
	s_delay_alu instid0(SALU_CYCLE_1)
	s_and_b32 vcc_lo, exec_lo, s1
	s_cbranch_vccz .LBB25_484
; %bb.483:
	s_wait_loadcnt 0x0
	global_load_u8 v1, v[4:5], off
	s_wait_loadcnt 0x0
	v_lshlrev_b32_e32 v1, 24, v1
	s_delay_alu instid0(VALU_DEP_1) | instskip(NEXT) | instid1(VALU_DEP_1)
	v_and_b32_e32 v3, 0x7f000000, v1
	v_clz_i32_u32_e32 v6, v3
	v_cmp_ne_u32_e32 vcc_lo, 0, v3
	v_add_nc_u32_e32 v8, 0x1000000, v3
	s_delay_alu instid0(VALU_DEP_3) | instskip(NEXT) | instid1(VALU_DEP_1)
	v_min_u32_e32 v6, 32, v6
	v_sub_nc_u32_e64 v6, v6, 4 clamp
	s_delay_alu instid0(VALU_DEP_1) | instskip(NEXT) | instid1(VALU_DEP_1)
	v_dual_lshlrev_b32 v7, v6, v3 :: v_dual_lshlrev_b32 v6, 23, v6
	v_lshrrev_b32_e32 v7, 4, v7
	s_delay_alu instid0(VALU_DEP_1) | instskip(NEXT) | instid1(VALU_DEP_1)
	v_dual_sub_nc_u32 v6, v7, v6 :: v_dual_ashrrev_i32 v7, 8, v8
	v_add_nc_u32_e32 v6, 0x3c000000, v6
	s_delay_alu instid0(VALU_DEP_1) | instskip(NEXT) | instid1(VALU_DEP_1)
	v_and_or_b32 v6, 0x7f800000, v7, v6
	v_cndmask_b32_e32 v3, 0, v6, vcc_lo
	s_delay_alu instid0(VALU_DEP_1) | instskip(NEXT) | instid1(VALU_DEP_1)
	v_and_or_b32 v1, 0x80000000, v1, v3
	v_cvt_f16_f32_e32 v1, v1
.LBB25_484:
	s_mov_b32 s1, 0
.LBB25_485:
	s_delay_alu instid0(SALU_CYCLE_1)
	s_and_not1_b32 vcc_lo, exec_lo, s1
	s_cbranch_vccnz .LBB25_487
; %bb.486:
	s_wait_loadcnt 0x0
	global_load_u8 v1, v[4:5], off
	s_wait_loadcnt 0x0
	v_lshlrev_b32_e32 v3, 25, v1
	v_lshlrev_b16 v1, 8, v1
	s_delay_alu instid0(VALU_DEP_1) | instskip(SKIP_1) | instid1(VALU_DEP_2)
	v_and_or_b32 v7, 0x7f00, v1, 0.5
	v_bfe_i32 v1, v1, 0, 16
	v_add_f32_e32 v7, -0.5, v7
	v_lshrrev_b32_e32 v6, 4, v3
	v_cmp_gt_u32_e32 vcc_lo, 0x8000000, v3
	s_delay_alu instid0(VALU_DEP_2) | instskip(NEXT) | instid1(VALU_DEP_1)
	v_or_b32_e32 v6, 0x70000000, v6
	v_mul_f32_e32 v6, 0x7800000, v6
	s_delay_alu instid0(VALU_DEP_1) | instskip(NEXT) | instid1(VALU_DEP_1)
	v_cndmask_b32_e32 v3, v6, v7, vcc_lo
	v_and_or_b32 v1, 0x80000000, v1, v3
	s_delay_alu instid0(VALU_DEP_1)
	v_cvt_f16_f32_e32 v1, v1
.LBB25_487:
	s_mov_b32 s25, 0
	s_mov_b32 s1, -1
.LBB25_488:
	s_and_not1_b32 vcc_lo, exec_lo, s25
	s_cbranch_vccnz .LBB25_501
; %bb.489:
	s_cmp_gt_i32 s0, 14
	s_cbranch_scc0 .LBB25_492
; %bb.490:
	s_cmp_eq_u32 s0, 15
	s_cbranch_scc0 .LBB25_495
; %bb.491:
	s_wait_loadcnt 0x0
	global_load_u16 v1, v[4:5], off
	s_mov_b32 s1, -1
	s_mov_b32 s24, 0
	s_wait_loadcnt 0x0
	v_lshlrev_b32_e32 v1, 16, v1
	s_delay_alu instid0(VALU_DEP_1)
	v_cvt_f16_f32_e32 v1, v1
	s_branch .LBB25_496
.LBB25_492:
	s_mov_b32 s25, -1
                                        ; implicit-def: $vgpr1
	s_branch .LBB25_497
.LBB25_493:
	s_or_saveexec_b32 s25, s25
	v_mov_b32_e32 v1, 0x7e00
	s_xor_b32 exec_lo, exec_lo, s25
	s_cbranch_execz .LBB25_474
.LBB25_494:
	v_cmp_ne_u16_e32 vcc_lo, 0, v3
	v_mov_b32_e32 v1, v3
	s_and_not1_b32 s1, s1, exec_lo
	s_and_b32 s26, vcc_lo, exec_lo
	s_delay_alu instid0(SALU_CYCLE_1)
	s_or_b32 s1, s1, s26
	s_or_b32 exec_lo, exec_lo, s25
	s_and_saveexec_b32 s25, s1
	s_cbranch_execnz .LBB25_475
	s_branch .LBB25_476
.LBB25_495:
	s_mov_b32 s24, -1
                                        ; implicit-def: $vgpr1
.LBB25_496:
	s_mov_b32 s25, 0
.LBB25_497:
	s_delay_alu instid0(SALU_CYCLE_1)
	s_and_b32 vcc_lo, exec_lo, s25
	s_cbranch_vccz .LBB25_501
; %bb.498:
	s_cmp_eq_u32 s0, 11
	s_cbranch_scc0 .LBB25_500
; %bb.499:
	s_wait_loadcnt 0x0
	global_load_u8 v1, v[4:5], off
	s_mov_b32 s24, 0
	s_mov_b32 s1, -1
	s_wait_loadcnt 0x0
	v_cmp_ne_u16_e32 vcc_lo, 0, v1
	v_cndmask_b32_e64 v1, 0, 0x3c00, vcc_lo
	s_branch .LBB25_501
.LBB25_500:
	s_mov_b32 s24, -1
                                        ; implicit-def: $vgpr1
.LBB25_501:
	s_branch .LBB25_300
.LBB25_502:
	s_cmp_lt_i32 s0, 5
	s_cbranch_scc1 .LBB25_507
; %bb.503:
	s_cmp_lt_i32 s0, 8
	s_cbranch_scc1 .LBB25_508
; %bb.504:
	;; [unrolled: 3-line block ×3, first 2 shown]
	s_cmp_gt_i32 s0, 9
	s_cbranch_scc0 .LBB25_510
; %bb.506:
	global_load_b64 v[6:7], v[4:5], off
	s_mov_b32 s1, 0
	s_wait_loadcnt 0x0
	v_and_or_b32 v1, 0x1ff, v7, v6
	v_lshrrev_b32_e32 v3, 8, v7
	v_bfe_u32 v6, v7, 20, 11
	s_delay_alu instid0(VALU_DEP_3) | instskip(NEXT) | instid1(VALU_DEP_2)
	v_cmp_ne_u32_e32 vcc_lo, 0, v1
	v_sub_nc_u32_e32 v8, 0x3f1, v6
	v_add_nc_u32_e32 v6, 0xfffffc10, v6
	v_cndmask_b32_e64 v1, 0, 1, vcc_lo
	s_delay_alu instid0(VALU_DEP_1) | instskip(NEXT) | instid1(VALU_DEP_4)
	v_and_or_b32 v1, 0xffe, v3, v1
	v_med3_i32 v3, v8, 0, 13
	s_delay_alu instid0(VALU_DEP_2) | instskip(NEXT) | instid1(VALU_DEP_1)
	v_or_b32_e32 v8, 0x1000, v1
	v_lshrrev_b32_e32 v9, v3, v8
	s_delay_alu instid0(VALU_DEP_1) | instskip(NEXT) | instid1(VALU_DEP_1)
	v_lshlrev_b32_e32 v3, v3, v9
	v_cmp_ne_u32_e32 vcc_lo, v3, v8
	v_lshl_or_b32 v8, v6, 12, v1
	v_cndmask_b32_e64 v3, 0, 1, vcc_lo
	v_cmp_gt_i32_e32 vcc_lo, 1, v6
	s_delay_alu instid0(VALU_DEP_2) | instskip(NEXT) | instid1(VALU_DEP_1)
	v_or_b32_e32 v3, v9, v3
	v_cndmask_b32_e32 v3, v8, v3, vcc_lo
	s_delay_alu instid0(VALU_DEP_1) | instskip(NEXT) | instid1(VALU_DEP_1)
	v_dual_lshrrev_b32 v3, 2, v3 :: v_dual_bitop2_b32 v8, 7, v3 bitop3:0x40
	v_cmp_lt_i32_e32 vcc_lo, 5, v8
	v_cndmask_b32_e64 v9, 0, 1, vcc_lo
	v_cmp_eq_u32_e32 vcc_lo, 3, v8
	v_cndmask_b32_e64 v8, 0, 1, vcc_lo
	v_cmp_ne_u32_e32 vcc_lo, 0, v1
	s_delay_alu instid0(VALU_DEP_2) | instskip(SKIP_1) | instid1(VALU_DEP_2)
	v_or_b32_e32 v8, v8, v9
	v_mov_b32_e32 v9, 0x7e00
	v_add_nc_u32_e32 v3, v3, v8
	s_delay_alu instid0(VALU_DEP_2) | instskip(SKIP_1) | instid1(VALU_DEP_3)
	v_cndmask_b32_e32 v1, 0x7c00, v9, vcc_lo
	v_cmp_gt_i32_e32 vcc_lo, 31, v6
	v_cndmask_b32_e32 v3, 0x7c00, v3, vcc_lo
	v_cmp_eq_u32_e32 vcc_lo, 0x40f, v6
	s_delay_alu instid0(VALU_DEP_2) | instskip(NEXT) | instid1(VALU_DEP_1)
	v_dual_cndmask_b32 v1, v3, v1, vcc_lo :: v_dual_lshrrev_b32 v3, 16, v7
	v_and_or_b32 v1, 0x8000, v3, v1
	s_branch .LBB25_511
.LBB25_507:
	s_mov_b32 s1, -1
                                        ; implicit-def: $vgpr1
	s_branch .LBB25_529
.LBB25_508:
	s_mov_b32 s1, -1
                                        ; implicit-def: $vgpr1
	s_branch .LBB25_517
.LBB25_509:
	s_mov_b32 s1, -1
                                        ; implicit-def: $vgpr1
	s_branch .LBB25_514
.LBB25_510:
	s_mov_b32 s1, -1
                                        ; implicit-def: $vgpr1
.LBB25_511:
	s_delay_alu instid0(SALU_CYCLE_1)
	s_and_not1_b32 vcc_lo, exec_lo, s1
	s_cbranch_vccnz .LBB25_513
; %bb.512:
	s_wait_loadcnt 0x0
	global_load_b32 v1, v[4:5], off
	s_wait_loadcnt 0x0
	v_cvt_f16_f32_e32 v1, v1
.LBB25_513:
	s_mov_b32 s1, 0
.LBB25_514:
	s_delay_alu instid0(SALU_CYCLE_1)
	s_and_not1_b32 vcc_lo, exec_lo, s1
	s_cbranch_vccnz .LBB25_516
; %bb.515:
	s_wait_loadcnt 0x0
	global_load_b32 v1, v[4:5], off
.LBB25_516:
	s_mov_b32 s1, 0
.LBB25_517:
	s_delay_alu instid0(SALU_CYCLE_1)
	s_and_not1_b32 vcc_lo, exec_lo, s1
	s_cbranch_vccnz .LBB25_528
; %bb.518:
	s_cmp_lt_i32 s0, 6
	s_cbranch_scc1 .LBB25_521
; %bb.519:
	s_cmp_gt_i32 s0, 6
	s_cbranch_scc0 .LBB25_522
; %bb.520:
	global_load_b64 v[6:7], v[4:5], off
	s_mov_b32 s1, 0
	s_wait_loadcnt 0x0
	v_and_or_b32 v1, 0x1ff, v7, v6
	v_lshrrev_b32_e32 v3, 8, v7
	v_bfe_u32 v6, v7, 20, 11
	s_delay_alu instid0(VALU_DEP_3) | instskip(NEXT) | instid1(VALU_DEP_2)
	v_cmp_ne_u32_e32 vcc_lo, 0, v1
	v_sub_nc_u32_e32 v8, 0x3f1, v6
	v_add_nc_u32_e32 v6, 0xfffffc10, v6
	v_cndmask_b32_e64 v1, 0, 1, vcc_lo
	s_delay_alu instid0(VALU_DEP_1) | instskip(NEXT) | instid1(VALU_DEP_4)
	v_and_or_b32 v1, 0xffe, v3, v1
	v_med3_i32 v3, v8, 0, 13
	s_delay_alu instid0(VALU_DEP_2) | instskip(NEXT) | instid1(VALU_DEP_1)
	v_or_b32_e32 v8, 0x1000, v1
	v_lshrrev_b32_e32 v9, v3, v8
	s_delay_alu instid0(VALU_DEP_1) | instskip(NEXT) | instid1(VALU_DEP_1)
	v_lshlrev_b32_e32 v3, v3, v9
	v_cmp_ne_u32_e32 vcc_lo, v3, v8
	v_lshl_or_b32 v8, v6, 12, v1
	v_cndmask_b32_e64 v3, 0, 1, vcc_lo
	v_cmp_gt_i32_e32 vcc_lo, 1, v6
	s_delay_alu instid0(VALU_DEP_2) | instskip(NEXT) | instid1(VALU_DEP_1)
	v_or_b32_e32 v3, v9, v3
	v_cndmask_b32_e32 v3, v8, v3, vcc_lo
	s_delay_alu instid0(VALU_DEP_1) | instskip(NEXT) | instid1(VALU_DEP_1)
	v_dual_lshrrev_b32 v3, 2, v3 :: v_dual_bitop2_b32 v8, 7, v3 bitop3:0x40
	v_cmp_lt_i32_e32 vcc_lo, 5, v8
	v_cndmask_b32_e64 v9, 0, 1, vcc_lo
	v_cmp_eq_u32_e32 vcc_lo, 3, v8
	v_cndmask_b32_e64 v8, 0, 1, vcc_lo
	v_cmp_ne_u32_e32 vcc_lo, 0, v1
	s_delay_alu instid0(VALU_DEP_2) | instskip(SKIP_1) | instid1(VALU_DEP_2)
	v_or_b32_e32 v8, v8, v9
	v_mov_b32_e32 v9, 0x7e00
	v_add_nc_u32_e32 v3, v3, v8
	s_delay_alu instid0(VALU_DEP_2) | instskip(SKIP_1) | instid1(VALU_DEP_3)
	v_cndmask_b32_e32 v1, 0x7c00, v9, vcc_lo
	v_cmp_gt_i32_e32 vcc_lo, 31, v6
	v_cndmask_b32_e32 v3, 0x7c00, v3, vcc_lo
	v_cmp_eq_u32_e32 vcc_lo, 0x40f, v6
	s_delay_alu instid0(VALU_DEP_2) | instskip(NEXT) | instid1(VALU_DEP_1)
	v_dual_cndmask_b32 v1, v3, v1, vcc_lo :: v_dual_lshrrev_b32 v3, 16, v7
	v_and_or_b32 v1, 0x8000, v3, v1
	s_branch .LBB25_523
.LBB25_521:
	s_mov_b32 s1, -1
                                        ; implicit-def: $vgpr1
	s_branch .LBB25_526
.LBB25_522:
	s_mov_b32 s1, -1
                                        ; implicit-def: $vgpr1
.LBB25_523:
	s_delay_alu instid0(SALU_CYCLE_1)
	s_and_not1_b32 vcc_lo, exec_lo, s1
	s_cbranch_vccnz .LBB25_525
; %bb.524:
	s_wait_loadcnt 0x0
	global_load_b32 v1, v[4:5], off
	s_wait_loadcnt 0x0
	v_cvt_f16_f32_e32 v1, v1
.LBB25_525:
	s_mov_b32 s1, 0
.LBB25_526:
	s_delay_alu instid0(SALU_CYCLE_1)
	s_and_not1_b32 vcc_lo, exec_lo, s1
	s_cbranch_vccnz .LBB25_528
; %bb.527:
	s_wait_loadcnt 0x0
	global_load_u16 v1, v[4:5], off
.LBB25_528:
	s_mov_b32 s1, 0
.LBB25_529:
	s_delay_alu instid0(SALU_CYCLE_1)
	s_and_not1_b32 vcc_lo, exec_lo, s1
	s_cbranch_vccnz .LBB25_549
; %bb.530:
	s_cmp_lt_i32 s0, 2
	s_cbranch_scc1 .LBB25_534
; %bb.531:
	s_cmp_lt_i32 s0, 3
	s_cbranch_scc1 .LBB25_535
; %bb.532:
	s_cmp_gt_i32 s0, 3
	s_cbranch_scc0 .LBB25_536
; %bb.533:
	global_load_b64 v[6:7], v[4:5], off
	s_mov_b32 s1, 0
	s_wait_loadcnt 0x0
	v_xor_b32_e32 v1, v6, v7
	v_cls_i32_e32 v3, v7
	s_delay_alu instid0(VALU_DEP_2) | instskip(NEXT) | instid1(VALU_DEP_1)
	v_ashrrev_i32_e32 v1, 31, v1
	v_add_nc_u32_e32 v1, 32, v1
	s_delay_alu instid0(VALU_DEP_1) | instskip(NEXT) | instid1(VALU_DEP_1)
	v_add_min_u32_e64 v1, v3, -1, v1
	v_lshlrev_b64_e32 v[6:7], v1, v[6:7]
	v_sub_nc_u32_e32 v1, 32, v1
	s_delay_alu instid0(VALU_DEP_2) | instskip(NEXT) | instid1(VALU_DEP_1)
	v_min_u32_e32 v3, 1, v6
	v_or_b32_e32 v3, v7, v3
	s_delay_alu instid0(VALU_DEP_1) | instskip(NEXT) | instid1(VALU_DEP_1)
	v_cvt_f32_i32_e32 v3, v3
	v_ldexp_f32 v1, v3, v1
	s_delay_alu instid0(VALU_DEP_1)
	v_cvt_f16_f32_e32 v1, v1
	s_branch .LBB25_537
.LBB25_534:
	s_mov_b32 s1, -1
                                        ; implicit-def: $vgpr1
	s_branch .LBB25_543
.LBB25_535:
	s_mov_b32 s1, -1
                                        ; implicit-def: $vgpr1
	s_branch .LBB25_540
.LBB25_536:
	s_mov_b32 s1, -1
                                        ; implicit-def: $vgpr1
.LBB25_537:
	s_delay_alu instid0(SALU_CYCLE_1)
	s_and_not1_b32 vcc_lo, exec_lo, s1
	s_cbranch_vccnz .LBB25_539
; %bb.538:
	s_wait_loadcnt 0x0
	global_load_b32 v1, v[4:5], off
	s_wait_loadcnt 0x0
	v_cvt_f32_i32_e32 v1, v1
	s_delay_alu instid0(VALU_DEP_1)
	v_cvt_f16_f32_e32 v1, v1
.LBB25_539:
	s_mov_b32 s1, 0
.LBB25_540:
	s_delay_alu instid0(SALU_CYCLE_1)
	s_and_not1_b32 vcc_lo, exec_lo, s1
	s_cbranch_vccnz .LBB25_542
; %bb.541:
	s_wait_loadcnt 0x0
	global_load_u16 v1, v[4:5], off
	s_wait_loadcnt 0x0
	v_cvt_f16_i16_e32 v1, v1
.LBB25_542:
	s_mov_b32 s1, 0
.LBB25_543:
	s_delay_alu instid0(SALU_CYCLE_1)
	s_and_not1_b32 vcc_lo, exec_lo, s1
	s_cbranch_vccnz .LBB25_549
; %bb.544:
	s_cmp_gt_i32 s0, 0
	s_mov_b32 s0, 0
	s_cbranch_scc0 .LBB25_546
; %bb.545:
	s_wait_loadcnt 0x0
	global_load_i8 v1, v[4:5], off
	s_wait_loadcnt 0x0
	v_cvt_f16_i16_e32 v1, v1
	s_branch .LBB25_547
.LBB25_546:
	s_mov_b32 s0, -1
                                        ; implicit-def: $vgpr1
.LBB25_547:
	s_delay_alu instid0(SALU_CYCLE_1)
	s_and_not1_b32 vcc_lo, exec_lo, s0
	s_cbranch_vccnz .LBB25_549
; %bb.548:
	s_wait_loadcnt 0x0
	global_load_u8 v1, v[4:5], off
	s_wait_loadcnt 0x0
	v_cvt_f16_u16_e32 v1, v1
.LBB25_549:
	s_branch .LBB25_301
.LBB25_550:
	s_mov_b32 s1, 0
	s_mov_b32 s0, s18
.LBB25_551:
                                        ; implicit-def: $vgpr0
.LBB25_552:
	s_and_not1_b32 s25, s18, exec_lo
	s_and_b32 s0, s0, exec_lo
	s_and_not1_b32 s26, s39, exec_lo
	s_and_b32 s24, s24, exec_lo
	s_or_b32 s42, s25, s0
	s_or_b32 s41, s26, s24
	s_or_not1_b32 s0, s1, exec_lo
.LBB25_553:
	s_wait_xcnt 0x0
	s_or_b32 exec_lo, exec_lo, s43
	s_mov_b32 s1, 0
	s_mov_b32 s24, 0
	;; [unrolled: 1-line block ×3, first 2 shown]
                                        ; implicit-def: $vgpr4_vgpr5
                                        ; implicit-def: $vgpr2
                                        ; implicit-def: $vgpr6
	s_and_saveexec_b32 s43, s0
	s_cbranch_execz .LBB25_937
; %bb.554:
	s_mov_b32 s25, -1
	s_mov_b32 s26, s41
	s_mov_b32 s27, s42
	s_mov_b32 s44, exec_lo
	v_cmpx_gt_i32_e64 s36, v0
	s_cbranch_execz .LBB25_834
; %bb.555:
	s_and_not1_b32 vcc_lo, exec_lo, s31
	s_cbranch_vccnz .LBB25_561
; %bb.556:
	s_and_not1_b32 vcc_lo, exec_lo, s38
	s_cbranch_vccnz .LBB25_562
; %bb.557:
	s_add_co_i32 s1, s37, 1
	s_cmp_eq_u32 s29, 2
	s_cbranch_scc1 .LBB25_563
; %bb.558:
	v_dual_mov_b32 v2, 0 :: v_dual_mov_b32 v4, 0
	s_wait_loadcnt 0x0
	v_mov_b32_e32 v1, v0
	s_and_b32 s0, s1, 28
	s_mov_b32 s45, 0
	s_mov_b64 s[24:25], s[2:3]
	s_mov_b64 s[26:27], s[22:23]
.LBB25_559:                             ; =>This Inner Loop Header: Depth=1
	s_clause 0x1
	s_load_b256 s[48:55], s[24:25], 0x4
	s_load_b128 s[64:67], s[24:25], 0x24
	s_load_b256 s[56:63], s[26:27], 0x0
	s_add_co_i32 s45, s45, 4
	s_wait_xcnt 0x0
	s_add_nc_u64 s[24:25], s[24:25], 48
	s_cmp_eq_u32 s0, s45
	s_add_nc_u64 s[26:27], s[26:27], 32
	s_wait_kmcnt 0x0
	v_mul_hi_u32 v3, s49, v1
	s_delay_alu instid0(VALU_DEP_1) | instskip(NEXT) | instid1(VALU_DEP_1)
	v_add_nc_u32_e32 v3, v1, v3
	v_lshrrev_b32_e32 v3, s50, v3
	s_delay_alu instid0(VALU_DEP_1) | instskip(NEXT) | instid1(VALU_DEP_1)
	v_mul_hi_u32 v5, s52, v3
	v_add_nc_u32_e32 v5, v3, v5
	s_delay_alu instid0(VALU_DEP_1) | instskip(NEXT) | instid1(VALU_DEP_1)
	v_lshrrev_b32_e32 v5, s53, v5
	v_mul_hi_u32 v6, s55, v5
	s_delay_alu instid0(VALU_DEP_1) | instskip(SKIP_1) | instid1(VALU_DEP_1)
	v_add_nc_u32_e32 v6, v5, v6
	v_mul_lo_u32 v7, v3, s48
	v_sub_nc_u32_e32 v1, v1, v7
	v_mul_lo_u32 v7, v5, s51
	s_delay_alu instid0(VALU_DEP_4) | instskip(NEXT) | instid1(VALU_DEP_3)
	v_lshrrev_b32_e32 v6, s64, v6
	v_mad_u32 v4, v1, s57, v4
	v_mad_u32 v1, v1, s56, v2
	s_delay_alu instid0(VALU_DEP_4) | instskip(NEXT) | instid1(VALU_DEP_4)
	v_sub_nc_u32_e32 v2, v3, v7
	v_mul_hi_u32 v8, s66, v6
	v_mul_lo_u32 v3, v6, s54
	s_delay_alu instid0(VALU_DEP_3) | instskip(SKIP_1) | instid1(VALU_DEP_3)
	v_mad_u32 v4, v2, s59, v4
	v_mad_u32 v2, v2, s58, v1
	v_dual_add_nc_u32 v7, v6, v8 :: v_dual_sub_nc_u32 v3, v5, v3
	s_delay_alu instid0(VALU_DEP_1) | instskip(NEXT) | instid1(VALU_DEP_2)
	v_lshrrev_b32_e32 v1, s67, v7
	v_mad_u32 v4, v3, s61, v4
	s_delay_alu instid0(VALU_DEP_4) | instskip(NEXT) | instid1(VALU_DEP_3)
	v_mad_u32 v2, v3, s60, v2
	v_mul_lo_u32 v5, v1, s65
	s_delay_alu instid0(VALU_DEP_1) | instskip(NEXT) | instid1(VALU_DEP_1)
	v_sub_nc_u32_e32 v3, v6, v5
	v_mad_u32 v4, v3, s63, v4
	s_delay_alu instid0(VALU_DEP_4)
	v_mad_u32 v2, v3, s62, v2
	s_cbranch_scc0 .LBB25_559
; %bb.560:
	s_delay_alu instid0(VALU_DEP_2)
	v_mov_b32_e32 v3, v4
	s_branch .LBB25_564
.LBB25_561:
	s_mov_b32 s0, -1
                                        ; implicit-def: $vgpr4
                                        ; implicit-def: $vgpr2
	s_branch .LBB25_569
.LBB25_562:
	v_dual_mov_b32 v4, 0 :: v_dual_mov_b32 v2, 0
	s_branch .LBB25_568
.LBB25_563:
	v_mov_b64_e32 v[2:3], 0
	s_wait_loadcnt 0x0
	v_mov_b32_e32 v1, v0
	s_mov_b32 s0, 0
                                        ; implicit-def: $vgpr4
.LBB25_564:
	s_and_b32 s26, s1, 3
	s_mov_b32 s1, 0
	s_cmp_eq_u32 s26, 0
	s_cbranch_scc1 .LBB25_568
; %bb.565:
	s_lshl_b32 s24, s0, 3
	s_mov_b32 s25, s1
	s_mul_u64 s[46:47], s[0:1], 12
	s_add_nc_u64 s[24:25], s[2:3], s[24:25]
	s_delay_alu instid0(SALU_CYCLE_1)
	s_add_nc_u64 s[0:1], s[24:25], 0xc4
	s_add_nc_u64 s[24:25], s[2:3], s[46:47]
.LBB25_566:                             ; =>This Inner Loop Header: Depth=1
	s_load_b96 s[48:50], s[24:25], 0x4
	s_load_b64 s[46:47], s[0:1], 0x0
	s_add_co_i32 s26, s26, -1
	s_wait_xcnt 0x0
	s_add_nc_u64 s[24:25], s[24:25], 12
	s_cmp_lg_u32 s26, 0
	s_add_nc_u64 s[0:1], s[0:1], 8
	s_wait_kmcnt 0x0
	v_mul_hi_u32 v4, s49, v1
	s_delay_alu instid0(VALU_DEP_1) | instskip(NEXT) | instid1(VALU_DEP_1)
	v_add_nc_u32_e32 v4, v1, v4
	v_lshrrev_b32_e32 v4, s50, v4
	s_delay_alu instid0(VALU_DEP_1) | instskip(NEXT) | instid1(VALU_DEP_1)
	v_mul_lo_u32 v5, v4, s48
	v_sub_nc_u32_e32 v1, v1, v5
	s_delay_alu instid0(VALU_DEP_1)
	v_mad_u32 v3, v1, s47, v3
	v_mad_u32 v2, v1, s46, v2
	v_mov_b32_e32 v1, v4
	s_cbranch_scc1 .LBB25_566
; %bb.567:
	s_delay_alu instid0(VALU_DEP_3)
	v_mov_b32_e32 v4, v3
.LBB25_568:
	s_mov_b32 s0, 0
.LBB25_569:
	s_delay_alu instid0(SALU_CYCLE_1)
	s_and_not1_b32 vcc_lo, exec_lo, s0
	s_cbranch_vccnz .LBB25_572
; %bb.570:
	s_wait_loadcnt 0x0
	v_mov_b32_e32 v1, 0
	s_and_not1_b32 vcc_lo, exec_lo, s35
	s_delay_alu instid0(VALU_DEP_1) | instskip(NEXT) | instid1(VALU_DEP_1)
	v_mul_u64_e32 v[2:3], s[16:17], v[0:1]
	v_add_nc_u32_e32 v2, v0, v3
	s_delay_alu instid0(VALU_DEP_1) | instskip(NEXT) | instid1(VALU_DEP_1)
	v_lshrrev_b32_e32 v6, s14, v2
	v_mul_lo_u32 v2, v6, s12
	s_delay_alu instid0(VALU_DEP_1) | instskip(NEXT) | instid1(VALU_DEP_1)
	v_sub_nc_u32_e32 v2, v0, v2
	v_mul_lo_u32 v4, v2, s9
	v_mul_lo_u32 v2, v2, s8
	s_cbranch_vccnz .LBB25_572
; %bb.571:
	v_mov_b32_e32 v7, v1
	s_delay_alu instid0(VALU_DEP_1) | instskip(NEXT) | instid1(VALU_DEP_1)
	v_mul_u64_e32 v[8:9], s[20:21], v[6:7]
	v_add_nc_u32_e32 v1, v6, v9
	s_delay_alu instid0(VALU_DEP_1) | instskip(NEXT) | instid1(VALU_DEP_1)
	v_lshrrev_b32_e32 v1, s19, v1
	v_mul_lo_u32 v1, v1, s15
	s_delay_alu instid0(VALU_DEP_1) | instskip(NEXT) | instid1(VALU_DEP_1)
	v_sub_nc_u32_e32 v1, v6, v1
	v_mad_u32 v2, v1, s10, v2
	v_mad_u32 v4, v1, s11, v4
.LBB25_572:
	v_mov_b32_e32 v5, 0
	s_and_b32 s0, 0xffff, s13
	s_delay_alu instid0(SALU_CYCLE_1) | instskip(NEXT) | instid1(VALU_DEP_1)
	s_cmp_lt_i32 s0, 11
	v_add_nc_u64_e32 v[4:5], s[6:7], v[4:5]
	s_cbranch_scc1 .LBB25_579
; %bb.573:
	s_cmp_gt_i32 s0, 25
	s_cbranch_scc0 .LBB25_580
; %bb.574:
	s_cmp_gt_i32 s0, 28
	s_cbranch_scc0 .LBB25_581
	;; [unrolled: 3-line block ×4, first 2 shown]
; %bb.577:
	s_cmp_eq_u32 s0, 46
	s_mov_b32 s25, 0
	s_cbranch_scc0 .LBB25_588
; %bb.578:
	s_wait_loadcnt 0x0
	global_load_b32 v1, v[4:5], off
	s_mov_b32 s1, -1
	s_mov_b32 s24, 0
	s_wait_loadcnt 0x0
	v_lshlrev_b32_e32 v1, 16, v1
	s_delay_alu instid0(VALU_DEP_1)
	v_cvt_f16_f32_e32 v1, v1
	s_branch .LBB25_590
.LBB25_579:
	s_mov_b32 s25, -1
	s_mov_b32 s1, 0
	s_mov_b32 s24, s41
                                        ; implicit-def: $vgpr1
	s_branch .LBB25_655
.LBB25_580:
	s_mov_b32 s25, -1
	s_mov_b32 s1, 0
	s_mov_b32 s24, s41
                                        ; implicit-def: $vgpr1
	s_branch .LBB25_619
.LBB25_581:
	s_mov_b32 s25, -1
	s_mov_b32 s1, 0
	s_mov_b32 s24, s41
                                        ; implicit-def: $vgpr1
	s_branch .LBB25_600
.LBB25_582:
	s_mov_b32 s25, -1
	s_mov_b32 s1, 0
	s_mov_b32 s24, s41
                                        ; implicit-def: $vgpr1
	s_branch .LBB25_595
.LBB25_583:
	s_and_not1_saveexec_b32 s41, s41
	s_cbranch_execz .LBB25_390
.LBB25_584:
	v_add_f32_e64 v5, 0x46000000, |v4|
	s_and_not1_b32 s27, s27, exec_lo
	s_delay_alu instid0(VALU_DEP_1) | instskip(NEXT) | instid1(VALU_DEP_1)
	v_and_b32_e32 v5, 0xff, v5
	v_cmp_ne_u32_e32 vcc_lo, 0, v5
	s_and_b32 s42, vcc_lo, exec_lo
	s_delay_alu instid0(SALU_CYCLE_1)
	s_or_b32 s27, s27, s42
	s_or_b32 exec_lo, exec_lo, s41
	v_mov_b32_e32 v6, 0
	s_and_saveexec_b32 s41, s27
	s_cbranch_execnz .LBB25_391
	s_branch .LBB25_392
.LBB25_585:
	s_mov_b32 s25, -1
	s_mov_b32 s1, 0
	s_mov_b32 s24, s41
	s_branch .LBB25_589
.LBB25_586:
	s_and_not1_saveexec_b32 s41, s41
	s_cbranch_execz .LBB25_403
.LBB25_587:
	v_add_f32_e64 v5, 0x42800000, |v4|
	s_and_not1_b32 s27, s27, exec_lo
	s_delay_alu instid0(VALU_DEP_1) | instskip(NEXT) | instid1(VALU_DEP_1)
	v_and_b32_e32 v5, 0xff, v5
	v_cmp_ne_u32_e32 vcc_lo, 0, v5
	s_and_b32 s42, vcc_lo, exec_lo
	s_delay_alu instid0(SALU_CYCLE_1)
	s_or_b32 s27, s27, s42
	s_or_b32 exec_lo, exec_lo, s41
	v_mov_b32_e32 v6, 0
	s_and_saveexec_b32 s41, s27
	s_cbranch_execnz .LBB25_404
	s_branch .LBB25_405
.LBB25_588:
	s_mov_b32 s24, -1
	s_mov_b32 s1, 0
.LBB25_589:
                                        ; implicit-def: $vgpr1
.LBB25_590:
	s_and_b32 vcc_lo, exec_lo, s25
	s_cbranch_vccz .LBB25_594
; %bb.591:
	s_cmp_eq_u32 s0, 44
	s_cbranch_scc0 .LBB25_593
; %bb.592:
	s_wait_loadcnt 0x0
	global_load_u8 v1, v[4:5], off
	s_mov_b32 s24, 0
	s_mov_b32 s1, -1
	s_wait_loadcnt 0x0
	v_lshlrev_b32_e32 v3, 23, v1
	v_cmp_ne_u32_e32 vcc_lo, 0xff, v1
	s_delay_alu instid0(VALU_DEP_2) | instskip(NEXT) | instid1(VALU_DEP_1)
	v_cvt_f16_f32_e32 v3, v3
	v_cndmask_b32_e32 v3, 0x7e00, v3, vcc_lo
	v_cmp_ne_u32_e32 vcc_lo, 0, v1
	s_delay_alu instid0(VALU_DEP_2)
	v_cndmask_b32_e32 v1, 0, v3, vcc_lo
	s_branch .LBB25_594
.LBB25_593:
	s_mov_b32 s24, -1
                                        ; implicit-def: $vgpr1
.LBB25_594:
	s_mov_b32 s25, 0
.LBB25_595:
	s_delay_alu instid0(SALU_CYCLE_1)
	s_and_b32 vcc_lo, exec_lo, s25
	s_cbranch_vccz .LBB25_599
; %bb.596:
	s_cmp_eq_u32 s0, 29
	s_cbranch_scc0 .LBB25_598
; %bb.597:
	global_load_b64 v[6:7], v[4:5], off
	s_mov_b32 s1, -1
	s_mov_b32 s24, 0
	s_mov_b32 s25, 0
	s_wait_loadcnt 0x0
	v_clz_i32_u32_e32 v1, v7
	s_delay_alu instid0(VALU_DEP_1) | instskip(NEXT) | instid1(VALU_DEP_1)
	v_min_u32_e32 v1, 32, v1
	v_lshlrev_b64_e32 v[6:7], v1, v[6:7]
	v_sub_nc_u32_e32 v1, 32, v1
	s_delay_alu instid0(VALU_DEP_2) | instskip(NEXT) | instid1(VALU_DEP_1)
	v_min_u32_e32 v3, 1, v6
	v_or_b32_e32 v3, v7, v3
	s_delay_alu instid0(VALU_DEP_1) | instskip(NEXT) | instid1(VALU_DEP_1)
	v_cvt_f32_u32_e32 v3, v3
	v_ldexp_f32 v1, v3, v1
	s_delay_alu instid0(VALU_DEP_1)
	v_cvt_f16_f32_e32 v1, v1
	s_branch .LBB25_600
.LBB25_598:
	s_mov_b32 s24, -1
                                        ; implicit-def: $vgpr1
.LBB25_599:
	s_mov_b32 s25, 0
.LBB25_600:
	s_delay_alu instid0(SALU_CYCLE_1)
	s_and_b32 vcc_lo, exec_lo, s25
	s_cbranch_vccz .LBB25_618
; %bb.601:
	s_cmp_lt_i32 s0, 27
	s_cbranch_scc1 .LBB25_604
; %bb.602:
	s_cmp_gt_i32 s0, 27
	s_cbranch_scc0 .LBB25_605
; %bb.603:
	s_wait_loadcnt 0x0
	global_load_b32 v1, v[4:5], off
	s_mov_b32 s1, 0
	s_wait_loadcnt 0x0
	v_cvt_f32_u32_e32 v1, v1
	s_delay_alu instid0(VALU_DEP_1)
	v_cvt_f16_f32_e32 v1, v1
	s_branch .LBB25_606
.LBB25_604:
	s_mov_b32 s1, -1
                                        ; implicit-def: $vgpr1
	s_branch .LBB25_609
.LBB25_605:
	s_mov_b32 s1, -1
                                        ; implicit-def: $vgpr1
.LBB25_606:
	s_delay_alu instid0(SALU_CYCLE_1)
	s_and_not1_b32 vcc_lo, exec_lo, s1
	s_cbranch_vccnz .LBB25_608
; %bb.607:
	s_wait_loadcnt 0x0
	global_load_u16 v1, v[4:5], off
	s_wait_loadcnt 0x0
	v_cvt_f16_u16_e32 v1, v1
.LBB25_608:
	s_mov_b32 s1, 0
.LBB25_609:
	s_delay_alu instid0(SALU_CYCLE_1)
	s_and_not1_b32 vcc_lo, exec_lo, s1
	s_cbranch_vccnz .LBB25_617
; %bb.610:
	global_load_u8 v3, v[4:5], off
	s_mov_b32 s1, 0
	s_mov_b32 s25, exec_lo
	s_wait_loadcnt 0x0
	v_cmpx_lt_i16_e32 0x7f, v3
	s_xor_b32 s25, exec_lo, s25
	s_cbranch_execz .LBB25_631
; %bb.611:
	s_mov_b32 s1, -1
	s_mov_b32 s26, exec_lo
	v_cmpx_eq_u16_e32 0x80, v3
; %bb.612:
	s_xor_b32 s1, exec_lo, -1
; %bb.613:
	s_or_b32 exec_lo, exec_lo, s26
	s_delay_alu instid0(SALU_CYCLE_1)
	s_and_b32 s1, s1, exec_lo
	s_or_saveexec_b32 s25, s25
	v_mov_b32_e32 v1, 0x7e00
	s_xor_b32 exec_lo, exec_lo, s25
	s_cbranch_execnz .LBB25_632
.LBB25_614:
	s_or_b32 exec_lo, exec_lo, s25
	s_and_saveexec_b32 s25, s1
	s_cbranch_execz .LBB25_616
.LBB25_615:
	v_and_b32_e32 v1, 0xffff, v3
	s_delay_alu instid0(VALU_DEP_1) | instskip(SKIP_1) | instid1(VALU_DEP_2)
	v_and_b32_e32 v6, 7, v1
	v_bfe_u32 v9, v1, 3, 4
	v_clz_i32_u32_e32 v7, v6
	s_delay_alu instid0(VALU_DEP_2) | instskip(NEXT) | instid1(VALU_DEP_2)
	v_cmp_eq_u32_e32 vcc_lo, 0, v9
	v_min_u32_e32 v7, 32, v7
	s_delay_alu instid0(VALU_DEP_1) | instskip(NEXT) | instid1(VALU_DEP_1)
	v_subrev_nc_u32_e32 v8, 28, v7
	v_dual_lshlrev_b32 v1, v8, v1 :: v_dual_sub_nc_u32 v7, 29, v7
	s_delay_alu instid0(VALU_DEP_1) | instskip(NEXT) | instid1(VALU_DEP_1)
	v_dual_lshlrev_b32 v3, 24, v3 :: v_dual_bitop2_b32 v1, 7, v1 bitop3:0x40
	v_dual_cndmask_b32 v1, v6, v1, vcc_lo :: v_dual_cndmask_b32 v7, v9, v7, vcc_lo
	s_delay_alu instid0(VALU_DEP_2) | instskip(NEXT) | instid1(VALU_DEP_2)
	v_and_b32_e32 v3, 0x80000000, v3
	v_lshlrev_b32_e32 v1, 20, v1
	s_delay_alu instid0(VALU_DEP_3) | instskip(NEXT) | instid1(VALU_DEP_1)
	v_lshl_add_u32 v6, v7, 23, 0x3b800000
	v_or3_b32 v1, v3, v6, v1
	s_delay_alu instid0(VALU_DEP_1)
	v_cvt_f16_f32_e32 v1, v1
.LBB25_616:
	s_or_b32 exec_lo, exec_lo, s25
.LBB25_617:
	s_mov_b32 s1, -1
.LBB25_618:
	s_mov_b32 s25, 0
.LBB25_619:
	s_delay_alu instid0(SALU_CYCLE_1)
	s_and_b32 vcc_lo, exec_lo, s25
	s_cbranch_vccz .LBB25_654
; %bb.620:
	s_cmp_gt_i32 s0, 22
	s_cbranch_scc0 .LBB25_630
; %bb.621:
	s_cmp_lt_i32 s0, 24
	s_cbranch_scc1 .LBB25_633
; %bb.622:
	s_cmp_gt_i32 s0, 24
	s_cbranch_scc0 .LBB25_634
; %bb.623:
	global_load_u8 v3, v[4:5], off
	s_mov_b32 s1, 0
	s_mov_b32 s25, exec_lo
	s_wait_loadcnt 0x0
	v_cmpx_lt_i16_e32 0x7f, v3
	s_xor_b32 s25, exec_lo, s25
	s_cbranch_execz .LBB25_646
; %bb.624:
	s_mov_b32 s1, -1
	s_mov_b32 s26, exec_lo
	v_cmpx_eq_u16_e32 0x80, v3
; %bb.625:
	s_xor_b32 s1, exec_lo, -1
; %bb.626:
	s_or_b32 exec_lo, exec_lo, s26
	s_delay_alu instid0(SALU_CYCLE_1)
	s_and_b32 s1, s1, exec_lo
	s_or_saveexec_b32 s25, s25
	v_mov_b32_e32 v1, 0x7e00
	s_xor_b32 exec_lo, exec_lo, s25
	s_cbranch_execnz .LBB25_647
.LBB25_627:
	s_or_b32 exec_lo, exec_lo, s25
	s_and_saveexec_b32 s25, s1
	s_cbranch_execz .LBB25_629
.LBB25_628:
	v_and_b32_e32 v1, 0xffff, v3
	s_delay_alu instid0(VALU_DEP_1) | instskip(SKIP_1) | instid1(VALU_DEP_2)
	v_and_b32_e32 v6, 3, v1
	v_bfe_u32 v9, v1, 2, 5
	v_clz_i32_u32_e32 v7, v6
	s_delay_alu instid0(VALU_DEP_2) | instskip(NEXT) | instid1(VALU_DEP_2)
	v_cmp_eq_u32_e32 vcc_lo, 0, v9
	v_min_u32_e32 v7, 32, v7
	s_delay_alu instid0(VALU_DEP_1) | instskip(NEXT) | instid1(VALU_DEP_1)
	v_subrev_nc_u32_e32 v8, 29, v7
	v_dual_lshlrev_b32 v1, v8, v1 :: v_dual_sub_nc_u32 v7, 30, v7
	s_delay_alu instid0(VALU_DEP_1) | instskip(NEXT) | instid1(VALU_DEP_1)
	v_dual_lshlrev_b32 v3, 24, v3 :: v_dual_bitop2_b32 v1, 3, v1 bitop3:0x40
	v_dual_cndmask_b32 v1, v6, v1, vcc_lo :: v_dual_cndmask_b32 v7, v9, v7, vcc_lo
	s_delay_alu instid0(VALU_DEP_2) | instskip(NEXT) | instid1(VALU_DEP_2)
	v_and_b32_e32 v3, 0x80000000, v3
	v_lshlrev_b32_e32 v1, 21, v1
	s_delay_alu instid0(VALU_DEP_3) | instskip(NEXT) | instid1(VALU_DEP_1)
	v_lshl_add_u32 v6, v7, 23, 0x37800000
	v_or3_b32 v1, v3, v6, v1
	s_delay_alu instid0(VALU_DEP_1)
	v_cvt_f16_f32_e32 v1, v1
.LBB25_629:
	s_or_b32 exec_lo, exec_lo, s25
	s_mov_b32 s1, 0
	s_branch .LBB25_635
.LBB25_630:
	s_mov_b32 s25, -1
                                        ; implicit-def: $vgpr1
	s_branch .LBB25_641
.LBB25_631:
	s_or_saveexec_b32 s25, s25
	v_mov_b32_e32 v1, 0x7e00
	s_xor_b32 exec_lo, exec_lo, s25
	s_cbranch_execz .LBB25_614
.LBB25_632:
	v_cmp_ne_u16_e32 vcc_lo, 0, v3
	v_mov_b32_e32 v1, v3
	s_and_not1_b32 s1, s1, exec_lo
	s_and_b32 s26, vcc_lo, exec_lo
	s_delay_alu instid0(SALU_CYCLE_1)
	s_or_b32 s1, s1, s26
	s_or_b32 exec_lo, exec_lo, s25
	s_and_saveexec_b32 s25, s1
	s_cbranch_execnz .LBB25_615
	s_branch .LBB25_616
.LBB25_633:
	s_mov_b32 s1, -1
                                        ; implicit-def: $vgpr1
	s_branch .LBB25_638
.LBB25_634:
	s_mov_b32 s1, -1
                                        ; implicit-def: $vgpr1
.LBB25_635:
	s_delay_alu instid0(SALU_CYCLE_1)
	s_and_b32 vcc_lo, exec_lo, s1
	s_cbranch_vccz .LBB25_637
; %bb.636:
	s_wait_loadcnt 0x0
	global_load_u8 v1, v[4:5], off
	s_wait_loadcnt 0x0
	v_lshlrev_b32_e32 v1, 24, v1
	s_delay_alu instid0(VALU_DEP_1) | instskip(NEXT) | instid1(VALU_DEP_1)
	v_and_b32_e32 v3, 0x7f000000, v1
	v_clz_i32_u32_e32 v6, v3
	v_cmp_ne_u32_e32 vcc_lo, 0, v3
	v_add_nc_u32_e32 v8, 0x1000000, v3
	s_delay_alu instid0(VALU_DEP_3) | instskip(NEXT) | instid1(VALU_DEP_1)
	v_min_u32_e32 v6, 32, v6
	v_sub_nc_u32_e64 v6, v6, 4 clamp
	s_delay_alu instid0(VALU_DEP_1) | instskip(NEXT) | instid1(VALU_DEP_1)
	v_dual_lshlrev_b32 v7, v6, v3 :: v_dual_lshlrev_b32 v6, 23, v6
	v_lshrrev_b32_e32 v7, 4, v7
	s_delay_alu instid0(VALU_DEP_1) | instskip(NEXT) | instid1(VALU_DEP_1)
	v_dual_sub_nc_u32 v6, v7, v6 :: v_dual_ashrrev_i32 v7, 8, v8
	v_add_nc_u32_e32 v6, 0x3c000000, v6
	s_delay_alu instid0(VALU_DEP_1) | instskip(NEXT) | instid1(VALU_DEP_1)
	v_and_or_b32 v6, 0x7f800000, v7, v6
	v_cndmask_b32_e32 v3, 0, v6, vcc_lo
	s_delay_alu instid0(VALU_DEP_1) | instskip(NEXT) | instid1(VALU_DEP_1)
	v_and_or_b32 v1, 0x80000000, v1, v3
	v_cvt_f16_f32_e32 v1, v1
.LBB25_637:
	s_mov_b32 s1, 0
.LBB25_638:
	s_delay_alu instid0(SALU_CYCLE_1)
	s_and_not1_b32 vcc_lo, exec_lo, s1
	s_cbranch_vccnz .LBB25_640
; %bb.639:
	s_wait_loadcnt 0x0
	global_load_u8 v1, v[4:5], off
	s_wait_loadcnt 0x0
	v_lshlrev_b32_e32 v3, 25, v1
	v_lshlrev_b16 v1, 8, v1
	s_delay_alu instid0(VALU_DEP_1) | instskip(SKIP_1) | instid1(VALU_DEP_2)
	v_and_or_b32 v7, 0x7f00, v1, 0.5
	v_bfe_i32 v1, v1, 0, 16
	v_add_f32_e32 v7, -0.5, v7
	v_lshrrev_b32_e32 v6, 4, v3
	v_cmp_gt_u32_e32 vcc_lo, 0x8000000, v3
	s_delay_alu instid0(VALU_DEP_2) | instskip(NEXT) | instid1(VALU_DEP_1)
	v_or_b32_e32 v6, 0x70000000, v6
	v_mul_f32_e32 v6, 0x7800000, v6
	s_delay_alu instid0(VALU_DEP_1) | instskip(NEXT) | instid1(VALU_DEP_1)
	v_cndmask_b32_e32 v3, v6, v7, vcc_lo
	v_and_or_b32 v1, 0x80000000, v1, v3
	s_delay_alu instid0(VALU_DEP_1)
	v_cvt_f16_f32_e32 v1, v1
.LBB25_640:
	s_mov_b32 s25, 0
	s_mov_b32 s1, -1
.LBB25_641:
	s_and_not1_b32 vcc_lo, exec_lo, s25
	s_cbranch_vccnz .LBB25_654
; %bb.642:
	s_cmp_gt_i32 s0, 14
	s_cbranch_scc0 .LBB25_645
; %bb.643:
	s_cmp_eq_u32 s0, 15
	s_cbranch_scc0 .LBB25_648
; %bb.644:
	s_wait_loadcnt 0x0
	global_load_u16 v1, v[4:5], off
	s_mov_b32 s1, -1
	s_mov_b32 s24, 0
	s_wait_loadcnt 0x0
	v_lshlrev_b32_e32 v1, 16, v1
	s_delay_alu instid0(VALU_DEP_1)
	v_cvt_f16_f32_e32 v1, v1
	s_branch .LBB25_649
.LBB25_645:
	s_mov_b32 s25, -1
                                        ; implicit-def: $vgpr1
	s_branch .LBB25_650
.LBB25_646:
	s_or_saveexec_b32 s25, s25
	v_mov_b32_e32 v1, 0x7e00
	s_xor_b32 exec_lo, exec_lo, s25
	s_cbranch_execz .LBB25_627
.LBB25_647:
	v_cmp_ne_u16_e32 vcc_lo, 0, v3
	v_mov_b32_e32 v1, v3
	s_and_not1_b32 s1, s1, exec_lo
	s_and_b32 s26, vcc_lo, exec_lo
	s_delay_alu instid0(SALU_CYCLE_1)
	s_or_b32 s1, s1, s26
	s_or_b32 exec_lo, exec_lo, s25
	s_and_saveexec_b32 s25, s1
	s_cbranch_execnz .LBB25_628
	s_branch .LBB25_629
.LBB25_648:
	s_mov_b32 s24, -1
                                        ; implicit-def: $vgpr1
.LBB25_649:
	s_mov_b32 s25, 0
.LBB25_650:
	s_delay_alu instid0(SALU_CYCLE_1)
	s_and_b32 vcc_lo, exec_lo, s25
	s_cbranch_vccz .LBB25_654
; %bb.651:
	s_cmp_eq_u32 s0, 11
	s_cbranch_scc0 .LBB25_653
; %bb.652:
	s_wait_loadcnt 0x0
	global_load_u8 v1, v[4:5], off
	s_mov_b32 s24, 0
	s_mov_b32 s1, -1
	s_wait_loadcnt 0x0
	v_cmp_ne_u16_e32 vcc_lo, 0, v1
	v_cndmask_b32_e64 v1, 0, 0x3c00, vcc_lo
	s_branch .LBB25_654
.LBB25_653:
	s_mov_b32 s24, -1
                                        ; implicit-def: $vgpr1
.LBB25_654:
	s_mov_b32 s25, 0
.LBB25_655:
	s_delay_alu instid0(SALU_CYCLE_1)
	s_and_b32 vcc_lo, exec_lo, s25
	s_cbranch_vccz .LBB25_704
; %bb.656:
	s_cmp_lt_i32 s0, 5
	s_cbranch_scc1 .LBB25_661
; %bb.657:
	s_cmp_lt_i32 s0, 8
	s_cbranch_scc1 .LBB25_662
; %bb.658:
	s_cmp_lt_i32 s0, 9
	s_cbranch_scc1 .LBB25_663
; %bb.659:
	s_cmp_gt_i32 s0, 9
	s_cbranch_scc0 .LBB25_664
; %bb.660:
	global_load_b64 v[6:7], v[4:5], off
	s_mov_b32 s1, 0
	s_wait_loadcnt 0x0
	v_and_or_b32 v1, 0x1ff, v7, v6
	v_lshrrev_b32_e32 v3, 8, v7
	v_bfe_u32 v6, v7, 20, 11
	s_delay_alu instid0(VALU_DEP_3) | instskip(NEXT) | instid1(VALU_DEP_2)
	v_cmp_ne_u32_e32 vcc_lo, 0, v1
	v_sub_nc_u32_e32 v8, 0x3f1, v6
	v_add_nc_u32_e32 v6, 0xfffffc10, v6
	v_cndmask_b32_e64 v1, 0, 1, vcc_lo
	s_delay_alu instid0(VALU_DEP_1) | instskip(NEXT) | instid1(VALU_DEP_4)
	v_and_or_b32 v1, 0xffe, v3, v1
	v_med3_i32 v3, v8, 0, 13
	s_delay_alu instid0(VALU_DEP_2) | instskip(NEXT) | instid1(VALU_DEP_1)
	v_or_b32_e32 v8, 0x1000, v1
	v_lshrrev_b32_e32 v9, v3, v8
	s_delay_alu instid0(VALU_DEP_1) | instskip(NEXT) | instid1(VALU_DEP_1)
	v_lshlrev_b32_e32 v3, v3, v9
	v_cmp_ne_u32_e32 vcc_lo, v3, v8
	v_lshl_or_b32 v8, v6, 12, v1
	v_cndmask_b32_e64 v3, 0, 1, vcc_lo
	v_cmp_gt_i32_e32 vcc_lo, 1, v6
	s_delay_alu instid0(VALU_DEP_2) | instskip(NEXT) | instid1(VALU_DEP_1)
	v_or_b32_e32 v3, v9, v3
	v_cndmask_b32_e32 v3, v8, v3, vcc_lo
	s_delay_alu instid0(VALU_DEP_1) | instskip(NEXT) | instid1(VALU_DEP_1)
	v_dual_lshrrev_b32 v3, 2, v3 :: v_dual_bitop2_b32 v8, 7, v3 bitop3:0x40
	v_cmp_lt_i32_e32 vcc_lo, 5, v8
	v_cndmask_b32_e64 v9, 0, 1, vcc_lo
	v_cmp_eq_u32_e32 vcc_lo, 3, v8
	v_cndmask_b32_e64 v8, 0, 1, vcc_lo
	v_cmp_ne_u32_e32 vcc_lo, 0, v1
	s_delay_alu instid0(VALU_DEP_2) | instskip(SKIP_1) | instid1(VALU_DEP_2)
	v_or_b32_e32 v8, v8, v9
	v_mov_b32_e32 v9, 0x7e00
	v_add_nc_u32_e32 v3, v3, v8
	s_delay_alu instid0(VALU_DEP_2) | instskip(SKIP_1) | instid1(VALU_DEP_3)
	v_cndmask_b32_e32 v1, 0x7c00, v9, vcc_lo
	v_cmp_gt_i32_e32 vcc_lo, 31, v6
	v_cndmask_b32_e32 v3, 0x7c00, v3, vcc_lo
	v_cmp_eq_u32_e32 vcc_lo, 0x40f, v6
	s_delay_alu instid0(VALU_DEP_2) | instskip(NEXT) | instid1(VALU_DEP_1)
	v_dual_cndmask_b32 v1, v3, v1, vcc_lo :: v_dual_lshrrev_b32 v3, 16, v7
	v_and_or_b32 v1, 0x8000, v3, v1
	s_branch .LBB25_665
.LBB25_661:
	s_mov_b32 s1, -1
                                        ; implicit-def: $vgpr1
	s_branch .LBB25_683
.LBB25_662:
	s_mov_b32 s1, -1
                                        ; implicit-def: $vgpr1
	s_branch .LBB25_671
.LBB25_663:
	s_mov_b32 s1, -1
                                        ; implicit-def: $vgpr1
	s_branch .LBB25_668
.LBB25_664:
	s_mov_b32 s1, -1
                                        ; implicit-def: $vgpr1
.LBB25_665:
	s_delay_alu instid0(SALU_CYCLE_1)
	s_and_not1_b32 vcc_lo, exec_lo, s1
	s_cbranch_vccnz .LBB25_667
; %bb.666:
	s_wait_loadcnt 0x0
	global_load_b32 v1, v[4:5], off
	s_wait_loadcnt 0x0
	v_cvt_f16_f32_e32 v1, v1
.LBB25_667:
	s_mov_b32 s1, 0
.LBB25_668:
	s_delay_alu instid0(SALU_CYCLE_1)
	s_and_not1_b32 vcc_lo, exec_lo, s1
	s_cbranch_vccnz .LBB25_670
; %bb.669:
	s_wait_loadcnt 0x0
	global_load_b32 v1, v[4:5], off
.LBB25_670:
	s_mov_b32 s1, 0
.LBB25_671:
	s_delay_alu instid0(SALU_CYCLE_1)
	s_and_not1_b32 vcc_lo, exec_lo, s1
	s_cbranch_vccnz .LBB25_682
; %bb.672:
	s_cmp_lt_i32 s0, 6
	s_cbranch_scc1 .LBB25_675
; %bb.673:
	s_cmp_gt_i32 s0, 6
	s_cbranch_scc0 .LBB25_676
; %bb.674:
	global_load_b64 v[6:7], v[4:5], off
	s_mov_b32 s1, 0
	s_wait_loadcnt 0x0
	v_and_or_b32 v1, 0x1ff, v7, v6
	v_lshrrev_b32_e32 v3, 8, v7
	v_bfe_u32 v6, v7, 20, 11
	s_delay_alu instid0(VALU_DEP_3) | instskip(NEXT) | instid1(VALU_DEP_2)
	v_cmp_ne_u32_e32 vcc_lo, 0, v1
	v_sub_nc_u32_e32 v8, 0x3f1, v6
	v_add_nc_u32_e32 v6, 0xfffffc10, v6
	v_cndmask_b32_e64 v1, 0, 1, vcc_lo
	s_delay_alu instid0(VALU_DEP_1) | instskip(NEXT) | instid1(VALU_DEP_4)
	v_and_or_b32 v1, 0xffe, v3, v1
	v_med3_i32 v3, v8, 0, 13
	s_delay_alu instid0(VALU_DEP_2) | instskip(NEXT) | instid1(VALU_DEP_1)
	v_or_b32_e32 v8, 0x1000, v1
	v_lshrrev_b32_e32 v9, v3, v8
	s_delay_alu instid0(VALU_DEP_1) | instskip(NEXT) | instid1(VALU_DEP_1)
	v_lshlrev_b32_e32 v3, v3, v9
	v_cmp_ne_u32_e32 vcc_lo, v3, v8
	v_lshl_or_b32 v8, v6, 12, v1
	v_cndmask_b32_e64 v3, 0, 1, vcc_lo
	v_cmp_gt_i32_e32 vcc_lo, 1, v6
	s_delay_alu instid0(VALU_DEP_2) | instskip(NEXT) | instid1(VALU_DEP_1)
	v_or_b32_e32 v3, v9, v3
	v_cndmask_b32_e32 v3, v8, v3, vcc_lo
	s_delay_alu instid0(VALU_DEP_1) | instskip(NEXT) | instid1(VALU_DEP_1)
	v_dual_lshrrev_b32 v3, 2, v3 :: v_dual_bitop2_b32 v8, 7, v3 bitop3:0x40
	v_cmp_lt_i32_e32 vcc_lo, 5, v8
	v_cndmask_b32_e64 v9, 0, 1, vcc_lo
	v_cmp_eq_u32_e32 vcc_lo, 3, v8
	v_cndmask_b32_e64 v8, 0, 1, vcc_lo
	v_cmp_ne_u32_e32 vcc_lo, 0, v1
	s_delay_alu instid0(VALU_DEP_2) | instskip(SKIP_1) | instid1(VALU_DEP_2)
	v_or_b32_e32 v8, v8, v9
	v_mov_b32_e32 v9, 0x7e00
	v_add_nc_u32_e32 v3, v3, v8
	s_delay_alu instid0(VALU_DEP_2) | instskip(SKIP_1) | instid1(VALU_DEP_3)
	v_cndmask_b32_e32 v1, 0x7c00, v9, vcc_lo
	v_cmp_gt_i32_e32 vcc_lo, 31, v6
	v_cndmask_b32_e32 v3, 0x7c00, v3, vcc_lo
	v_cmp_eq_u32_e32 vcc_lo, 0x40f, v6
	s_delay_alu instid0(VALU_DEP_2) | instskip(NEXT) | instid1(VALU_DEP_1)
	v_dual_cndmask_b32 v1, v3, v1, vcc_lo :: v_dual_lshrrev_b32 v3, 16, v7
	v_and_or_b32 v1, 0x8000, v3, v1
	s_branch .LBB25_677
.LBB25_675:
	s_mov_b32 s1, -1
                                        ; implicit-def: $vgpr1
	s_branch .LBB25_680
.LBB25_676:
	s_mov_b32 s1, -1
                                        ; implicit-def: $vgpr1
.LBB25_677:
	s_delay_alu instid0(SALU_CYCLE_1)
	s_and_not1_b32 vcc_lo, exec_lo, s1
	s_cbranch_vccnz .LBB25_679
; %bb.678:
	s_wait_loadcnt 0x0
	global_load_b32 v1, v[4:5], off
	s_wait_loadcnt 0x0
	v_cvt_f16_f32_e32 v1, v1
.LBB25_679:
	s_mov_b32 s1, 0
.LBB25_680:
	s_delay_alu instid0(SALU_CYCLE_1)
	s_and_not1_b32 vcc_lo, exec_lo, s1
	s_cbranch_vccnz .LBB25_682
; %bb.681:
	s_wait_loadcnt 0x0
	global_load_u16 v1, v[4:5], off
.LBB25_682:
	s_mov_b32 s1, 0
.LBB25_683:
	s_delay_alu instid0(SALU_CYCLE_1)
	s_and_not1_b32 vcc_lo, exec_lo, s1
	s_cbranch_vccnz .LBB25_703
; %bb.684:
	s_cmp_lt_i32 s0, 2
	s_cbranch_scc1 .LBB25_688
; %bb.685:
	s_cmp_lt_i32 s0, 3
	s_cbranch_scc1 .LBB25_689
; %bb.686:
	s_cmp_gt_i32 s0, 3
	s_cbranch_scc0 .LBB25_690
; %bb.687:
	global_load_b64 v[6:7], v[4:5], off
	s_mov_b32 s1, 0
	s_wait_loadcnt 0x0
	v_xor_b32_e32 v1, v6, v7
	v_cls_i32_e32 v3, v7
	s_delay_alu instid0(VALU_DEP_2) | instskip(NEXT) | instid1(VALU_DEP_1)
	v_ashrrev_i32_e32 v1, 31, v1
	v_add_nc_u32_e32 v1, 32, v1
	s_delay_alu instid0(VALU_DEP_1) | instskip(NEXT) | instid1(VALU_DEP_1)
	v_add_min_u32_e64 v1, v3, -1, v1
	v_lshlrev_b64_e32 v[6:7], v1, v[6:7]
	v_sub_nc_u32_e32 v1, 32, v1
	s_delay_alu instid0(VALU_DEP_2) | instskip(NEXT) | instid1(VALU_DEP_1)
	v_min_u32_e32 v3, 1, v6
	v_or_b32_e32 v3, v7, v3
	s_delay_alu instid0(VALU_DEP_1) | instskip(NEXT) | instid1(VALU_DEP_1)
	v_cvt_f32_i32_e32 v3, v3
	v_ldexp_f32 v1, v3, v1
	s_delay_alu instid0(VALU_DEP_1)
	v_cvt_f16_f32_e32 v1, v1
	s_branch .LBB25_691
.LBB25_688:
	s_mov_b32 s1, -1
                                        ; implicit-def: $vgpr1
	s_branch .LBB25_697
.LBB25_689:
	s_mov_b32 s1, -1
                                        ; implicit-def: $vgpr1
	s_branch .LBB25_694
.LBB25_690:
	s_mov_b32 s1, -1
                                        ; implicit-def: $vgpr1
.LBB25_691:
	s_delay_alu instid0(SALU_CYCLE_1)
	s_and_not1_b32 vcc_lo, exec_lo, s1
	s_cbranch_vccnz .LBB25_693
; %bb.692:
	s_wait_loadcnt 0x0
	global_load_b32 v1, v[4:5], off
	s_wait_loadcnt 0x0
	v_cvt_f32_i32_e32 v1, v1
	s_delay_alu instid0(VALU_DEP_1)
	v_cvt_f16_f32_e32 v1, v1
.LBB25_693:
	s_mov_b32 s1, 0
.LBB25_694:
	s_delay_alu instid0(SALU_CYCLE_1)
	s_and_not1_b32 vcc_lo, exec_lo, s1
	s_cbranch_vccnz .LBB25_696
; %bb.695:
	s_wait_loadcnt 0x0
	global_load_u16 v1, v[4:5], off
	s_wait_loadcnt 0x0
	v_cvt_f16_i16_e32 v1, v1
.LBB25_696:
	s_mov_b32 s1, 0
.LBB25_697:
	s_delay_alu instid0(SALU_CYCLE_1)
	s_and_not1_b32 vcc_lo, exec_lo, s1
	s_cbranch_vccnz .LBB25_703
; %bb.698:
	s_cmp_gt_i32 s0, 0
	s_mov_b32 s0, 0
	s_cbranch_scc0 .LBB25_700
; %bb.699:
	s_wait_loadcnt 0x0
	global_load_i8 v1, v[4:5], off
	s_wait_loadcnt 0x0
	v_cvt_f16_i16_e32 v1, v1
	s_branch .LBB25_701
.LBB25_700:
	s_mov_b32 s0, -1
                                        ; implicit-def: $vgpr1
.LBB25_701:
	s_delay_alu instid0(SALU_CYCLE_1)
	s_and_not1_b32 vcc_lo, exec_lo, s0
	s_cbranch_vccnz .LBB25_703
; %bb.702:
	s_wait_loadcnt 0x0
	global_load_u8 v1, v[4:5], off
	s_wait_loadcnt 0x0
	v_cvt_f16_u16_e32 v1, v1
.LBB25_703:
	s_mov_b32 s1, -1
.LBB25_704:
	s_delay_alu instid0(SALU_CYCLE_1)
	s_and_not1_b32 vcc_lo, exec_lo, s1
	s_cbranch_vccnz .LBB25_716
; %bb.705:
	s_wait_loadcnt 0x0
	v_cvt_f32_f16_e32 v1, v1
                                        ; implicit-def: $vgpr5
                                        ; implicit-def: $vgpr4
	s_mov_b32 s1, exec_lo
	s_delay_alu instid0(VALU_DEP_1)
	v_and_b32_e32 v3, 0x7fffffff, v1
	s_wait_xcnt 0x0
	v_cmpx_ngt_f32_e64 0x48000000, |v1|
	s_xor_b32 s25, exec_lo, s1
	s_cbranch_execz .LBB25_707
; %bb.706:
	s_mov_b32 s0, 0x7fffff
	v_mov_b32_e32 v5, 0
	v_and_or_b32 v4, v3, s0, 0x800000
	s_mov_b64 s[0:1], 0xfe5163ab
	s_delay_alu instid0(VALU_DEP_1) | instid1(SALU_CYCLE_1)
	v_mul_u64_e32 v[6:7], s[0:1], v[4:5]
	s_delay_alu instid0(VALU_DEP_1) | instskip(SKIP_2) | instid1(VALU_DEP_3)
	v_dual_mov_b32 v8, v7 :: v_dual_mov_b32 v9, v5
	v_dual_mov_b32 v11, v5 :: v_dual_mov_b32 v13, v5
	v_dual_mov_b32 v15, v5 :: v_dual_lshrrev_b32 v7, 23, v3
	v_mad_nc_u64_u32 v[8:9], 0x3c439041, v4, v[8:9]
	s_delay_alu instid0(VALU_DEP_1) | instskip(NEXT) | instid1(VALU_DEP_1)
	v_mov_b32_e32 v10, v9
	v_mad_nc_u64_u32 v[10:11], 0xdb629599, v4, v[10:11]
	s_delay_alu instid0(VALU_DEP_1) | instskip(NEXT) | instid1(VALU_DEP_1)
	v_mov_b32_e32 v12, v11
	;; [unrolled: 3-line block ×3, first 2 shown]
	v_mad_nc_u64_u32 v[14:15], 0xfc2757d1, v4, v[14:15]
	s_delay_alu instid0(VALU_DEP_1) | instskip(NEXT) | instid1(VALU_DEP_1)
	v_dual_mov_b32 v17, v5 :: v_dual_mov_b32 v16, v15
	v_mad_nc_u64_u32 v[16:17], 0x4e441529, v4, v[16:17]
	s_delay_alu instid0(VALU_DEP_1) | instskip(NEXT) | instid1(VALU_DEP_1)
	v_dual_mov_b32 v18, v17 :: v_dual_add_nc_u32 v7, 0xffffff88, v7
	v_cmp_lt_u32_e32 vcc_lo, 63, v7
	v_mov_b32_e32 v19, v5
	v_cndmask_b32_e64 v9, 0, 0xffffffc0, vcc_lo
	s_delay_alu instid0(VALU_DEP_2) | instskip(SKIP_1) | instid1(VALU_DEP_3)
	v_mad_nc_u64_u32 v[4:5], 0xa2f9836e, v4, v[18:19]
	v_dual_cndmask_b32 v11, v16, v12, vcc_lo :: v_dual_cndmask_b32 v13, v14, v10, vcc_lo
	v_dual_cndmask_b32 v8, v12, v8 :: v_dual_add_nc_u32 v7, v9, v7
	v_cndmask_b32_e32 v6, v10, v6, vcc_lo
	s_delay_alu instid0(VALU_DEP_2) | instskip(SKIP_1) | instid1(VALU_DEP_2)
	v_cmp_lt_u32_e64 s0, 31, v7
	v_dual_cndmask_b32 v4, v4, v14 :: v_dual_cndmask_b32 v5, v5, v16
	v_cndmask_b32_e64 v9, 0, 0xffffffe0, s0
	s_delay_alu instid0(VALU_DEP_4) | instskip(NEXT) | instid1(VALU_DEP_2)
	v_dual_cndmask_b32 v12, v13, v8, s0 :: v_dual_cndmask_b32 v6, v8, v6, s0
	v_add_nc_u32_e32 v7, v9, v7
	s_delay_alu instid0(VALU_DEP_1) | instskip(NEXT) | instid1(VALU_DEP_1)
	v_cmp_lt_u32_e64 s1, 31, v7
	v_cndmask_b32_e64 v9, 0, 0xffffffe0, s1
	s_delay_alu instid0(VALU_DEP_1) | instskip(SKIP_1) | instid1(VALU_DEP_2)
	v_dual_cndmask_b32 v6, v12, v6, s1 :: v_dual_add_nc_u32 v7, v9, v7
	v_dual_cndmask_b32 v9, v4, v11, s0 :: v_dual_cndmask_b32 v4, v5, v4, s0
	v_dual_cndmask_b32 v5, v11, v13, s0 :: v_dual_sub_nc_u32 v11, 32, v7
	v_cmp_eq_u32_e32 vcc_lo, 0, v7
	s_delay_alu instid0(VALU_DEP_3) | instskip(NEXT) | instid1(VALU_DEP_3)
	v_cndmask_b32_e64 v4, v4, v9, s1
	v_cndmask_b32_e64 v9, v9, v5, s1
	;; [unrolled: 1-line block ×3, first 2 shown]
	s_delay_alu instid0(VALU_DEP_2) | instskip(NEXT) | instid1(VALU_DEP_2)
	v_alignbit_b32 v13, v4, v9, v11
	v_alignbit_b32 v10, v9, v5, v11
	;; [unrolled: 1-line block ×3, first 2 shown]
	s_delay_alu instid0(VALU_DEP_2) | instskip(NEXT) | instid1(VALU_DEP_2)
	v_dual_cndmask_b32 v4, v13, v4 :: v_dual_cndmask_b32 v7, v10, v9
	v_cndmask_b32_e32 v5, v11, v5, vcc_lo
	s_delay_alu instid0(VALU_DEP_2) | instskip(NEXT) | instid1(VALU_DEP_3)
	v_bfe_u32 v8, v4, 29, 1
	v_alignbit_b32 v9, v4, v7, 30
	s_delay_alu instid0(VALU_DEP_3) | instskip(SKIP_1) | instid1(VALU_DEP_4)
	v_alignbit_b32 v7, v7, v5, 30
	v_alignbit_b32 v5, v5, v6, 30
	v_sub_nc_u32_e32 v10, 0, v8
	s_delay_alu instid0(VALU_DEP_1) | instskip(NEXT) | instid1(VALU_DEP_4)
	v_xor_b32_e32 v9, v9, v10
	v_xor_b32_e32 v6, v7, v10
	s_delay_alu instid0(VALU_DEP_4) | instskip(NEXT) | instid1(VALU_DEP_3)
	v_dual_lshrrev_b32 v10, 29, v4 :: v_dual_bitop2_b32 v5, v5, v10 bitop3:0x14
	v_clz_i32_u32_e32 v11, v9
	s_delay_alu instid0(VALU_DEP_1) | instskip(NEXT) | instid1(VALU_DEP_1)
	v_min_u32_e32 v11, 32, v11
	v_dual_sub_nc_u32 v7, 31, v11 :: v_dual_lshlrev_b32 v12, 23, v11
	s_delay_alu instid0(VALU_DEP_1) | instskip(SKIP_2) | instid1(VALU_DEP_2)
	v_alignbit_b32 v9, v9, v6, v7
	v_alignbit_b32 v5, v6, v5, v7
	v_lshlrev_b32_e32 v6, 31, v10
	v_alignbit_b32 v7, v9, v5, 9
	s_delay_alu instid0(VALU_DEP_2) | instskip(SKIP_1) | instid1(VALU_DEP_3)
	v_dual_lshrrev_b32 v9, 9, v9 :: v_dual_bitop2_b32 v10, 0.5, v6 bitop3:0x54
	v_or_b32_e32 v6, 0x33000000, v6
	v_clz_i32_u32_e32 v13, v7
	s_delay_alu instid0(VALU_DEP_3) | instskip(NEXT) | instid1(VALU_DEP_2)
	v_sub_nc_u32_e32 v10, v10, v12
	v_min_u32_e32 v12, 32, v13
	s_delay_alu instid0(VALU_DEP_1) | instskip(NEXT) | instid1(VALU_DEP_3)
	v_add_lshl_u32 v11, v12, v11, 23
	v_or_b32_e32 v9, v9, v10
	v_not_b32_e32 v10, v12
	s_delay_alu instid0(VALU_DEP_2) | instskip(NEXT) | instid1(VALU_DEP_2)
	v_dual_mul_f32 v13, 0x3fc90fda, v9 :: v_dual_sub_nc_u32 v6, v6, v11
	v_alignbit_b32 v5, v7, v5, v10
	s_delay_alu instid0(VALU_DEP_2) | instskip(NEXT) | instid1(VALU_DEP_2)
	v_fma_f32 v7, 0x3fc90fda, v9, -v13
	v_lshrrev_b32_e32 v5, 9, v5
	s_delay_alu instid0(VALU_DEP_2) | instskip(NEXT) | instid1(VALU_DEP_2)
	v_fmamk_f32 v7, v9, 0x33a22168, v7
	v_or_b32_e32 v5, v6, v5
	s_delay_alu instid0(VALU_DEP_1) | instskip(NEXT) | instid1(VALU_DEP_1)
	v_fmac_f32_e32 v7, 0x3fc90fda, v5
	v_dual_add_f32 v4, v13, v7 :: v_dual_lshrrev_b32 v5, 30, v4
	s_delay_alu instid0(VALU_DEP_1)
	v_add_nc_u32_e32 v5, v8, v5
.LBB25_707:
	s_and_not1_saveexec_b32 s0, s25
; %bb.708:
	v_mul_f32_e64 v4, 0x3f22f983, |v1|
	s_delay_alu instid0(VALU_DEP_1) | instskip(NEXT) | instid1(VALU_DEP_1)
	v_rndne_f32_e32 v5, v4
	v_fma_f32 v4, 0xbfc90fda, v5, |v1|
	s_delay_alu instid0(VALU_DEP_1) | instskip(NEXT) | instid1(VALU_DEP_1)
	v_fmamk_f32 v4, v5, 0xb3a22168, v4
	v_fmamk_f32 v4, v5, 0xa7c234c4, v4
	v_cvt_i32_f32_e32 v5, v5
; %bb.709:
	s_or_b32 exec_lo, exec_lo, s0
	s_delay_alu instid0(VALU_DEP_1) | instskip(SKIP_3) | instid1(VALU_DEP_1)
	v_dual_mul_f32 v6, v4, v4 :: v_dual_bitop2_b32 v9, 1, v5 bitop3:0x40
	s_mov_b32 s0, 0xb94c1982
	s_mov_b32 s1, 0x37d75334
	;; [unrolled: 1-line block ×3, first 2 shown]
	v_fmaak_f32 v7, s0, v6, 0x3c0881c4
	v_cmp_eq_u32_e32 vcc_lo, 0, v9
	s_mov_b32 s25, -1
	s_mov_b32 s0, s42
	v_lshlrev_b32_e32 v5, 30, v5
	v_fmaak_f32 v7, v6, v7, 0xbe2aaa9d
	v_fmaak_f32 v8, s1, v6, 0xbab64f3b
	s_and_b32 s1, s34, 0xff
	v_xor_b32_e32 v3, v3, v1
	v_and_b32_e32 v5, 0x80000000, v5
	s_delay_alu instid0(VALU_DEP_3) | instskip(SKIP_1) | instid1(VALU_DEP_1)
	v_dual_mul_f32 v7, v6, v7 :: v_dual_fmaak_f32 v8, v6, v8, 0x3d2aabf7
	s_cmp_lt_i32 s1, 11
	v_fmac_f32_e32 v4, v4, v7
	s_delay_alu instid0(VALU_DEP_2) | instskip(NEXT) | instid1(VALU_DEP_1)
	v_fmaak_f32 v8, v6, v8, 0xbf000004
	v_fma_f32 v6, v6, v8, 1.0
	s_delay_alu instid0(VALU_DEP_1) | instskip(SKIP_1) | instid1(VALU_DEP_2)
	v_cndmask_b32_e32 v4, v6, v4, vcc_lo
	v_cmp_class_f32_e64 vcc_lo, v1, 0x1f8
	v_xor3_b32 v4, v3, v5, v4
	v_mov_b32_e32 v3, 0
	s_delay_alu instid0(VALU_DEP_2) | instskip(NEXT) | instid1(VALU_DEP_2)
	v_cndmask_b32_e32 v1, 0x7fc00000, v4, vcc_lo
	v_add_nc_u64_e32 v[2:3], s[4:5], v[2:3]
	s_delay_alu instid0(VALU_DEP_2)
	v_cvt_f16_f32_e32 v1, v1
	s_cbranch_scc1 .LBB25_717
; %bb.710:
	s_and_b32 s25, 0xffff, s1
	s_delay_alu instid0(SALU_CYCLE_1)
	s_cmp_gt_i32 s25, 25
	s_cbranch_scc0 .LBB25_758
; %bb.711:
	s_cmp_gt_i32 s25, 28
	s_cbranch_scc0 .LBB25_759
; %bb.712:
	;; [unrolled: 3-line block ×4, first 2 shown]
	s_mov_b32 s27, 0
	s_mov_b32 s0, -1
	s_cmp_eq_u32 s25, 46
	s_cbranch_scc0 .LBB25_762
; %bb.715:
	v_cvt_f32_f16_e32 v4, v1
	v_cmp_o_f16_e32 vcc_lo, v1, v1
	s_mov_b32 s26, -1
	s_mov_b32 s0, 0
	s_delay_alu instid0(VALU_DEP_2) | instskip(NEXT) | instid1(VALU_DEP_1)
	v_bfe_u32 v5, v4, 16, 1
	v_add3_u32 v4, v4, v5, 0x7fff
	s_delay_alu instid0(VALU_DEP_1) | instskip(NEXT) | instid1(VALU_DEP_1)
	v_lshrrev_b32_e32 v4, 16, v4
	v_cndmask_b32_e32 v4, 0x7fc0, v4, vcc_lo
	global_store_b32 v[2:3], v4, off
	s_branch .LBB25_762
.LBB25_716:
	s_mov_b32 s1, 0
	s_mov_b32 s0, s42
	s_branch .LBB25_757
.LBB25_717:
	s_and_b32 vcc_lo, exec_lo, s25
	s_cbranch_vccz .LBB25_831
; %bb.718:
	s_and_b32 s1, 0xffff, s1
	s_mov_b32 s25, -1
	s_cmp_lt_i32 s1, 5
	s_cbranch_scc1 .LBB25_739
; %bb.719:
	s_cmp_lt_i32 s1, 8
	s_cbranch_scc1 .LBB25_729
; %bb.720:
	;; [unrolled: 3-line block ×3, first 2 shown]
	s_cmp_gt_i32 s1, 9
	s_cbranch_scc0 .LBB25_723
; %bb.722:
	s_wait_xcnt 0x0
	v_cvt_f32_f16_e32 v4, v1
	v_mov_b32_e32 v6, 0
	s_mov_b32 s25, 0
	s_delay_alu instid0(VALU_DEP_2) | instskip(NEXT) | instid1(VALU_DEP_2)
	v_cvt_f64_f32_e32 v[4:5], v4
	v_mov_b32_e32 v7, v6
	global_store_b128 v[2:3], v[4:7], off
.LBB25_723:
	s_and_not1_b32 vcc_lo, exec_lo, s25
	s_cbranch_vccnz .LBB25_725
; %bb.724:
	s_wait_xcnt 0x0
	v_cvt_f32_f16_e32 v4, v1
	v_mov_b32_e32 v5, 0
	global_store_b64 v[2:3], v[4:5], off
.LBB25_725:
	s_mov_b32 s25, 0
.LBB25_726:
	s_delay_alu instid0(SALU_CYCLE_1)
	s_and_not1_b32 vcc_lo, exec_lo, s25
	s_cbranch_vccnz .LBB25_728
; %bb.727:
	s_wait_xcnt 0x0
	v_and_b32_e32 v4, 0xffff, v1
	global_store_b32 v[2:3], v4, off
.LBB25_728:
	s_mov_b32 s25, 0
.LBB25_729:
	s_delay_alu instid0(SALU_CYCLE_1)
	s_and_not1_b32 vcc_lo, exec_lo, s25
	s_cbranch_vccnz .LBB25_738
; %bb.730:
	s_cmp_lt_i32 s1, 6
	s_mov_b32 s25, -1
	s_cbranch_scc1 .LBB25_736
; %bb.731:
	s_cmp_gt_i32 s1, 6
	s_cbranch_scc0 .LBB25_733
; %bb.732:
	s_wait_xcnt 0x0
	v_cvt_f32_f16_e32 v4, v1
	s_mov_b32 s25, 0
	s_delay_alu instid0(VALU_DEP_1)
	v_cvt_f64_f32_e32 v[4:5], v4
	global_store_b64 v[2:3], v[4:5], off
.LBB25_733:
	s_and_not1_b32 vcc_lo, exec_lo, s25
	s_cbranch_vccnz .LBB25_735
; %bb.734:
	s_wait_xcnt 0x0
	v_cvt_f32_f16_e32 v4, v1
	global_store_b32 v[2:3], v4, off
.LBB25_735:
	s_mov_b32 s25, 0
.LBB25_736:
	s_delay_alu instid0(SALU_CYCLE_1)
	s_and_not1_b32 vcc_lo, exec_lo, s25
	s_cbranch_vccnz .LBB25_738
; %bb.737:
	global_store_b16 v[2:3], v1, off
.LBB25_738:
	s_mov_b32 s25, 0
.LBB25_739:
	s_delay_alu instid0(SALU_CYCLE_1)
	s_and_not1_b32 vcc_lo, exec_lo, s25
	s_cbranch_vccnz .LBB25_755
; %bb.740:
	s_cmp_lt_i32 s1, 2
	s_mov_b32 s25, -1
	s_cbranch_scc1 .LBB25_750
; %bb.741:
	s_cmp_lt_i32 s1, 3
	s_cbranch_scc1 .LBB25_747
; %bb.742:
	s_cmp_gt_i32 s1, 3
	s_cbranch_scc0 .LBB25_744
; %bb.743:
	s_wait_xcnt 0x0
	v_cvt_f32_f16_e32 v4, v1
	s_mov_b32 s25, 0
	s_delay_alu instid0(VALU_DEP_1) | instskip(NEXT) | instid1(VALU_DEP_1)
	v_cvt_i32_f32_e32 v4, v4
	v_ashrrev_i32_e32 v5, 31, v4
	global_store_b64 v[2:3], v[4:5], off
.LBB25_744:
	s_and_not1_b32 vcc_lo, exec_lo, s25
	s_cbranch_vccnz .LBB25_746
; %bb.745:
	s_wait_xcnt 0x0
	v_cvt_f32_f16_e32 v4, v1
	s_delay_alu instid0(VALU_DEP_1)
	v_cvt_i32_f32_e32 v4, v4
	global_store_b32 v[2:3], v4, off
.LBB25_746:
	s_mov_b32 s25, 0
.LBB25_747:
	s_delay_alu instid0(SALU_CYCLE_1)
	s_and_not1_b32 vcc_lo, exec_lo, s25
	s_cbranch_vccnz .LBB25_749
; %bb.748:
	s_wait_xcnt 0x0
	v_cvt_i16_f16_e32 v4, v1
	global_store_b16 v[2:3], v4, off
.LBB25_749:
	s_mov_b32 s25, 0
.LBB25_750:
	s_delay_alu instid0(SALU_CYCLE_1)
	s_and_not1_b32 vcc_lo, exec_lo, s25
	s_cbranch_vccnz .LBB25_755
; %bb.751:
	s_cmp_gt_i32 s1, 0
	s_mov_b32 s1, -1
	s_cbranch_scc0 .LBB25_753
; %bb.752:
	s_wait_xcnt 0x0
	v_cvt_i16_f16_e32 v4, v1
	s_mov_b32 s1, 0
	global_store_b8 v[2:3], v4, off
.LBB25_753:
	s_and_not1_b32 vcc_lo, exec_lo, s1
	s_cbranch_vccnz .LBB25_755
; %bb.754:
	s_wait_xcnt 0x0
	v_cvt_f32_f16_e32 v1, v1
	s_delay_alu instid0(VALU_DEP_1)
	v_cvt_i32_f32_e32 v1, v1
	global_store_b8 v[2:3], v1, off
.LBB25_755:
	s_branch .LBB25_832
.LBB25_756:
	s_mov_b32 s1, 0
.LBB25_757:
                                        ; implicit-def: $vgpr0
	s_branch .LBB25_833
.LBB25_758:
	s_mov_b32 s27, -1
	s_mov_b32 s0, s42
	s_branch .LBB25_789
.LBB25_759:
	s_mov_b32 s27, -1
	s_mov_b32 s0, s42
	s_branch .LBB25_772
.LBB25_760:
	s_mov_b32 s27, -1
	s_mov_b32 s0, s42
	s_branch .LBB25_768
.LBB25_761:
	s_mov_b32 s27, -1
	s_mov_b32 s0, s42
.LBB25_762:
	s_and_b32 vcc_lo, exec_lo, s27
	s_cbranch_vccz .LBB25_767
; %bb.763:
	s_cmp_eq_u32 s25, 44
	s_mov_b32 s0, -1
	s_cbranch_scc0 .LBB25_767
; %bb.764:
	s_wait_xcnt 0x0
	v_cvt_f32_f16_e32 v4, v1
	v_mov_b32_e32 v5, 0xff
	s_mov_b32 s26, exec_lo
	s_delay_alu instid0(VALU_DEP_2) | instskip(NEXT) | instid1(VALU_DEP_1)
	v_bfe_u32 v6, v4, 23, 8
	v_cmpx_ne_u32_e32 0xff, v6
	s_cbranch_execz .LBB25_766
; %bb.765:
	v_and_b32_e32 v5, 0x400000, v4
	v_and_or_b32 v6, 0x3fffff, v4, v6
	v_lshrrev_b32_e32 v4, 23, v4
	s_delay_alu instid0(VALU_DEP_3) | instskip(NEXT) | instid1(VALU_DEP_3)
	v_cmp_ne_u32_e32 vcc_lo, 0, v5
	v_cmp_ne_u32_e64 s0, 0, v6
	s_and_b32 s0, vcc_lo, s0
	s_delay_alu instid0(SALU_CYCLE_1) | instskip(NEXT) | instid1(VALU_DEP_1)
	v_cndmask_b32_e64 v5, 0, 1, s0
	v_add_nc_u32_e32 v5, v4, v5
.LBB25_766:
	s_or_b32 exec_lo, exec_lo, s26
	s_mov_b32 s26, -1
	s_mov_b32 s0, 0
	global_store_b8 v[2:3], v5, off
.LBB25_767:
	s_mov_b32 s27, 0
.LBB25_768:
	s_delay_alu instid0(SALU_CYCLE_1)
	s_and_b32 vcc_lo, exec_lo, s27
	s_cbranch_vccz .LBB25_771
; %bb.769:
	s_cmp_eq_u32 s25, 29
	s_mov_b32 s0, -1
	s_cbranch_scc0 .LBB25_771
; %bb.770:
	s_wait_xcnt 0x0
	v_cvt_f32_f16_e32 v4, v1
	v_mov_b32_e32 v5, 0
	s_mov_b32 s26, -1
	s_mov_b32 s0, 0
	s_mov_b32 s27, 0
	v_cvt_u32_f32_e32 v4, v4
	global_store_b64 v[2:3], v[4:5], off
	s_branch .LBB25_772
.LBB25_771:
	s_mov_b32 s27, 0
.LBB25_772:
	s_delay_alu instid0(SALU_CYCLE_1)
	s_and_b32 vcc_lo, exec_lo, s27
	s_cbranch_vccz .LBB25_788
; %bb.773:
	s_cmp_lt_i32 s25, 27
	s_mov_b32 s26, -1
	s_cbranch_scc1 .LBB25_779
; %bb.774:
	s_cmp_gt_i32 s25, 27
	s_cbranch_scc0 .LBB25_776
; %bb.775:
	s_wait_xcnt 0x0
	v_cvt_f32_f16_e32 v4, v1
	s_mov_b32 s26, 0
	s_delay_alu instid0(VALU_DEP_1)
	v_cvt_u32_f32_e32 v4, v4
	global_store_b32 v[2:3], v4, off
.LBB25_776:
	s_and_not1_b32 vcc_lo, exec_lo, s26
	s_cbranch_vccnz .LBB25_778
; %bb.777:
	s_wait_xcnt 0x0
	v_cvt_u16_f16_e32 v4, v1
	global_store_b16 v[2:3], v4, off
.LBB25_778:
	s_mov_b32 s26, 0
.LBB25_779:
	s_delay_alu instid0(SALU_CYCLE_1)
	s_and_not1_b32 vcc_lo, exec_lo, s26
	s_cbranch_vccnz .LBB25_787
; %bb.780:
	s_wait_xcnt 0x0
	v_cvt_f32_f16_e32 v4, v1
	v_mov_b32_e32 v6, 0x80
	s_mov_b32 s26, exec_lo
	s_delay_alu instid0(VALU_DEP_2) | instskip(NEXT) | instid1(VALU_DEP_1)
	v_and_b32_e32 v5, 0x7fffffff, v4
	v_cmpx_gt_u32_e32 0x43800000, v5
	s_cbranch_execz .LBB25_786
; %bb.781:
	v_cmp_lt_u32_e32 vcc_lo, 0x3bffffff, v5
	s_mov_b32 s27, 0
                                        ; implicit-def: $vgpr5
	s_and_saveexec_b32 s45, vcc_lo
	s_delay_alu instid0(SALU_CYCLE_1)
	s_xor_b32 s45, exec_lo, s45
	s_cbranch_execz .LBB25_864
; %bb.782:
	v_bfe_u32 v5, v4, 20, 1
	s_mov_b32 s27, exec_lo
	s_delay_alu instid0(VALU_DEP_1) | instskip(NEXT) | instid1(VALU_DEP_1)
	v_add3_u32 v5, v4, v5, 0x487ffff
	v_lshrrev_b32_e32 v5, 20, v5
	s_and_not1_saveexec_b32 s45, s45
	s_cbranch_execnz .LBB25_865
.LBB25_783:
	s_or_b32 exec_lo, exec_lo, s45
	v_mov_b32_e32 v6, 0
	s_and_saveexec_b32 s45, s27
.LBB25_784:
	v_lshrrev_b32_e32 v4, 24, v4
	s_delay_alu instid0(VALU_DEP_1)
	v_and_or_b32 v6, 0x80, v4, v5
.LBB25_785:
	s_or_b32 exec_lo, exec_lo, s45
.LBB25_786:
	s_delay_alu instid0(SALU_CYCLE_1)
	s_or_b32 exec_lo, exec_lo, s26
	global_store_b8 v[2:3], v6, off
.LBB25_787:
	s_mov_b32 s26, -1
.LBB25_788:
	s_mov_b32 s27, 0
.LBB25_789:
	s_delay_alu instid0(SALU_CYCLE_1)
	s_and_b32 vcc_lo, exec_lo, s27
	s_cbranch_vccz .LBB25_830
; %bb.790:
	s_cmp_gt_i32 s25, 22
	s_mov_b32 s27, -1
	s_cbranch_scc0 .LBB25_822
; %bb.791:
	s_cmp_lt_i32 s25, 24
	s_mov_b32 s26, -1
	s_cbranch_scc1 .LBB25_811
; %bb.792:
	s_cmp_gt_i32 s25, 24
	s_cbranch_scc0 .LBB25_800
; %bb.793:
	s_wait_xcnt 0x0
	v_cvt_f32_f16_e32 v4, v1
	v_mov_b32_e32 v6, 0x80
	s_mov_b32 s26, exec_lo
	s_delay_alu instid0(VALU_DEP_2) | instskip(NEXT) | instid1(VALU_DEP_1)
	v_and_b32_e32 v5, 0x7fffffff, v4
	v_cmpx_gt_u32_e32 0x47800000, v5
	s_cbranch_execz .LBB25_799
; %bb.794:
	v_cmp_lt_u32_e32 vcc_lo, 0x37ffffff, v5
	s_mov_b32 s27, 0
                                        ; implicit-def: $vgpr5
	s_and_saveexec_b32 s45, vcc_lo
	s_delay_alu instid0(SALU_CYCLE_1)
	s_xor_b32 s45, exec_lo, s45
	s_cbranch_execz .LBB25_867
; %bb.795:
	v_bfe_u32 v5, v4, 21, 1
	s_mov_b32 s27, exec_lo
	s_delay_alu instid0(VALU_DEP_1) | instskip(NEXT) | instid1(VALU_DEP_1)
	v_add3_u32 v5, v4, v5, 0x88fffff
	v_lshrrev_b32_e32 v5, 21, v5
	s_and_not1_saveexec_b32 s45, s45
	s_cbranch_execnz .LBB25_868
.LBB25_796:
	s_or_b32 exec_lo, exec_lo, s45
	v_mov_b32_e32 v6, 0
	s_and_saveexec_b32 s45, s27
.LBB25_797:
	v_lshrrev_b32_e32 v4, 24, v4
	s_delay_alu instid0(VALU_DEP_1)
	v_and_or_b32 v6, 0x80, v4, v5
.LBB25_798:
	s_or_b32 exec_lo, exec_lo, s45
.LBB25_799:
	s_delay_alu instid0(SALU_CYCLE_1)
	s_or_b32 exec_lo, exec_lo, s26
	s_mov_b32 s26, 0
	global_store_b8 v[2:3], v6, off
.LBB25_800:
	s_and_b32 vcc_lo, exec_lo, s26
	s_cbranch_vccz .LBB25_810
; %bb.801:
	s_wait_xcnt 0x0
	v_cvt_f32_f16_e32 v4, v1
	s_mov_b32 s26, exec_lo
                                        ; implicit-def: $vgpr5
	s_delay_alu instid0(VALU_DEP_1) | instskip(NEXT) | instid1(VALU_DEP_1)
	v_and_b32_e32 v6, 0x7fffffff, v4
	v_cmpx_gt_u32_e32 0x43f00000, v6
	s_xor_b32 s26, exec_lo, s26
	s_cbranch_execz .LBB25_807
; %bb.802:
	s_mov_b32 s27, exec_lo
                                        ; implicit-def: $vgpr5
	v_cmpx_lt_u32_e32 0x3c7fffff, v6
	s_xor_b32 s27, exec_lo, s27
; %bb.803:
	v_bfe_u32 v5, v4, 20, 1
	s_delay_alu instid0(VALU_DEP_1) | instskip(NEXT) | instid1(VALU_DEP_1)
	v_add3_u32 v5, v4, v5, 0x407ffff
	v_and_b32_e32 v6, 0xff00000, v5
	v_lshrrev_b32_e32 v5, 20, v5
	s_delay_alu instid0(VALU_DEP_2) | instskip(NEXT) | instid1(VALU_DEP_2)
	v_cmp_ne_u32_e32 vcc_lo, 0x7f00000, v6
	v_cndmask_b32_e32 v5, 0x7e, v5, vcc_lo
; %bb.804:
	s_and_not1_saveexec_b32 s27, s27
; %bb.805:
	v_add_f32_e64 v5, 0x46800000, |v4|
; %bb.806:
	s_or_b32 exec_lo, exec_lo, s27
                                        ; implicit-def: $vgpr6
.LBB25_807:
	s_and_not1_saveexec_b32 s26, s26
; %bb.808:
	v_mov_b32_e32 v5, 0x7f
	v_cmp_lt_u32_e32 vcc_lo, 0x7f800000, v6
	s_delay_alu instid0(VALU_DEP_2)
	v_cndmask_b32_e32 v5, 0x7e, v5, vcc_lo
; %bb.809:
	s_or_b32 exec_lo, exec_lo, s26
	v_lshrrev_b32_e32 v4, 24, v4
	s_delay_alu instid0(VALU_DEP_1)
	v_and_or_b32 v4, 0x80, v4, v5
	global_store_b8 v[2:3], v4, off
.LBB25_810:
	s_mov_b32 s26, 0
.LBB25_811:
	s_delay_alu instid0(SALU_CYCLE_1)
	s_and_not1_b32 vcc_lo, exec_lo, s26
	s_cbranch_vccnz .LBB25_821
; %bb.812:
	s_wait_xcnt 0x0
	v_cvt_f32_f16_e32 v4, v1
	s_mov_b32 s26, exec_lo
                                        ; implicit-def: $vgpr5
	s_delay_alu instid0(VALU_DEP_1) | instskip(NEXT) | instid1(VALU_DEP_1)
	v_and_b32_e32 v6, 0x7fffffff, v4
	v_cmpx_gt_u32_e32 0x47800000, v6
	s_xor_b32 s26, exec_lo, s26
	s_cbranch_execz .LBB25_818
; %bb.813:
	s_mov_b32 s27, exec_lo
                                        ; implicit-def: $vgpr5
	v_cmpx_lt_u32_e32 0x387fffff, v6
	s_xor_b32 s27, exec_lo, s27
; %bb.814:
	v_bfe_u32 v5, v4, 21, 1
	s_delay_alu instid0(VALU_DEP_1) | instskip(NEXT) | instid1(VALU_DEP_1)
	v_add3_u32 v5, v4, v5, 0x80fffff
	v_lshrrev_b32_e32 v5, 21, v5
; %bb.815:
	s_and_not1_saveexec_b32 s27, s27
; %bb.816:
	v_add_f32_e64 v5, 0x43000000, |v4|
; %bb.817:
	s_or_b32 exec_lo, exec_lo, s27
                                        ; implicit-def: $vgpr6
.LBB25_818:
	s_and_not1_saveexec_b32 s26, s26
; %bb.819:
	v_mov_b32_e32 v5, 0x7f
	v_cmp_lt_u32_e32 vcc_lo, 0x7f800000, v6
	s_delay_alu instid0(VALU_DEP_2)
	v_cndmask_b32_e32 v5, 0x7c, v5, vcc_lo
; %bb.820:
	s_or_b32 exec_lo, exec_lo, s26
	v_lshrrev_b32_e32 v4, 24, v4
	s_delay_alu instid0(VALU_DEP_1)
	v_and_or_b32 v4, 0x80, v4, v5
	global_store_b8 v[2:3], v4, off
.LBB25_821:
	s_mov_b32 s27, 0
	s_mov_b32 s26, -1
.LBB25_822:
	s_and_not1_b32 vcc_lo, exec_lo, s27
	s_cbranch_vccnz .LBB25_830
; %bb.823:
	s_cmp_gt_i32 s25, 14
	s_mov_b32 s27, -1
	s_cbranch_scc0 .LBB25_827
; %bb.824:
	s_cmp_eq_u32 s25, 15
	s_mov_b32 s0, -1
	s_cbranch_scc0 .LBB25_826
; %bb.825:
	s_wait_xcnt 0x0
	v_cvt_f32_f16_e32 v4, v1
	v_cmp_o_f16_e32 vcc_lo, v1, v1
	s_mov_b32 s26, -1
	s_mov_b32 s0, 0
	s_delay_alu instid0(VALU_DEP_2) | instskip(NEXT) | instid1(VALU_DEP_1)
	v_bfe_u32 v5, v4, 16, 1
	v_add3_u32 v4, v4, v5, 0x7fff
	s_delay_alu instid0(VALU_DEP_1) | instskip(NEXT) | instid1(VALU_DEP_1)
	v_lshrrev_b32_e32 v4, 16, v4
	v_cndmask_b32_e32 v4, 0x7fc0, v4, vcc_lo
	global_store_b16 v[2:3], v4, off
.LBB25_826:
	s_mov_b32 s27, 0
.LBB25_827:
	s_delay_alu instid0(SALU_CYCLE_1)
	s_and_b32 vcc_lo, exec_lo, s27
	s_cbranch_vccz .LBB25_830
; %bb.828:
	s_cmp_eq_u32 s25, 11
	s_mov_b32 s0, -1
	s_cbranch_scc0 .LBB25_830
; %bb.829:
	v_cmp_neq_f16_e32 vcc_lo, 0, v1
	s_mov_b32 s0, 0
	s_mov_b32 s26, -1
	s_wait_xcnt 0x0
	v_cndmask_b32_e64 v4, 0, 1, vcc_lo
	global_store_b8 v[2:3], v4, off
.LBB25_830:
.LBB25_831:
	s_and_not1_b32 vcc_lo, exec_lo, s26
	s_cbranch_vccnz .LBB25_756
.LBB25_832:
	v_add_nc_u32_e32 v0, 0x80, v0
	s_mov_b32 s1, -1
.LBB25_833:
	s_and_not1_b32 s25, s42, exec_lo
	s_and_b32 s0, s0, exec_lo
	s_and_not1_b32 s26, s41, exec_lo
	s_and_b32 s24, s24, exec_lo
	s_or_b32 s27, s25, s0
	s_or_b32 s26, s26, s24
	s_or_not1_b32 s25, s1, exec_lo
.LBB25_834:
	s_wait_xcnt 0x0
	s_or_b32 exec_lo, exec_lo, s44
	s_mov_b32 s0, 0
	s_mov_b32 s1, 0
	;; [unrolled: 1-line block ×3, first 2 shown]
                                        ; implicit-def: $vgpr4_vgpr5
                                        ; implicit-def: $vgpr2
                                        ; implicit-def: $vgpr6
	s_and_saveexec_b32 s44, s25
	s_cbranch_execz .LBB25_936
; %bb.835:
	v_cmp_gt_i32_e32 vcc_lo, s36, v0
	s_mov_b32 s45, s26
	s_mov_b32 s25, 0
                                        ; implicit-def: $vgpr4_vgpr5
                                        ; implicit-def: $vgpr2
                                        ; implicit-def: $vgpr6
	s_and_saveexec_b32 s36, vcc_lo
	s_cbranch_execz .LBB25_935
; %bb.836:
	s_and_not1_b32 vcc_lo, exec_lo, s31
	s_cbranch_vccnz .LBB25_842
; %bb.837:
	s_and_not1_b32 vcc_lo, exec_lo, s38
	s_cbranch_vccnz .LBB25_843
; %bb.838:
	s_add_co_i32 s37, s37, 1
	s_cmp_eq_u32 s29, 2
	s_cbranch_scc1 .LBB25_844
; %bb.839:
	v_dual_mov_b32 v2, 0 :: v_dual_mov_b32 v4, 0
	s_wait_loadcnt 0x0
	v_mov_b32_e32 v1, v0
	s_and_b32 s0, s37, 28
	s_mov_b64 s[24:25], s[2:3]
.LBB25_840:                             ; =>This Inner Loop Header: Depth=1
	s_clause 0x1
	s_load_b256 s[48:55], s[24:25], 0x4
	s_load_b128 s[64:67], s[24:25], 0x24
	s_load_b256 s[56:63], s[22:23], 0x0
	s_add_co_i32 s1, s1, 4
	s_wait_xcnt 0x0
	s_add_nc_u64 s[24:25], s[24:25], 48
	s_cmp_eq_u32 s0, s1
	s_add_nc_u64 s[22:23], s[22:23], 32
	s_wait_kmcnt 0x0
	v_mul_hi_u32 v3, s49, v1
	s_delay_alu instid0(VALU_DEP_1) | instskip(NEXT) | instid1(VALU_DEP_1)
	v_add_nc_u32_e32 v3, v1, v3
	v_lshrrev_b32_e32 v3, s50, v3
	s_delay_alu instid0(VALU_DEP_1) | instskip(NEXT) | instid1(VALU_DEP_1)
	v_mul_hi_u32 v5, s52, v3
	v_add_nc_u32_e32 v5, v3, v5
	s_delay_alu instid0(VALU_DEP_1) | instskip(NEXT) | instid1(VALU_DEP_1)
	v_lshrrev_b32_e32 v5, s53, v5
	v_mul_hi_u32 v6, s55, v5
	s_delay_alu instid0(VALU_DEP_1) | instskip(SKIP_1) | instid1(VALU_DEP_1)
	v_add_nc_u32_e32 v6, v5, v6
	v_mul_lo_u32 v7, v3, s48
	v_sub_nc_u32_e32 v1, v1, v7
	v_mul_lo_u32 v7, v5, s51
	s_delay_alu instid0(VALU_DEP_4) | instskip(NEXT) | instid1(VALU_DEP_3)
	v_lshrrev_b32_e32 v6, s64, v6
	v_mad_u32 v4, v1, s57, v4
	v_mad_u32 v1, v1, s56, v2
	s_delay_alu instid0(VALU_DEP_4) | instskip(NEXT) | instid1(VALU_DEP_4)
	v_sub_nc_u32_e32 v2, v3, v7
	v_mul_hi_u32 v8, s66, v6
	v_mul_lo_u32 v3, v6, s54
	s_delay_alu instid0(VALU_DEP_3) | instskip(SKIP_1) | instid1(VALU_DEP_3)
	v_mad_u32 v4, v2, s59, v4
	v_mad_u32 v2, v2, s58, v1
	v_dual_add_nc_u32 v7, v6, v8 :: v_dual_sub_nc_u32 v3, v5, v3
	s_delay_alu instid0(VALU_DEP_1) | instskip(NEXT) | instid1(VALU_DEP_2)
	v_lshrrev_b32_e32 v1, s67, v7
	v_mad_u32 v4, v3, s61, v4
	s_delay_alu instid0(VALU_DEP_4) | instskip(NEXT) | instid1(VALU_DEP_3)
	v_mad_u32 v2, v3, s60, v2
	v_mul_lo_u32 v5, v1, s65
	s_delay_alu instid0(VALU_DEP_1) | instskip(NEXT) | instid1(VALU_DEP_1)
	v_sub_nc_u32_e32 v3, v6, v5
	v_mad_u32 v4, v3, s63, v4
	s_delay_alu instid0(VALU_DEP_4)
	v_mad_u32 v2, v3, s62, v2
	s_cbranch_scc0 .LBB25_840
; %bb.841:
	s_delay_alu instid0(VALU_DEP_2)
	v_mov_b32_e32 v3, v4
	s_branch .LBB25_845
.LBB25_842:
	s_mov_b32 s0, -1
                                        ; implicit-def: $vgpr4
                                        ; implicit-def: $vgpr2
	s_branch .LBB25_850
.LBB25_843:
	v_dual_mov_b32 v4, 0 :: v_dual_mov_b32 v2, 0
	s_branch .LBB25_849
.LBB25_844:
	v_mov_b64_e32 v[2:3], 0
	s_wait_loadcnt 0x0
	v_mov_b32_e32 v1, v0
                                        ; implicit-def: $vgpr4
.LBB25_845:
	s_and_b32 s24, s37, 3
	s_mov_b32 s1, 0
	s_cmp_eq_u32 s24, 0
	s_cbranch_scc1 .LBB25_849
; %bb.846:
	s_lshl_b32 s22, s0, 3
	s_mov_b32 s23, s1
	s_mul_u64 s[46:47], s[0:1], 12
	s_add_nc_u64 s[22:23], s[2:3], s[22:23]
	s_delay_alu instid0(SALU_CYCLE_1)
	s_add_nc_u64 s[0:1], s[22:23], 0xc4
	s_add_nc_u64 s[22:23], s[2:3], s[46:47]
.LBB25_847:                             ; =>This Inner Loop Header: Depth=1
	s_load_b96 s[48:50], s[22:23], 0x4
	s_load_b64 s[46:47], s[0:1], 0x0
	s_add_co_i32 s24, s24, -1
	s_wait_xcnt 0x0
	s_add_nc_u64 s[22:23], s[22:23], 12
	s_cmp_lg_u32 s24, 0
	s_add_nc_u64 s[0:1], s[0:1], 8
	s_wait_kmcnt 0x0
	v_mul_hi_u32 v4, s49, v1
	s_delay_alu instid0(VALU_DEP_1) | instskip(NEXT) | instid1(VALU_DEP_1)
	v_add_nc_u32_e32 v4, v1, v4
	v_lshrrev_b32_e32 v4, s50, v4
	s_delay_alu instid0(VALU_DEP_1) | instskip(NEXT) | instid1(VALU_DEP_1)
	v_mul_lo_u32 v5, v4, s48
	v_sub_nc_u32_e32 v1, v1, v5
	s_delay_alu instid0(VALU_DEP_1)
	v_mad_u32 v3, v1, s47, v3
	v_mad_u32 v2, v1, s46, v2
	v_mov_b32_e32 v1, v4
	s_cbranch_scc1 .LBB25_847
; %bb.848:
	s_delay_alu instid0(VALU_DEP_3)
	v_mov_b32_e32 v4, v3
.LBB25_849:
	s_mov_b32 s0, 0
.LBB25_850:
	s_delay_alu instid0(SALU_CYCLE_1)
	s_and_not1_b32 vcc_lo, exec_lo, s0
	s_cbranch_vccnz .LBB25_853
; %bb.851:
	s_wait_loadcnt 0x0
	v_mov_b32_e32 v1, 0
	s_and_not1_b32 vcc_lo, exec_lo, s35
	s_delay_alu instid0(VALU_DEP_1) | instskip(NEXT) | instid1(VALU_DEP_1)
	v_mul_u64_e32 v[2:3], s[16:17], v[0:1]
	v_add_nc_u32_e32 v2, v0, v3
	s_delay_alu instid0(VALU_DEP_1) | instskip(NEXT) | instid1(VALU_DEP_1)
	v_lshrrev_b32_e32 v6, s14, v2
	v_mul_lo_u32 v2, v6, s12
	s_delay_alu instid0(VALU_DEP_1) | instskip(NEXT) | instid1(VALU_DEP_1)
	v_sub_nc_u32_e32 v0, v0, v2
	v_mul_lo_u32 v4, v0, s9
	v_mul_lo_u32 v2, v0, s8
	s_cbranch_vccnz .LBB25_853
; %bb.852:
	v_mov_b32_e32 v7, v1
	s_delay_alu instid0(VALU_DEP_1) | instskip(NEXT) | instid1(VALU_DEP_1)
	v_mul_u64_e32 v[0:1], s[20:21], v[6:7]
	v_add_nc_u32_e32 v0, v6, v1
	s_delay_alu instid0(VALU_DEP_1) | instskip(NEXT) | instid1(VALU_DEP_1)
	v_lshrrev_b32_e32 v0, s19, v0
	v_mul_lo_u32 v0, v0, s15
	s_delay_alu instid0(VALU_DEP_1) | instskip(NEXT) | instid1(VALU_DEP_1)
	v_sub_nc_u32_e32 v0, v6, v0
	v_mad_u32 v2, v0, s10, v2
	v_mad_u32 v4, v0, s11, v4
.LBB25_853:
	v_mov_b32_e32 v5, 0
	s_and_b32 s0, 0xffff, s13
	s_delay_alu instid0(SALU_CYCLE_1) | instskip(NEXT) | instid1(VALU_DEP_1)
	s_cmp_lt_i32 s0, 11
	v_add_nc_u64_e32 v[4:5], s[6:7], v[4:5]
	s_cbranch_scc1 .LBB25_860
; %bb.854:
	s_cmp_gt_i32 s0, 25
	s_mov_b32 s6, 0
	s_cbranch_scc0 .LBB25_861
; %bb.855:
	s_cmp_gt_i32 s0, 28
	s_cbranch_scc0 .LBB25_862
; %bb.856:
	s_cmp_gt_i32 s0, 43
	;; [unrolled: 3-line block ×3, first 2 shown]
	s_cbranch_scc0 .LBB25_866
; %bb.858:
	s_cmp_eq_u32 s0, 46
	s_mov_b32 s8, 0
	s_cbranch_scc0 .LBB25_869
; %bb.859:
	global_load_b32 v0, v[4:5], off
	s_mov_b32 s1, 0
	s_mov_b32 s7, -1
	s_wait_loadcnt 0x0
	v_lshlrev_b32_e32 v0, 16, v0
	s_delay_alu instid0(VALU_DEP_1)
	v_cvt_f16_f32_e32 v6, v0
	s_branch .LBB25_871
.LBB25_860:
	s_mov_b32 s0, -1
	s_mov_b32 s7, 0
	s_mov_b32 s6, 0
	;; [unrolled: 1-line block ×3, first 2 shown]
                                        ; implicit-def: $vgpr6
	s_branch .LBB25_934
.LBB25_861:
	s_mov_b32 s8, -1
	s_mov_b32 s7, 0
	s_mov_b32 s1, s26
                                        ; implicit-def: $vgpr6
	s_branch .LBB25_900
.LBB25_862:
	s_mov_b32 s8, -1
	s_mov_b32 s7, 0
	s_mov_b32 s1, s26
                                        ; implicit-def: $vgpr6
	s_branch .LBB25_881
.LBB25_863:
	s_mov_b32 s8, -1
	s_mov_b32 s7, 0
	s_mov_b32 s1, s26
                                        ; implicit-def: $vgpr6
	s_branch .LBB25_876
.LBB25_864:
	s_and_not1_saveexec_b32 s45, s45
	s_cbranch_execz .LBB25_783
.LBB25_865:
	v_add_f32_e64 v5, 0x46000000, |v4|
	s_and_not1_b32 s27, s27, exec_lo
	s_delay_alu instid0(VALU_DEP_1) | instskip(NEXT) | instid1(VALU_DEP_1)
	v_and_b32_e32 v5, 0xff, v5
	v_cmp_ne_u32_e32 vcc_lo, 0, v5
	s_and_b32 s46, vcc_lo, exec_lo
	s_delay_alu instid0(SALU_CYCLE_1)
	s_or_b32 s27, s27, s46
	s_or_b32 exec_lo, exec_lo, s45
	v_mov_b32_e32 v6, 0
	s_and_saveexec_b32 s45, s27
	s_cbranch_execnz .LBB25_784
	s_branch .LBB25_785
.LBB25_866:
	s_mov_b32 s8, -1
	s_mov_b32 s7, 0
	s_mov_b32 s1, s26
	s_branch .LBB25_870
.LBB25_867:
	s_and_not1_saveexec_b32 s45, s45
	s_cbranch_execz .LBB25_796
.LBB25_868:
	v_add_f32_e64 v5, 0x42800000, |v4|
	s_and_not1_b32 s27, s27, exec_lo
	s_delay_alu instid0(VALU_DEP_1) | instskip(NEXT) | instid1(VALU_DEP_1)
	v_and_b32_e32 v5, 0xff, v5
	v_cmp_ne_u32_e32 vcc_lo, 0, v5
	s_and_b32 s46, vcc_lo, exec_lo
	s_delay_alu instid0(SALU_CYCLE_1)
	s_or_b32 s27, s27, s46
	s_or_b32 exec_lo, exec_lo, s45
	v_mov_b32_e32 v6, 0
	s_and_saveexec_b32 s45, s27
	s_cbranch_execnz .LBB25_797
	s_branch .LBB25_798
.LBB25_869:
	s_mov_b32 s1, -1
	s_mov_b32 s7, 0
.LBB25_870:
                                        ; implicit-def: $vgpr6
.LBB25_871:
	s_and_b32 vcc_lo, exec_lo, s8
	s_cbranch_vccz .LBB25_875
; %bb.872:
	s_cmp_eq_u32 s0, 44
	s_cbranch_scc0 .LBB25_874
; %bb.873:
	global_load_u8 v0, v[4:5], off
	s_mov_b32 s1, 0
	s_mov_b32 s7, -1
	s_wait_loadcnt 0x0
	v_lshlrev_b32_e32 v1, 23, v0
	v_cmp_ne_u32_e32 vcc_lo, 0xff, v0
	s_delay_alu instid0(VALU_DEP_2) | instskip(NEXT) | instid1(VALU_DEP_1)
	v_cvt_f16_f32_e32 v1, v1
	v_cndmask_b32_e32 v1, 0x7e00, v1, vcc_lo
	v_cmp_ne_u32_e32 vcc_lo, 0, v0
	s_delay_alu instid0(VALU_DEP_2)
	v_cndmask_b32_e32 v6, 0, v1, vcc_lo
	s_branch .LBB25_875
.LBB25_874:
	s_mov_b32 s1, -1
                                        ; implicit-def: $vgpr6
.LBB25_875:
	s_mov_b32 s8, 0
.LBB25_876:
	s_delay_alu instid0(SALU_CYCLE_1)
	s_and_b32 vcc_lo, exec_lo, s8
	s_cbranch_vccz .LBB25_880
; %bb.877:
	s_cmp_eq_u32 s0, 29
	s_cbranch_scc0 .LBB25_879
; %bb.878:
	s_wait_loadcnt 0x0
	global_load_b64 v[0:1], v[4:5], off
	s_mov_b32 s1, 0
	s_mov_b32 s7, -1
	s_mov_b32 s8, 0
	s_wait_loadcnt 0x0
	v_clz_i32_u32_e32 v3, v1
	s_delay_alu instid0(VALU_DEP_1) | instskip(NEXT) | instid1(VALU_DEP_1)
	v_min_u32_e32 v3, 32, v3
	v_lshlrev_b64_e32 v[0:1], v3, v[0:1]
	s_delay_alu instid0(VALU_DEP_1) | instskip(NEXT) | instid1(VALU_DEP_1)
	v_min_u32_e32 v0, 1, v0
	v_dual_sub_nc_u32 v1, 32, v3 :: v_dual_bitop2_b32 v0, v1, v0 bitop3:0x54
	s_delay_alu instid0(VALU_DEP_1) | instskip(NEXT) | instid1(VALU_DEP_1)
	v_cvt_f32_u32_e32 v0, v0
	v_ldexp_f32 v0, v0, v1
	s_delay_alu instid0(VALU_DEP_1)
	v_cvt_f16_f32_e32 v6, v0
	s_branch .LBB25_881
.LBB25_879:
	s_mov_b32 s1, -1
                                        ; implicit-def: $vgpr6
.LBB25_880:
	s_mov_b32 s8, 0
.LBB25_881:
	s_delay_alu instid0(SALU_CYCLE_1)
	s_and_b32 vcc_lo, exec_lo, s8
	s_cbranch_vccz .LBB25_899
; %bb.882:
	s_cmp_lt_i32 s0, 27
	s_cbranch_scc1 .LBB25_885
; %bb.883:
	s_cmp_gt_i32 s0, 27
	s_cbranch_scc0 .LBB25_886
; %bb.884:
	global_load_b32 v0, v[4:5], off
	s_mov_b32 s7, 0
	s_wait_loadcnt 0x0
	v_cvt_f32_u32_e32 v0, v0
	s_delay_alu instid0(VALU_DEP_1)
	v_cvt_f16_f32_e32 v6, v0
	s_branch .LBB25_887
.LBB25_885:
	s_mov_b32 s7, -1
                                        ; implicit-def: $vgpr6
	s_branch .LBB25_890
.LBB25_886:
	s_mov_b32 s7, -1
                                        ; implicit-def: $vgpr6
.LBB25_887:
	s_delay_alu instid0(SALU_CYCLE_1)
	s_and_not1_b32 vcc_lo, exec_lo, s7
	s_cbranch_vccnz .LBB25_889
; %bb.888:
	global_load_u16 v0, v[4:5], off
	s_wait_loadcnt 0x0
	v_cvt_f16_u16_e32 v6, v0
.LBB25_889:
	s_mov_b32 s7, 0
.LBB25_890:
	s_delay_alu instid0(SALU_CYCLE_1)
	s_and_not1_b32 vcc_lo, exec_lo, s7
	s_cbranch_vccnz .LBB25_898
; %bb.891:
	global_load_u8 v0, v[4:5], off
	s_mov_b32 s7, 0
	s_mov_b32 s8, exec_lo
	s_wait_loadcnt 0x0
	v_cmpx_lt_i16_e32 0x7f, v0
	s_xor_b32 s8, exec_lo, s8
	s_cbranch_execz .LBB25_912
; %bb.892:
	s_mov_b32 s7, -1
	s_mov_b32 s9, exec_lo
	v_cmpx_eq_u16_e32 0x80, v0
; %bb.893:
	s_xor_b32 s7, exec_lo, -1
; %bb.894:
	s_or_b32 exec_lo, exec_lo, s9
	s_delay_alu instid0(SALU_CYCLE_1)
	s_and_b32 s7, s7, exec_lo
	s_or_saveexec_b32 s8, s8
	v_mov_b32_e32 v6, 0x7e00
	s_xor_b32 exec_lo, exec_lo, s8
	s_cbranch_execnz .LBB25_913
.LBB25_895:
	s_or_b32 exec_lo, exec_lo, s8
	s_and_saveexec_b32 s8, s7
	s_cbranch_execz .LBB25_897
.LBB25_896:
	v_and_b32_e32 v1, 0xffff, v0
	s_delay_alu instid0(VALU_DEP_1) | instskip(SKIP_1) | instid1(VALU_DEP_2)
	v_and_b32_e32 v3, 7, v1
	v_bfe_u32 v8, v1, 3, 4
	v_clz_i32_u32_e32 v6, v3
	s_delay_alu instid0(VALU_DEP_2) | instskip(NEXT) | instid1(VALU_DEP_2)
	v_cmp_eq_u32_e32 vcc_lo, 0, v8
	v_min_u32_e32 v6, 32, v6
	s_delay_alu instid0(VALU_DEP_1) | instskip(NEXT) | instid1(VALU_DEP_1)
	v_subrev_nc_u32_e32 v7, 28, v6
	v_dual_lshlrev_b32 v1, v7, v1 :: v_dual_sub_nc_u32 v6, 29, v6
	s_delay_alu instid0(VALU_DEP_1) | instskip(NEXT) | instid1(VALU_DEP_1)
	v_dual_lshlrev_b32 v0, 24, v0 :: v_dual_bitop2_b32 v1, 7, v1 bitop3:0x40
	v_dual_cndmask_b32 v6, v8, v6 :: v_dual_cndmask_b32 v1, v3, v1
	s_delay_alu instid0(VALU_DEP_2) | instskip(NEXT) | instid1(VALU_DEP_2)
	v_and_b32_e32 v0, 0x80000000, v0
	v_lshl_add_u32 v3, v6, 23, 0x3b800000
	s_delay_alu instid0(VALU_DEP_3) | instskip(NEXT) | instid1(VALU_DEP_1)
	v_lshlrev_b32_e32 v1, 20, v1
	v_or3_b32 v0, v0, v3, v1
	s_delay_alu instid0(VALU_DEP_1)
	v_cvt_f16_f32_e32 v6, v0
.LBB25_897:
	s_or_b32 exec_lo, exec_lo, s8
.LBB25_898:
	s_mov_b32 s7, -1
.LBB25_899:
	s_mov_b32 s8, 0
.LBB25_900:
	s_delay_alu instid0(SALU_CYCLE_1)
	s_and_b32 vcc_lo, exec_lo, s8
	s_cbranch_vccz .LBB25_933
; %bb.901:
	s_cmp_gt_i32 s0, 22
	s_cbranch_scc0 .LBB25_911
; %bb.902:
	s_cmp_lt_i32 s0, 24
	s_cbranch_scc1 .LBB25_914
; %bb.903:
	s_cmp_gt_i32 s0, 24
	s_cbranch_scc0 .LBB25_915
; %bb.904:
	global_load_u8 v0, v[4:5], off
	s_mov_b32 s7, exec_lo
	s_wait_loadcnt 0x0
	v_cmpx_lt_i16_e32 0x7f, v0
	s_xor_b32 s7, exec_lo, s7
	s_cbranch_execz .LBB25_927
; %bb.905:
	s_mov_b32 s6, -1
	s_mov_b32 s8, exec_lo
	v_cmpx_eq_u16_e32 0x80, v0
; %bb.906:
	s_xor_b32 s6, exec_lo, -1
; %bb.907:
	s_or_b32 exec_lo, exec_lo, s8
	s_delay_alu instid0(SALU_CYCLE_1)
	s_and_b32 s6, s6, exec_lo
	s_or_saveexec_b32 s7, s7
	v_mov_b32_e32 v6, 0x7e00
	s_xor_b32 exec_lo, exec_lo, s7
	s_cbranch_execnz .LBB25_928
.LBB25_908:
	s_or_b32 exec_lo, exec_lo, s7
	s_and_saveexec_b32 s7, s6
	s_cbranch_execz .LBB25_910
.LBB25_909:
	v_and_b32_e32 v1, 0xffff, v0
	s_delay_alu instid0(VALU_DEP_1) | instskip(SKIP_1) | instid1(VALU_DEP_2)
	v_and_b32_e32 v3, 3, v1
	v_bfe_u32 v8, v1, 2, 5
	v_clz_i32_u32_e32 v6, v3
	s_delay_alu instid0(VALU_DEP_2) | instskip(NEXT) | instid1(VALU_DEP_2)
	v_cmp_eq_u32_e32 vcc_lo, 0, v8
	v_min_u32_e32 v6, 32, v6
	s_delay_alu instid0(VALU_DEP_1) | instskip(NEXT) | instid1(VALU_DEP_1)
	v_subrev_nc_u32_e32 v7, 29, v6
	v_dual_lshlrev_b32 v1, v7, v1 :: v_dual_sub_nc_u32 v6, 30, v6
	s_delay_alu instid0(VALU_DEP_1) | instskip(NEXT) | instid1(VALU_DEP_1)
	v_dual_lshlrev_b32 v0, 24, v0 :: v_dual_bitop2_b32 v1, 3, v1 bitop3:0x40
	v_dual_cndmask_b32 v6, v8, v6 :: v_dual_cndmask_b32 v1, v3, v1
	s_delay_alu instid0(VALU_DEP_2) | instskip(NEXT) | instid1(VALU_DEP_2)
	v_and_b32_e32 v0, 0x80000000, v0
	v_lshl_add_u32 v3, v6, 23, 0x37800000
	s_delay_alu instid0(VALU_DEP_3) | instskip(NEXT) | instid1(VALU_DEP_1)
	v_lshlrev_b32_e32 v1, 21, v1
	v_or3_b32 v0, v0, v3, v1
	s_delay_alu instid0(VALU_DEP_1)
	v_cvt_f16_f32_e32 v6, v0
.LBB25_910:
	s_or_b32 exec_lo, exec_lo, s7
	s_mov_b32 s6, 0
	s_branch .LBB25_916
.LBB25_911:
	s_mov_b32 s6, -1
                                        ; implicit-def: $vgpr6
	s_branch .LBB25_922
.LBB25_912:
	s_or_saveexec_b32 s8, s8
	v_mov_b32_e32 v6, 0x7e00
	s_xor_b32 exec_lo, exec_lo, s8
	s_cbranch_execz .LBB25_895
.LBB25_913:
	v_cmp_ne_u16_e32 vcc_lo, 0, v0
	v_mov_b32_e32 v6, v0
	s_and_not1_b32 s7, s7, exec_lo
	s_and_b32 s9, vcc_lo, exec_lo
	s_delay_alu instid0(SALU_CYCLE_1)
	s_or_b32 s7, s7, s9
	s_or_b32 exec_lo, exec_lo, s8
	s_and_saveexec_b32 s8, s7
	s_cbranch_execnz .LBB25_896
	s_branch .LBB25_897
.LBB25_914:
	s_mov_b32 s6, -1
                                        ; implicit-def: $vgpr6
	s_branch .LBB25_919
.LBB25_915:
	s_mov_b32 s6, -1
                                        ; implicit-def: $vgpr6
.LBB25_916:
	s_delay_alu instid0(SALU_CYCLE_1)
	s_and_b32 vcc_lo, exec_lo, s6
	s_cbranch_vccz .LBB25_918
; %bb.917:
	global_load_u8 v0, v[4:5], off
	s_wait_loadcnt 0x0
	v_lshlrev_b32_e32 v0, 24, v0
	s_delay_alu instid0(VALU_DEP_1) | instskip(NEXT) | instid1(VALU_DEP_1)
	v_and_b32_e32 v1, 0x7f000000, v0
	v_clz_i32_u32_e32 v3, v1
	v_add_nc_u32_e32 v7, 0x1000000, v1
	v_cmp_ne_u32_e32 vcc_lo, 0, v1
	s_delay_alu instid0(VALU_DEP_3) | instskip(NEXT) | instid1(VALU_DEP_1)
	v_min_u32_e32 v3, 32, v3
	v_sub_nc_u32_e64 v3, v3, 4 clamp
	s_delay_alu instid0(VALU_DEP_1) | instskip(NEXT) | instid1(VALU_DEP_1)
	v_dual_lshlrev_b32 v6, v3, v1 :: v_dual_lshlrev_b32 v3, 23, v3
	v_lshrrev_b32_e32 v6, 4, v6
	s_delay_alu instid0(VALU_DEP_1) | instskip(SKIP_1) | instid1(VALU_DEP_2)
	v_sub_nc_u32_e32 v3, v6, v3
	v_ashrrev_i32_e32 v6, 8, v7
	v_add_nc_u32_e32 v3, 0x3c000000, v3
	s_delay_alu instid0(VALU_DEP_1) | instskip(NEXT) | instid1(VALU_DEP_1)
	v_and_or_b32 v3, 0x7f800000, v6, v3
	v_cndmask_b32_e32 v1, 0, v3, vcc_lo
	s_delay_alu instid0(VALU_DEP_1) | instskip(NEXT) | instid1(VALU_DEP_1)
	v_and_or_b32 v0, 0x80000000, v0, v1
	v_cvt_f16_f32_e32 v6, v0
.LBB25_918:
	s_mov_b32 s6, 0
.LBB25_919:
	s_delay_alu instid0(SALU_CYCLE_1)
	s_and_not1_b32 vcc_lo, exec_lo, s6
	s_cbranch_vccnz .LBB25_921
; %bb.920:
	global_load_u8 v0, v[4:5], off
	s_wait_loadcnt 0x0
	v_lshlrev_b32_e32 v1, 25, v0
	v_lshlrev_b16 v0, 8, v0
	s_delay_alu instid0(VALU_DEP_1) | instskip(SKIP_1) | instid1(VALU_DEP_2)
	v_and_or_b32 v6, 0x7f00, v0, 0.5
	v_bfe_i32 v0, v0, 0, 16
	v_dual_add_f32 v6, -0.5, v6 :: v_dual_lshrrev_b32 v3, 4, v1
	v_cmp_gt_u32_e32 vcc_lo, 0x8000000, v1
	s_delay_alu instid0(VALU_DEP_2) | instskip(NEXT) | instid1(VALU_DEP_1)
	v_or_b32_e32 v3, 0x70000000, v3
	v_mul_f32_e32 v3, 0x7800000, v3
	s_delay_alu instid0(VALU_DEP_1) | instskip(NEXT) | instid1(VALU_DEP_1)
	v_cndmask_b32_e32 v1, v3, v6, vcc_lo
	v_and_or_b32 v0, 0x80000000, v0, v1
	s_delay_alu instid0(VALU_DEP_1)
	v_cvt_f16_f32_e32 v6, v0
.LBB25_921:
	s_mov_b32 s6, 0
	s_mov_b32 s7, -1
.LBB25_922:
	s_and_not1_b32 vcc_lo, exec_lo, s6
	s_mov_b32 s6, 0
	s_cbranch_vccnz .LBB25_933
; %bb.923:
	s_cmp_gt_i32 s0, 14
	s_cbranch_scc0 .LBB25_926
; %bb.924:
	s_cmp_eq_u32 s0, 15
	s_cbranch_scc0 .LBB25_929
; %bb.925:
	global_load_u16 v0, v[4:5], off
	s_mov_b32 s1, 0
	s_mov_b32 s7, -1
	s_wait_loadcnt 0x0
	v_lshlrev_b32_e32 v0, 16, v0
	s_delay_alu instid0(VALU_DEP_1)
	v_cvt_f16_f32_e32 v6, v0
	s_branch .LBB25_931
.LBB25_926:
	s_mov_b32 s6, -1
	s_branch .LBB25_930
.LBB25_927:
	s_or_saveexec_b32 s7, s7
	v_mov_b32_e32 v6, 0x7e00
	s_xor_b32 exec_lo, exec_lo, s7
	s_cbranch_execz .LBB25_908
.LBB25_928:
	v_cmp_ne_u16_e32 vcc_lo, 0, v0
	v_mov_b32_e32 v6, v0
	s_and_not1_b32 s6, s6, exec_lo
	s_and_b32 s8, vcc_lo, exec_lo
	s_delay_alu instid0(SALU_CYCLE_1)
	s_or_b32 s6, s6, s8
	s_or_b32 exec_lo, exec_lo, s7
	s_and_saveexec_b32 s7, s6
	s_cbranch_execnz .LBB25_909
	s_branch .LBB25_910
.LBB25_929:
	s_mov_b32 s1, -1
.LBB25_930:
                                        ; implicit-def: $vgpr6
.LBB25_931:
	s_and_b32 vcc_lo, exec_lo, s6
	s_mov_b32 s6, 0
	s_cbranch_vccz .LBB25_933
; %bb.932:
	s_cmp_lg_u32 s0, 11
	s_mov_b32 s6, -1
	s_cselect_b32 s0, -1, 0
	s_and_not1_b32 s1, s1, exec_lo
	s_and_b32 s0, s0, exec_lo
	s_delay_alu instid0(SALU_CYCLE_1)
	s_or_b32 s1, s1, s0
.LBB25_933:
	s_mov_b32 s0, 0
.LBB25_934:
	s_and_b32 s24, s7, exec_lo
	s_and_not1_b32 s7, s26, exec_lo
	s_and_b32 s1, s1, exec_lo
	s_and_b32 s25, s0, exec_lo
	;; [unrolled: 1-line block ×3, first 2 shown]
	s_or_b32 s45, s7, s1
.LBB25_935:
	s_wait_xcnt 0x0
	s_or_b32 exec_lo, exec_lo, s36
	s_delay_alu instid0(SALU_CYCLE_1)
	s_and_not1_b32 s6, s26, exec_lo
	s_and_b32 s7, s45, exec_lo
	s_and_b32 s24, s24, exec_lo
	;; [unrolled: 1-line block ×4, first 2 shown]
	s_or_b32 s26, s6, s7
.LBB25_936:
	s_or_b32 exec_lo, exec_lo, s44
	s_delay_alu instid0(SALU_CYCLE_1)
	s_and_not1_b32 s6, s42, exec_lo
	s_and_b32 s7, s27, exec_lo
	s_and_b32 s25, s24, exec_lo
	s_or_b32 s42, s6, s7
	s_and_not1_b32 s6, s41, exec_lo
	s_and_b32 s7, s26, exec_lo
	s_and_b32 s24, s1, exec_lo
	;; [unrolled: 1-line block ×3, first 2 shown]
	s_or_b32 s41, s6, s7
.LBB25_937:
	s_or_b32 exec_lo, exec_lo, s43
	s_delay_alu instid0(SALU_CYCLE_1)
	s_and_not1_b32 s0, s18, exec_lo
	s_and_b32 s6, s42, exec_lo
	s_and_b32 s7, s41, exec_lo
	s_or_b32 s18, s0, s6
	s_and_not1_b32 s6, s39, exec_lo
	s_and_b32 s0, s25, exec_lo
	s_and_b32 s25, s24, exec_lo
	;; [unrolled: 1-line block ×3, first 2 shown]
	s_or_b32 s39, s6, s7
	s_or_b32 exec_lo, exec_lo, s40
	s_mov_b32 s6, 0
	s_and_saveexec_b32 s1, s39
	s_cbranch_execz .LBB25_280
.LBB25_938:
	s_mov_b32 s6, exec_lo
	s_and_not1_b32 s17, s17, exec_lo
	s_trap 2
	s_or_b32 exec_lo, exec_lo, s1
	s_and_saveexec_b32 s1, s17
	s_delay_alu instid0(SALU_CYCLE_1)
	s_xor_b32 s1, exec_lo, s1
	s_cbranch_execnz .LBB25_281
.LBB25_939:
	s_or_b32 exec_lo, exec_lo, s1
	s_and_saveexec_b32 s1, s25
	s_cbranch_execz .LBB25_985
.LBB25_940:
	s_sext_i32_i16 s7, s13
	s_delay_alu instid0(SALU_CYCLE_1)
	s_cmp_lt_i32 s7, 5
	s_cbranch_scc1 .LBB25_945
; %bb.941:
	s_cmp_lt_i32 s7, 8
	s_cbranch_scc1 .LBB25_946
; %bb.942:
	;; [unrolled: 3-line block ×3, first 2 shown]
	s_cmp_gt_i32 s7, 9
	s_cbranch_scc0 .LBB25_948
; %bb.944:
	s_wait_loadcnt 0x0
	global_load_b64 v[0:1], v[4:5], off
	s_mov_b32 s7, 0
	s_wait_loadcnt 0x0
	v_and_or_b32 v0, 0x1ff, v1, v0
	v_lshrrev_b32_e32 v3, 8, v1
	v_bfe_u32 v6, v1, 20, 11
	v_lshrrev_b32_e32 v1, 16, v1
	s_delay_alu instid0(VALU_DEP_4) | instskip(NEXT) | instid1(VALU_DEP_3)
	v_cmp_ne_u32_e32 vcc_lo, 0, v0
	v_sub_nc_u32_e32 v7, 0x3f1, v6
	v_cndmask_b32_e64 v0, 0, 1, vcc_lo
	s_delay_alu instid0(VALU_DEP_1) | instskip(NEXT) | instid1(VALU_DEP_3)
	v_and_or_b32 v0, 0xffe, v3, v0
	v_med3_i32 v3, v7, 0, 13
	s_delay_alu instid0(VALU_DEP_2) | instskip(NEXT) | instid1(VALU_DEP_1)
	v_or_b32_e32 v7, 0x1000, v0
	v_lshrrev_b32_e32 v8, v3, v7
	s_delay_alu instid0(VALU_DEP_1) | instskip(NEXT) | instid1(VALU_DEP_1)
	v_lshlrev_b32_e32 v3, v3, v8
	v_cmp_ne_u32_e32 vcc_lo, v3, v7
	v_cndmask_b32_e64 v3, 0, 1, vcc_lo
	s_delay_alu instid0(VALU_DEP_1) | instskip(SKIP_1) | instid1(VALU_DEP_1)
	v_or_b32_e32 v3, v8, v3
	v_add_nc_u32_e32 v6, 0xfffffc10, v6
	v_lshl_or_b32 v7, v6, 12, v0
	v_cmp_gt_i32_e32 vcc_lo, 1, v6
	s_delay_alu instid0(VALU_DEP_2) | instskip(NEXT) | instid1(VALU_DEP_1)
	v_cndmask_b32_e32 v3, v7, v3, vcc_lo
	v_dual_lshrrev_b32 v3, 2, v3 :: v_dual_bitop2_b32 v7, 7, v3 bitop3:0x40
	s_delay_alu instid0(VALU_DEP_1) | instskip(SKIP_4) | instid1(VALU_DEP_2)
	v_cmp_lt_i32_e32 vcc_lo, 5, v7
	v_cndmask_b32_e64 v8, 0, 1, vcc_lo
	v_cmp_eq_u32_e32 vcc_lo, 3, v7
	v_cndmask_b32_e64 v7, 0, 1, vcc_lo
	v_cmp_ne_u32_e32 vcc_lo, 0, v0
	v_or_b32_e32 v7, v7, v8
	s_delay_alu instid0(VALU_DEP_1) | instskip(NEXT) | instid1(VALU_DEP_1)
	v_dual_mov_b32 v8, 0x7e00 :: v_dual_add_nc_u32 v3, v3, v7
	v_cndmask_b32_e32 v0, 0x7c00, v8, vcc_lo
	v_cmp_gt_i32_e32 vcc_lo, 31, v6
	s_delay_alu instid0(VALU_DEP_3) | instskip(SKIP_1) | instid1(VALU_DEP_2)
	v_cndmask_b32_e32 v3, 0x7c00, v3, vcc_lo
	v_cmp_eq_u32_e32 vcc_lo, 0x40f, v6
	v_cndmask_b32_e32 v0, v3, v0, vcc_lo
	s_delay_alu instid0(VALU_DEP_1)
	v_and_or_b32 v6, 0x8000, v1, v0
	s_branch .LBB25_949
.LBB25_945:
                                        ; implicit-def: $vgpr6
	s_branch .LBB25_966
.LBB25_946:
                                        ; implicit-def: $vgpr6
	s_branch .LBB25_955
.LBB25_947:
	s_mov_b32 s7, -1
                                        ; implicit-def: $vgpr6
	s_branch .LBB25_952
.LBB25_948:
	s_mov_b32 s7, -1
                                        ; implicit-def: $vgpr6
.LBB25_949:
	s_delay_alu instid0(SALU_CYCLE_1)
	s_and_not1_b32 vcc_lo, exec_lo, s7
	s_cbranch_vccnz .LBB25_951
; %bb.950:
	global_load_b32 v0, v[4:5], off
	s_wait_loadcnt 0x0
	v_cvt_f16_f32_e32 v6, v0
.LBB25_951:
	s_mov_b32 s7, 0
.LBB25_952:
	s_delay_alu instid0(SALU_CYCLE_1)
	s_and_not1_b32 vcc_lo, exec_lo, s7
	s_cbranch_vccnz .LBB25_954
; %bb.953:
	global_load_b32 v6, v[4:5], off
.LBB25_954:
	s_cbranch_execnz .LBB25_965
.LBB25_955:
	s_sext_i32_i16 s7, s13
	s_delay_alu instid0(SALU_CYCLE_1)
	s_cmp_lt_i32 s7, 6
	s_cbranch_scc1 .LBB25_958
; %bb.956:
	s_cmp_gt_i32 s7, 6
	s_cbranch_scc0 .LBB25_959
; %bb.957:
	s_wait_loadcnt 0x0
	global_load_b64 v[0:1], v[4:5], off
	s_mov_b32 s7, 0
	s_wait_loadcnt 0x0
	v_and_or_b32 v0, 0x1ff, v1, v0
	v_lshrrev_b32_e32 v3, 8, v1
	v_bfe_u32 v6, v1, 20, 11
	v_lshrrev_b32_e32 v1, 16, v1
	s_delay_alu instid0(VALU_DEP_4) | instskip(NEXT) | instid1(VALU_DEP_3)
	v_cmp_ne_u32_e32 vcc_lo, 0, v0
	v_sub_nc_u32_e32 v7, 0x3f1, v6
	v_cndmask_b32_e64 v0, 0, 1, vcc_lo
	s_delay_alu instid0(VALU_DEP_1) | instskip(NEXT) | instid1(VALU_DEP_3)
	v_and_or_b32 v0, 0xffe, v3, v0
	v_med3_i32 v3, v7, 0, 13
	s_delay_alu instid0(VALU_DEP_2) | instskip(NEXT) | instid1(VALU_DEP_1)
	v_or_b32_e32 v7, 0x1000, v0
	v_lshrrev_b32_e32 v8, v3, v7
	s_delay_alu instid0(VALU_DEP_1) | instskip(NEXT) | instid1(VALU_DEP_1)
	v_lshlrev_b32_e32 v3, v3, v8
	v_cmp_ne_u32_e32 vcc_lo, v3, v7
	v_cndmask_b32_e64 v3, 0, 1, vcc_lo
	s_delay_alu instid0(VALU_DEP_1) | instskip(SKIP_1) | instid1(VALU_DEP_1)
	v_or_b32_e32 v3, v8, v3
	v_add_nc_u32_e32 v6, 0xfffffc10, v6
	v_lshl_or_b32 v7, v6, 12, v0
	v_cmp_gt_i32_e32 vcc_lo, 1, v6
	s_delay_alu instid0(VALU_DEP_2) | instskip(NEXT) | instid1(VALU_DEP_1)
	v_cndmask_b32_e32 v3, v7, v3, vcc_lo
	v_dual_lshrrev_b32 v3, 2, v3 :: v_dual_bitop2_b32 v7, 7, v3 bitop3:0x40
	s_delay_alu instid0(VALU_DEP_1) | instskip(SKIP_4) | instid1(VALU_DEP_2)
	v_cmp_lt_i32_e32 vcc_lo, 5, v7
	v_cndmask_b32_e64 v8, 0, 1, vcc_lo
	v_cmp_eq_u32_e32 vcc_lo, 3, v7
	v_cndmask_b32_e64 v7, 0, 1, vcc_lo
	v_cmp_ne_u32_e32 vcc_lo, 0, v0
	v_or_b32_e32 v7, v7, v8
	s_delay_alu instid0(VALU_DEP_1) | instskip(NEXT) | instid1(VALU_DEP_1)
	v_dual_mov_b32 v8, 0x7e00 :: v_dual_add_nc_u32 v3, v3, v7
	v_cndmask_b32_e32 v0, 0x7c00, v8, vcc_lo
	v_cmp_gt_i32_e32 vcc_lo, 31, v6
	s_delay_alu instid0(VALU_DEP_3) | instskip(SKIP_1) | instid1(VALU_DEP_2)
	v_cndmask_b32_e32 v3, 0x7c00, v3, vcc_lo
	v_cmp_eq_u32_e32 vcc_lo, 0x40f, v6
	v_cndmask_b32_e32 v0, v3, v0, vcc_lo
	s_delay_alu instid0(VALU_DEP_1)
	v_and_or_b32 v6, 0x8000, v1, v0
	s_branch .LBB25_960
.LBB25_958:
	s_mov_b32 s7, -1
                                        ; implicit-def: $vgpr6
	s_branch .LBB25_963
.LBB25_959:
	s_mov_b32 s7, -1
                                        ; implicit-def: $vgpr6
.LBB25_960:
	s_delay_alu instid0(SALU_CYCLE_1)
	s_and_not1_b32 vcc_lo, exec_lo, s7
	s_cbranch_vccnz .LBB25_962
; %bb.961:
	global_load_b32 v0, v[4:5], off
	s_wait_loadcnt 0x0
	v_cvt_f16_f32_e32 v6, v0
.LBB25_962:
	s_mov_b32 s7, 0
.LBB25_963:
	s_delay_alu instid0(SALU_CYCLE_1)
	s_and_not1_b32 vcc_lo, exec_lo, s7
	s_cbranch_vccnz .LBB25_965
; %bb.964:
	s_wait_loadcnt 0x0
	global_load_u16 v6, v[4:5], off
.LBB25_965:
	s_cbranch_execnz .LBB25_984
.LBB25_966:
	s_sext_i32_i16 s7, s13
	s_delay_alu instid0(SALU_CYCLE_1)
	s_cmp_lt_i32 s7, 2
	s_cbranch_scc1 .LBB25_970
; %bb.967:
	s_cmp_lt_i32 s7, 3
	s_cbranch_scc1 .LBB25_971
; %bb.968:
	s_cmp_gt_i32 s7, 3
	s_cbranch_scc0 .LBB25_972
; %bb.969:
	s_wait_loadcnt 0x0
	global_load_b64 v[0:1], v[4:5], off
	s_mov_b32 s7, 0
	s_wait_loadcnt 0x0
	v_xor_b32_e32 v3, v0, v1
	v_cls_i32_e32 v6, v1
	s_delay_alu instid0(VALU_DEP_2) | instskip(NEXT) | instid1(VALU_DEP_1)
	v_ashrrev_i32_e32 v3, 31, v3
	v_add_nc_u32_e32 v3, 32, v3
	s_delay_alu instid0(VALU_DEP_1) | instskip(NEXT) | instid1(VALU_DEP_1)
	v_add_min_u32_e64 v3, v6, -1, v3
	v_lshlrev_b64_e32 v[0:1], v3, v[0:1]
	s_delay_alu instid0(VALU_DEP_1) | instskip(NEXT) | instid1(VALU_DEP_1)
	v_min_u32_e32 v0, 1, v0
	v_dual_sub_nc_u32 v1, 32, v3 :: v_dual_bitop2_b32 v0, v1, v0 bitop3:0x54
	s_delay_alu instid0(VALU_DEP_1) | instskip(NEXT) | instid1(VALU_DEP_1)
	v_cvt_f32_i32_e32 v0, v0
	v_ldexp_f32 v0, v0, v1
	s_delay_alu instid0(VALU_DEP_1)
	v_cvt_f16_f32_e32 v6, v0
	s_branch .LBB25_973
.LBB25_970:
                                        ; implicit-def: $vgpr6
	s_branch .LBB25_979
.LBB25_971:
	s_mov_b32 s7, -1
                                        ; implicit-def: $vgpr6
	s_branch .LBB25_976
.LBB25_972:
	s_mov_b32 s7, -1
                                        ; implicit-def: $vgpr6
.LBB25_973:
	s_delay_alu instid0(SALU_CYCLE_1)
	s_and_not1_b32 vcc_lo, exec_lo, s7
	s_cbranch_vccnz .LBB25_975
; %bb.974:
	global_load_b32 v0, v[4:5], off
	s_wait_loadcnt 0x0
	v_cvt_f32_i32_e32 v0, v0
	s_delay_alu instid0(VALU_DEP_1)
	v_cvt_f16_f32_e32 v6, v0
.LBB25_975:
	s_mov_b32 s7, 0
.LBB25_976:
	s_delay_alu instid0(SALU_CYCLE_1)
	s_and_not1_b32 vcc_lo, exec_lo, s7
	s_cbranch_vccnz .LBB25_978
; %bb.977:
	global_load_u16 v0, v[4:5], off
	s_wait_loadcnt 0x0
	v_cvt_f16_i16_e32 v6, v0
.LBB25_978:
	s_cbranch_execnz .LBB25_984
.LBB25_979:
	s_sext_i32_i16 s7, s13
	s_delay_alu instid0(SALU_CYCLE_1)
	s_cmp_gt_i32 s7, 0
	s_mov_b32 s7, 0
	s_cbranch_scc0 .LBB25_981
; %bb.980:
	global_load_i8 v0, v[4:5], off
	s_wait_loadcnt 0x0
	v_cvt_f16_i16_e32 v6, v0
	s_branch .LBB25_982
.LBB25_981:
	s_mov_b32 s7, -1
                                        ; implicit-def: $vgpr6
.LBB25_982:
	s_delay_alu instid0(SALU_CYCLE_1)
	s_and_not1_b32 vcc_lo, exec_lo, s7
	s_cbranch_vccnz .LBB25_984
; %bb.983:
	global_load_u8 v0, v[4:5], off
	s_wait_loadcnt 0x0
	v_cvt_f16_u16_e32 v6, v0
.LBB25_984:
	s_or_b32 s0, s0, exec_lo
.LBB25_985:
	s_wait_xcnt 0x0
	s_or_b32 exec_lo, exec_lo, s1
	s_mov_b32 s9, 0
	s_mov_b32 s8, 0
                                        ; implicit-def: $sgpr1
                                        ; implicit-def: $vgpr0_vgpr1
                                        ; implicit-def: $vgpr3
	s_and_saveexec_b32 s7, s0
	s_cbranch_execz .LBB25_1064
; %bb.986:
	s_wait_loadcnt 0x0
	v_cvt_f32_f16_e32 v0, v6
                                        ; implicit-def: $vgpr4
                                        ; implicit-def: $vgpr3
	s_mov_b32 s1, exec_lo
	s_delay_alu instid0(VALU_DEP_1)
	v_and_b32_e32 v1, 0x7fffffff, v0
	v_cmpx_ngt_f32_e64 0x48000000, |v0|
	s_xor_b32 s8, exec_lo, s1
	s_cbranch_execz .LBB25_988
; %bb.987:
	s_mov_b32 s0, 0x7fffff
	v_mov_b32_e32 v5, 0
	v_and_or_b32 v4, v1, s0, 0x800000
	s_mov_b64 s[0:1], 0xfe5163ab
	v_lshrrev_b32_e32 v3, 23, v1
	s_delay_alu instid0(VALU_DEP_2) | instskip(NEXT) | instid1(VALU_DEP_1)
	v_mul_u64_e32 v[6:7], s[0:1], v[4:5]
	v_dual_mov_b32 v8, v7 :: v_dual_mov_b32 v9, v5
	v_dual_mov_b32 v11, v5 :: v_dual_mov_b32 v13, v5
	;; [unrolled: 1-line block ×3, first 2 shown]
	s_delay_alu instid0(VALU_DEP_3) | instskip(NEXT) | instid1(VALU_DEP_1)
	v_mad_nc_u64_u32 v[8:9], 0x3c439041, v4, v[8:9]
	v_mov_b32_e32 v10, v9
	s_delay_alu instid0(VALU_DEP_1) | instskip(NEXT) | instid1(VALU_DEP_1)
	v_mad_nc_u64_u32 v[10:11], 0xdb629599, v4, v[10:11]
	v_mov_b32_e32 v12, v11
	s_delay_alu instid0(VALU_DEP_1) | instskip(NEXT) | instid1(VALU_DEP_1)
	;; [unrolled: 3-line block ×3, first 2 shown]
	v_mad_nc_u64_u32 v[14:15], 0xfc2757d1, v4, v[14:15]
	v_dual_mov_b32 v17, v5 :: v_dual_mov_b32 v16, v15
	s_delay_alu instid0(VALU_DEP_1) | instskip(NEXT) | instid1(VALU_DEP_1)
	v_mad_nc_u64_u32 v[16:17], 0x4e441529, v4, v[16:17]
	v_dual_mov_b32 v18, v17 :: v_dual_add_nc_u32 v3, 0xffffff88, v3
	s_delay_alu instid0(VALU_DEP_1) | instskip(NEXT) | instid1(VALU_DEP_2)
	v_cmp_lt_u32_e32 vcc_lo, 63, v3
	v_mad_nc_u64_u32 v[4:5], 0xa2f9836e, v4, v[18:19]
	v_cndmask_b32_e64 v7, 0, 0xffffffc0, vcc_lo
	v_dual_cndmask_b32 v9, v16, v12 :: v_dual_cndmask_b32 v6, v10, v6
	s_delay_alu instid0(VALU_DEP_2) | instskip(NEXT) | instid1(VALU_DEP_1)
	v_add_nc_u32_e32 v3, v7, v3
	v_cmp_lt_u32_e64 s0, 31, v3
	v_dual_cndmask_b32 v4, v4, v14 :: v_dual_cndmask_b32 v5, v5, v16
	s_delay_alu instid0(VALU_DEP_2) | instskip(NEXT) | instid1(VALU_DEP_1)
	v_cndmask_b32_e64 v7, 0, 0xffffffe0, s0
	v_add_nc_u32_e32 v3, v7, v3
	s_delay_alu instid0(VALU_DEP_1) | instskip(NEXT) | instid1(VALU_DEP_1)
	v_cmp_lt_u32_e64 s1, 31, v3
	v_cndmask_b32_e64 v7, 0, 0xffffffe0, s1
	s_delay_alu instid0(VALU_DEP_1) | instskip(SKIP_2) | instid1(VALU_DEP_3)
	v_dual_cndmask_b32 v11, v14, v10, vcc_lo :: v_dual_add_nc_u32 v3, v7, v3
	v_cndmask_b32_e32 v7, v12, v8, vcc_lo
	v_dual_cndmask_b32 v8, v4, v9, s0 :: v_dual_cndmask_b32 v4, v5, v4, s0
	v_cndmask_b32_e64 v5, v9, v11, s0
	s_delay_alu instid0(VALU_DEP_4) | instskip(NEXT) | instid1(VALU_DEP_4)
	v_sub_nc_u32_e32 v9, 32, v3
	v_cndmask_b32_e64 v11, v11, v7, s0
	v_cmp_eq_u32_e32 vcc_lo, 0, v3
	v_cndmask_b32_e64 v4, v4, v8, s1
	s_delay_alu instid0(VALU_DEP_3) | instskip(NEXT) | instid1(VALU_DEP_1)
	v_dual_cndmask_b32 v8, v8, v5, s1 :: v_dual_cndmask_b32 v5, v5, v11, s1
	v_alignbit_b32 v12, v4, v8, v9
	s_delay_alu instid0(VALU_DEP_2) | instskip(NEXT) | instid1(VALU_DEP_2)
	v_alignbit_b32 v10, v8, v5, v9
	v_dual_cndmask_b32 v3, v12, v4, vcc_lo :: v_dual_cndmask_b32 v4, v7, v6, s0
	s_delay_alu instid0(VALU_DEP_1) | instskip(NEXT) | instid1(VALU_DEP_1)
	v_bfe_u32 v7, v3, 29, 1
	v_dual_cndmask_b32 v6, v10, v8, vcc_lo :: v_dual_sub_nc_u32 v10, 0, v7
	s_delay_alu instid0(VALU_DEP_1) | instskip(NEXT) | instid1(VALU_DEP_1)
	v_alignbit_b32 v8, v3, v6, 30
	v_dual_cndmask_b32 v4, v11, v4, s1 :: v_dual_bitop2_b32 v8, v8, v10 bitop3:0x14
	s_delay_alu instid0(VALU_DEP_1) | instskip(NEXT) | instid1(VALU_DEP_1)
	v_alignbit_b32 v9, v5, v4, v9
	v_cndmask_b32_e32 v5, v9, v5, vcc_lo
	s_delay_alu instid0(VALU_DEP_3) | instskip(NEXT) | instid1(VALU_DEP_2)
	v_clz_i32_u32_e32 v9, v8
	v_alignbit_b32 v4, v5, v4, 30
	s_delay_alu instid0(VALU_DEP_2) | instskip(NEXT) | instid1(VALU_DEP_2)
	v_min_u32_e32 v9, 32, v9
	v_xor_b32_e32 v4, v4, v10
	v_alignbit_b32 v6, v6, v5, 30
	s_delay_alu instid0(VALU_DEP_1) | instskip(SKIP_1) | instid1(VALU_DEP_1)
	v_dual_lshlrev_b32 v11, 23, v9 :: v_dual_bitop2_b32 v5, v6, v10 bitop3:0x14
	v_dual_sub_nc_u32 v6, 31, v9 :: v_dual_lshrrev_b32 v10, 29, v3
	v_alignbit_b32 v8, v8, v5, v6
	v_alignbit_b32 v4, v5, v4, v6
	s_delay_alu instid0(VALU_DEP_3) | instskip(NEXT) | instid1(VALU_DEP_2)
	v_lshlrev_b32_e32 v5, 31, v10
	v_alignbit_b32 v6, v8, v4, 9
	s_delay_alu instid0(VALU_DEP_2) | instskip(NEXT) | instid1(VALU_DEP_2)
	v_dual_lshrrev_b32 v8, 9, v8 :: v_dual_bitop2_b32 v10, 0.5, v5 bitop3:0x54
	v_clz_i32_u32_e32 v12, v6
	s_delay_alu instid0(VALU_DEP_2) | instskip(SKIP_1) | instid1(VALU_DEP_3)
	v_sub_nc_u32_e32 v10, v10, v11
	v_or_b32_e32 v5, 0x33000000, v5
	v_min_u32_e32 v11, 32, v12
	s_delay_alu instid0(VALU_DEP_1) | instskip(NEXT) | instid1(VALU_DEP_4)
	v_add_lshl_u32 v9, v11, v9, 23
	v_or_b32_e32 v8, v8, v10
	v_not_b32_e32 v10, v11
	s_delay_alu instid0(VALU_DEP_2) | instskip(NEXT) | instid1(VALU_DEP_2)
	v_dual_mul_f32 v12, 0x3fc90fda, v8 :: v_dual_sub_nc_u32 v5, v5, v9
	v_alignbit_b32 v4, v6, v4, v10
	s_delay_alu instid0(VALU_DEP_2) | instskip(NEXT) | instid1(VALU_DEP_2)
	v_fma_f32 v6, 0x3fc90fda, v8, -v12
	v_lshrrev_b32_e32 v4, 9, v4
	s_delay_alu instid0(VALU_DEP_2) | instskip(NEXT) | instid1(VALU_DEP_2)
	v_fmamk_f32 v6, v8, 0x33a22168, v6
	v_or_b32_e32 v4, v5, v4
	s_delay_alu instid0(VALU_DEP_1) | instskip(NEXT) | instid1(VALU_DEP_1)
	v_fmac_f32_e32 v6, 0x3fc90fda, v4
	v_dual_add_f32 v3, v12, v6 :: v_dual_lshrrev_b32 v4, 30, v3
	s_delay_alu instid0(VALU_DEP_1)
	v_add_nc_u32_e32 v4, v7, v4
.LBB25_988:
	s_and_not1_saveexec_b32 s0, s8
; %bb.989:
	v_mul_f32_e64 v3, 0x3f22f983, |v0|
	s_delay_alu instid0(VALU_DEP_1) | instskip(NEXT) | instid1(VALU_DEP_1)
	v_rndne_f32_e32 v4, v3
	v_fma_f32 v3, 0xbfc90fda, v4, |v0|
	s_delay_alu instid0(VALU_DEP_1) | instskip(NEXT) | instid1(VALU_DEP_1)
	v_fmamk_f32 v3, v4, 0xb3a22168, v3
	v_fmamk_f32 v3, v4, 0xa7c234c4, v3
	v_cvt_i32_f32_e32 v4, v4
; %bb.990:
	s_or_b32 exec_lo, exec_lo, s0
	s_delay_alu instid0(VALU_DEP_1) | instskip(SKIP_3) | instid1(VALU_DEP_2)
	v_dual_mul_f32 v5, v3, v3 :: v_dual_bitop2_b32 v8, 1, v4 bitop3:0x40
	s_mov_b32 s0, 0xb94c1982
	s_mov_b32 s1, 0x37d75334
	v_lshlrev_b32_e32 v4, 30, v4
	v_fmaak_f32 v6, s0, v5, 0x3c0881c4
	v_cmp_eq_u32_e32 vcc_lo, 0, v8
	s_mov_b32 s0, s18
	v_xor_b32_e32 v1, v1, v0
	v_and_b32_e32 v4, 0x80000000, v4
	v_fmaak_f32 v6, v5, v6, 0xbe2aaa9d
	v_fmaak_f32 v7, s1, v5, 0xbab64f3b
	s_and_b32 s1, s34, 0xff
	s_delay_alu instid0(SALU_CYCLE_1) | instskip(NEXT) | instid1(VALU_DEP_1)
	s_cmp_lt_i32 s1, 11
	v_dual_mul_f32 v6, v5, v6 :: v_dual_fmaak_f32 v7, v5, v7, 0x3d2aabf7
	s_delay_alu instid0(VALU_DEP_1) | instskip(NEXT) | instid1(VALU_DEP_2)
	v_fmac_f32_e32 v3, v3, v6
	v_fmaak_f32 v7, v5, v7, 0xbf000004
	s_delay_alu instid0(VALU_DEP_1) | instskip(NEXT) | instid1(VALU_DEP_1)
	v_fma_f32 v5, v5, v7, 1.0
	v_cndmask_b32_e32 v3, v5, v3, vcc_lo
	v_cmp_class_f32_e64 vcc_lo, v0, 0x1f8
	s_delay_alu instid0(VALU_DEP_2) | instskip(NEXT) | instid1(VALU_DEP_1)
	v_xor3_b32 v1, v1, v4, v3
	v_dual_mov_b32 v3, 0 :: v_dual_cndmask_b32 v4, 0x7fc00000, v1
	s_delay_alu instid0(VALU_DEP_1) | instskip(SKIP_1) | instid1(VALU_DEP_2)
	v_add_nc_u64_e32 v[0:1], s[4:5], v[2:3]
	s_mov_b32 s5, -1
	v_cvt_f16_f32_e32 v3, v4
	s_cbranch_scc1 .LBB25_1068
; %bb.991:
	s_and_b32 s4, 0xffff, s1
	s_mov_b32 s0, s18
	s_cmp_gt_i32 s4, 25
	s_cbranch_scc0 .LBB25_1024
; %bb.992:
	s_cmp_gt_i32 s4, 28
	s_mov_b32 s0, s18
	s_cbranch_scc0 .LBB25_1008
; %bb.993:
	s_cmp_gt_i32 s4, 43
	s_mov_b32 s0, s18
	;; [unrolled: 4-line block ×3, first 2 shown]
	s_cbranch_scc0 .LBB25_998
; %bb.995:
	s_cmp_eq_u32 s4, 46
	s_mov_b32 s0, -1
	s_cbranch_scc0 .LBB25_997
; %bb.996:
	v_cvt_f32_f16_e32 v2, v3
	v_cmp_o_f16_e32 vcc_lo, v3, v3
	s_mov_b32 s0, 0
	s_delay_alu instid0(VALU_DEP_2) | instskip(NEXT) | instid1(VALU_DEP_1)
	v_bfe_u32 v4, v2, 16, 1
	v_add3_u32 v2, v2, v4, 0x7fff
	s_delay_alu instid0(VALU_DEP_1) | instskip(NEXT) | instid1(VALU_DEP_1)
	v_lshrrev_b32_e32 v2, 16, v2
	v_cndmask_b32_e32 v2, 0x7fc0, v2, vcc_lo
	global_store_b32 v[0:1], v2, off
.LBB25_997:
	s_mov_b32 s5, 0
.LBB25_998:
	s_delay_alu instid0(SALU_CYCLE_1)
	s_and_b32 vcc_lo, exec_lo, s5
	s_cbranch_vccz .LBB25_1003
; %bb.999:
	s_cmp_eq_u32 s4, 44
	s_mov_b32 s0, -1
	s_cbranch_scc0 .LBB25_1003
; %bb.1000:
	s_wait_xcnt 0x0
	v_cvt_f32_f16_e32 v2, v3
	v_mov_b32_e32 v4, 0xff
	s_mov_b32 s5, exec_lo
	s_delay_alu instid0(VALU_DEP_2) | instskip(NEXT) | instid1(VALU_DEP_1)
	v_bfe_u32 v5, v2, 23, 8
	v_cmpx_ne_u32_e32 0xff, v5
	s_cbranch_execz .LBB25_1002
; %bb.1001:
	v_and_b32_e32 v4, 0x400000, v2
	v_and_or_b32 v5, 0x3fffff, v2, v5
	v_lshrrev_b32_e32 v2, 23, v2
	s_delay_alu instid0(VALU_DEP_3) | instskip(NEXT) | instid1(VALU_DEP_3)
	v_cmp_ne_u32_e32 vcc_lo, 0, v4
	v_cmp_ne_u32_e64 s0, 0, v5
	s_and_b32 s0, vcc_lo, s0
	s_delay_alu instid0(SALU_CYCLE_1) | instskip(NEXT) | instid1(VALU_DEP_1)
	v_cndmask_b32_e64 v4, 0, 1, s0
	v_add_nc_u32_e32 v4, v2, v4
.LBB25_1002:
	s_or_b32 exec_lo, exec_lo, s5
	s_mov_b32 s0, 0
	global_store_b8 v[0:1], v4, off
.LBB25_1003:
	s_mov_b32 s5, 0
.LBB25_1004:
	s_delay_alu instid0(SALU_CYCLE_1)
	s_and_b32 vcc_lo, exec_lo, s5
	s_cbranch_vccz .LBB25_1007
; %bb.1005:
	s_cmp_eq_u32 s4, 29
	s_mov_b32 s0, -1
	s_cbranch_scc0 .LBB25_1007
; %bb.1006:
	s_wait_xcnt 0x0
	v_cvt_f32_f16_e32 v2, v3
	v_mov_b32_e32 v5, 0
	s_mov_b32 s0, 0
	s_delay_alu instid0(VALU_DEP_2)
	v_cvt_u32_f32_e32 v4, v2
	global_store_b64 v[0:1], v[4:5], off
.LBB25_1007:
	s_mov_b32 s5, 0
.LBB25_1008:
	s_delay_alu instid0(SALU_CYCLE_1)
	s_and_b32 vcc_lo, exec_lo, s5
	s_cbranch_vccz .LBB25_1023
; %bb.1009:
	s_cmp_lt_i32 s4, 27
	s_mov_b32 s5, -1
	s_cbranch_scc1 .LBB25_1015
; %bb.1010:
	s_cmp_gt_i32 s4, 27
	s_cbranch_scc0 .LBB25_1012
; %bb.1011:
	s_wait_xcnt 0x0
	v_cvt_f32_f16_e32 v2, v3
	s_mov_b32 s5, 0
	s_delay_alu instid0(VALU_DEP_1)
	v_cvt_u32_f32_e32 v2, v2
	global_store_b32 v[0:1], v2, off
.LBB25_1012:
	s_and_not1_b32 vcc_lo, exec_lo, s5
	s_cbranch_vccnz .LBB25_1014
; %bb.1013:
	s_wait_xcnt 0x0
	v_cvt_u16_f16_e32 v2, v3
	global_store_b16 v[0:1], v2, off
.LBB25_1014:
	s_mov_b32 s5, 0
.LBB25_1015:
	s_delay_alu instid0(SALU_CYCLE_1)
	s_and_not1_b32 vcc_lo, exec_lo, s5
	s_cbranch_vccnz .LBB25_1023
; %bb.1016:
	s_wait_xcnt 0x0
	v_cvt_f32_f16_e32 v2, v3
	v_mov_b32_e32 v5, 0x80
	s_mov_b32 s5, exec_lo
	s_delay_alu instid0(VALU_DEP_2) | instskip(NEXT) | instid1(VALU_DEP_1)
	v_and_b32_e32 v4, 0x7fffffff, v2
	v_cmpx_gt_u32_e32 0x43800000, v4
	s_cbranch_execz .LBB25_1022
; %bb.1017:
	v_cmp_lt_u32_e32 vcc_lo, 0x3bffffff, v4
	s_mov_b32 s8, 0
                                        ; implicit-def: $vgpr4
	s_and_saveexec_b32 s9, vcc_lo
	s_delay_alu instid0(SALU_CYCLE_1)
	s_xor_b32 s9, exec_lo, s9
	s_cbranch_execz .LBB25_1183
; %bb.1018:
	v_bfe_u32 v4, v2, 20, 1
	s_mov_b32 s8, exec_lo
	s_delay_alu instid0(VALU_DEP_1) | instskip(NEXT) | instid1(VALU_DEP_1)
	v_add3_u32 v4, v2, v4, 0x487ffff
	v_lshrrev_b32_e32 v4, 20, v4
	s_and_not1_saveexec_b32 s9, s9
	s_cbranch_execnz .LBB25_1184
.LBB25_1019:
	s_or_b32 exec_lo, exec_lo, s9
	v_mov_b32_e32 v5, 0
	s_and_saveexec_b32 s9, s8
.LBB25_1020:
	v_lshrrev_b32_e32 v2, 24, v2
	s_delay_alu instid0(VALU_DEP_1)
	v_and_or_b32 v5, 0x80, v2, v4
.LBB25_1021:
	s_or_b32 exec_lo, exec_lo, s9
.LBB25_1022:
	s_delay_alu instid0(SALU_CYCLE_1)
	s_or_b32 exec_lo, exec_lo, s5
	global_store_b8 v[0:1], v5, off
.LBB25_1023:
	s_mov_b32 s5, 0
.LBB25_1024:
	s_delay_alu instid0(SALU_CYCLE_1)
	s_and_b32 vcc_lo, exec_lo, s5
	s_mov_b32 s5, 0
	s_cbranch_vccz .LBB25_1067
; %bb.1025:
	s_cmp_gt_i32 s4, 22
	s_mov_b32 s8, -1
	s_cbranch_scc0 .LBB25_1057
; %bb.1026:
	s_cmp_lt_i32 s4, 24
	s_cbranch_scc1 .LBB25_1046
; %bb.1027:
	s_cmp_gt_i32 s4, 24
	s_cbranch_scc0 .LBB25_1035
; %bb.1028:
	s_wait_xcnt 0x0
	v_cvt_f32_f16_e32 v2, v3
	v_mov_b32_e32 v5, 0x80
	s_mov_b32 s8, exec_lo
	s_delay_alu instid0(VALU_DEP_2) | instskip(NEXT) | instid1(VALU_DEP_1)
	v_and_b32_e32 v4, 0x7fffffff, v2
	v_cmpx_gt_u32_e32 0x47800000, v4
	s_cbranch_execz .LBB25_1034
; %bb.1029:
	v_cmp_lt_u32_e32 vcc_lo, 0x37ffffff, v4
	s_mov_b32 s9, 0
                                        ; implicit-def: $vgpr4
	s_and_saveexec_b32 s10, vcc_lo
	s_delay_alu instid0(SALU_CYCLE_1)
	s_xor_b32 s10, exec_lo, s10
	s_cbranch_execz .LBB25_1313
; %bb.1030:
	v_bfe_u32 v4, v2, 21, 1
	s_mov_b32 s9, exec_lo
	s_delay_alu instid0(VALU_DEP_1) | instskip(NEXT) | instid1(VALU_DEP_1)
	v_add3_u32 v4, v2, v4, 0x88fffff
	v_lshrrev_b32_e32 v4, 21, v4
	s_and_not1_saveexec_b32 s10, s10
	s_cbranch_execnz .LBB25_1314
.LBB25_1031:
	s_or_b32 exec_lo, exec_lo, s10
	v_mov_b32_e32 v5, 0
	s_and_saveexec_b32 s10, s9
.LBB25_1032:
	v_lshrrev_b32_e32 v2, 24, v2
	s_delay_alu instid0(VALU_DEP_1)
	v_and_or_b32 v5, 0x80, v2, v4
.LBB25_1033:
	s_or_b32 exec_lo, exec_lo, s10
.LBB25_1034:
	s_delay_alu instid0(SALU_CYCLE_1)
	s_or_b32 exec_lo, exec_lo, s8
	s_mov_b32 s8, 0
	global_store_b8 v[0:1], v5, off
.LBB25_1035:
	s_and_b32 vcc_lo, exec_lo, s8
	s_cbranch_vccz .LBB25_1045
; %bb.1036:
	s_wait_xcnt 0x0
	v_cvt_f32_f16_e32 v2, v3
	s_mov_b32 s8, exec_lo
                                        ; implicit-def: $vgpr4
	s_delay_alu instid0(VALU_DEP_1) | instskip(NEXT) | instid1(VALU_DEP_1)
	v_and_b32_e32 v5, 0x7fffffff, v2
	v_cmpx_gt_u32_e32 0x43f00000, v5
	s_xor_b32 s8, exec_lo, s8
	s_cbranch_execz .LBB25_1042
; %bb.1037:
	s_mov_b32 s9, exec_lo
                                        ; implicit-def: $vgpr4
	v_cmpx_lt_u32_e32 0x3c7fffff, v5
	s_xor_b32 s9, exec_lo, s9
; %bb.1038:
	v_bfe_u32 v4, v2, 20, 1
	s_delay_alu instid0(VALU_DEP_1) | instskip(NEXT) | instid1(VALU_DEP_1)
	v_add3_u32 v4, v2, v4, 0x407ffff
	v_and_b32_e32 v5, 0xff00000, v4
	v_lshrrev_b32_e32 v4, 20, v4
	s_delay_alu instid0(VALU_DEP_2) | instskip(NEXT) | instid1(VALU_DEP_2)
	v_cmp_ne_u32_e32 vcc_lo, 0x7f00000, v5
	v_cndmask_b32_e32 v4, 0x7e, v4, vcc_lo
; %bb.1039:
	s_and_not1_saveexec_b32 s9, s9
; %bb.1040:
	v_add_f32_e64 v4, 0x46800000, |v2|
; %bb.1041:
	s_or_b32 exec_lo, exec_lo, s9
                                        ; implicit-def: $vgpr5
.LBB25_1042:
	s_and_not1_saveexec_b32 s8, s8
; %bb.1043:
	v_mov_b32_e32 v4, 0x7f
	v_cmp_lt_u32_e32 vcc_lo, 0x7f800000, v5
	s_delay_alu instid0(VALU_DEP_2)
	v_cndmask_b32_e32 v4, 0x7e, v4, vcc_lo
; %bb.1044:
	s_or_b32 exec_lo, exec_lo, s8
	v_lshrrev_b32_e32 v2, 24, v2
	s_delay_alu instid0(VALU_DEP_1)
	v_and_or_b32 v2, 0x80, v2, v4
	global_store_b8 v[0:1], v2, off
.LBB25_1045:
	s_mov_b32 s8, 0
.LBB25_1046:
	s_delay_alu instid0(SALU_CYCLE_1)
	s_and_not1_b32 vcc_lo, exec_lo, s8
	s_cbranch_vccnz .LBB25_1056
; %bb.1047:
	s_wait_xcnt 0x0
	v_cvt_f32_f16_e32 v2, v3
	s_mov_b32 s8, exec_lo
                                        ; implicit-def: $vgpr4
	s_delay_alu instid0(VALU_DEP_1) | instskip(NEXT) | instid1(VALU_DEP_1)
	v_and_b32_e32 v5, 0x7fffffff, v2
	v_cmpx_gt_u32_e32 0x47800000, v5
	s_xor_b32 s8, exec_lo, s8
	s_cbranch_execz .LBB25_1053
; %bb.1048:
	s_mov_b32 s9, exec_lo
                                        ; implicit-def: $vgpr4
	v_cmpx_lt_u32_e32 0x387fffff, v5
	s_xor_b32 s9, exec_lo, s9
; %bb.1049:
	v_bfe_u32 v4, v2, 21, 1
	s_delay_alu instid0(VALU_DEP_1) | instskip(NEXT) | instid1(VALU_DEP_1)
	v_add3_u32 v4, v2, v4, 0x80fffff
	v_lshrrev_b32_e32 v4, 21, v4
; %bb.1050:
	s_and_not1_saveexec_b32 s9, s9
; %bb.1051:
	v_add_f32_e64 v4, 0x43000000, |v2|
; %bb.1052:
	s_or_b32 exec_lo, exec_lo, s9
                                        ; implicit-def: $vgpr5
.LBB25_1053:
	s_and_not1_saveexec_b32 s8, s8
; %bb.1054:
	v_mov_b32_e32 v4, 0x7f
	v_cmp_lt_u32_e32 vcc_lo, 0x7f800000, v5
	s_delay_alu instid0(VALU_DEP_2)
	v_cndmask_b32_e32 v4, 0x7c, v4, vcc_lo
; %bb.1055:
	s_or_b32 exec_lo, exec_lo, s8
	v_lshrrev_b32_e32 v2, 24, v2
	s_delay_alu instid0(VALU_DEP_1)
	v_and_or_b32 v2, 0x80, v2, v4
	global_store_b8 v[0:1], v2, off
.LBB25_1056:
	s_mov_b32 s8, 0
.LBB25_1057:
	s_delay_alu instid0(SALU_CYCLE_1)
	s_and_not1_b32 vcc_lo, exec_lo, s8
	s_mov_b32 s9, 0
	s_cbranch_vccnz .LBB25_1068
; %bb.1058:
	s_cmp_gt_i32 s4, 14
	s_mov_b32 s8, -1
	s_cbranch_scc0 .LBB25_1062
; %bb.1059:
	s_cmp_eq_u32 s4, 15
	s_mov_b32 s0, -1
	s_cbranch_scc0 .LBB25_1061
; %bb.1060:
	s_wait_xcnt 0x0
	v_cvt_f32_f16_e32 v2, v3
	v_cmp_o_f16_e32 vcc_lo, v3, v3
	s_mov_b32 s0, 0
	s_delay_alu instid0(VALU_DEP_2) | instskip(NEXT) | instid1(VALU_DEP_1)
	v_bfe_u32 v4, v2, 16, 1
	v_add3_u32 v2, v2, v4, 0x7fff
	s_delay_alu instid0(VALU_DEP_1) | instskip(NEXT) | instid1(VALU_DEP_1)
	v_lshrrev_b32_e32 v2, 16, v2
	v_cndmask_b32_e32 v2, 0x7fc0, v2, vcc_lo
	global_store_b16 v[0:1], v2, off
.LBB25_1061:
	s_mov_b32 s8, 0
.LBB25_1062:
	s_delay_alu instid0(SALU_CYCLE_1)
	s_and_b32 vcc_lo, exec_lo, s8
	s_cbranch_vccz .LBB25_1068
; %bb.1063:
	s_cmp_lg_u32 s4, 11
	s_mov_b32 s9, -1
	s_cselect_b32 s4, -1, 0
	s_and_not1_b32 s0, s0, exec_lo
	s_and_b32 s4, s4, exec_lo
	s_delay_alu instid0(SALU_CYCLE_1)
	s_or_b32 s0, s0, s4
	s_branch .LBB25_1068
.LBB25_1064:
	s_or_b32 exec_lo, exec_lo, s7
	s_and_saveexec_b32 s0, s18
	s_cbranch_execnz .LBB25_1069
.LBB25_1065:
	s_or_b32 exec_lo, exec_lo, s0
	s_and_saveexec_b32 s0, s9
	s_delay_alu instid0(SALU_CYCLE_1)
	s_xor_b32 s0, exec_lo, s0
	s_cbranch_execz .LBB25_1070
.LBB25_1066:
	v_cmp_neq_f16_e32 vcc_lo, 0, v3
	v_cndmask_b32_e64 v2, 0, 1, vcc_lo
	s_wait_loadcnt 0x0
	global_store_b8 v[0:1], v2, off
	s_wait_xcnt 0x0
	s_or_b32 exec_lo, exec_lo, s0
	s_and_saveexec_b32 s0, s8
	s_delay_alu instid0(SALU_CYCLE_1)
	s_xor_b32 s0, exec_lo, s0
	s_cbranch_execz .LBB25_1108
	s_branch .LBB25_1071
.LBB25_1067:
	s_mov_b32 s9, 0
.LBB25_1068:
	s_and_not1_b32 s4, s18, exec_lo
	s_and_b32 s0, s0, exec_lo
	s_and_b32 s8, s5, exec_lo
	;; [unrolled: 1-line block ×3, first 2 shown]
	s_or_b32 s18, s4, s0
	s_wait_xcnt 0x0
	s_or_b32 exec_lo, exec_lo, s7
	s_and_saveexec_b32 s0, s18
	s_cbranch_execz .LBB25_1065
.LBB25_1069:
	s_or_b32 s6, s6, exec_lo
	s_and_not1_b32 s9, s9, exec_lo
	s_trap 2
	s_or_b32 exec_lo, exec_lo, s0
	s_and_saveexec_b32 s0, s9
	s_delay_alu instid0(SALU_CYCLE_1)
	s_xor_b32 s0, exec_lo, s0
	s_cbranch_execnz .LBB25_1066
.LBB25_1070:
	s_or_b32 exec_lo, exec_lo, s0
	s_and_saveexec_b32 s0, s8
	s_delay_alu instid0(SALU_CYCLE_1)
	s_xor_b32 s0, exec_lo, s0
	s_cbranch_execz .LBB25_1108
.LBB25_1071:
	s_sext_i32_i16 s5, s1
	s_mov_b32 s4, -1
	s_cmp_lt_i32 s5, 5
	s_cbranch_scc1 .LBB25_1092
; %bb.1072:
	s_cmp_lt_i32 s5, 8
	s_cbranch_scc1 .LBB25_1082
; %bb.1073:
	;; [unrolled: 3-line block ×3, first 2 shown]
	s_cmp_gt_i32 s5, 9
	s_cbranch_scc0 .LBB25_1076
; %bb.1075:
	v_cvt_f32_f16_e32 v2, v3
	s_wait_loadcnt 0x0
	v_mov_b32_e32 v6, 0
	s_mov_b32 s4, 0
	s_delay_alu instid0(VALU_DEP_2) | instskip(NEXT) | instid1(VALU_DEP_2)
	v_cvt_f64_f32_e32 v[4:5], v2
	v_mov_b32_e32 v7, v6
	global_store_b128 v[0:1], v[4:7], off
.LBB25_1076:
	s_and_not1_b32 vcc_lo, exec_lo, s4
	s_cbranch_vccnz .LBB25_1078
; %bb.1077:
	s_wait_xcnt 0x0
	v_cvt_f32_f16_e32 v4, v3
	v_mov_b32_e32 v5, 0
	s_wait_loadcnt 0x0
	global_store_b64 v[0:1], v[4:5], off
.LBB25_1078:
	s_mov_b32 s4, 0
.LBB25_1079:
	s_delay_alu instid0(SALU_CYCLE_1)
	s_and_not1_b32 vcc_lo, exec_lo, s4
	s_cbranch_vccnz .LBB25_1081
; %bb.1080:
	v_and_b32_e32 v2, 0xffff, v3
	s_wait_loadcnt 0x0
	global_store_b32 v[0:1], v2, off
.LBB25_1081:
	s_mov_b32 s4, 0
.LBB25_1082:
	s_delay_alu instid0(SALU_CYCLE_1)
	s_and_not1_b32 vcc_lo, exec_lo, s4
	s_cbranch_vccnz .LBB25_1091
; %bb.1083:
	s_sext_i32_i16 s5, s1
	s_mov_b32 s4, -1
	s_cmp_lt_i32 s5, 6
	s_cbranch_scc1 .LBB25_1089
; %bb.1084:
	s_cmp_gt_i32 s5, 6
	s_cbranch_scc0 .LBB25_1086
; %bb.1085:
	s_wait_xcnt 0x0
	v_cvt_f32_f16_e32 v2, v3
	s_mov_b32 s4, 0
	s_delay_alu instid0(VALU_DEP_1)
	v_cvt_f64_f32_e32 v[4:5], v2
	s_wait_loadcnt 0x0
	global_store_b64 v[0:1], v[4:5], off
.LBB25_1086:
	s_and_not1_b32 vcc_lo, exec_lo, s4
	s_cbranch_vccnz .LBB25_1088
; %bb.1087:
	s_wait_xcnt 0x0
	v_cvt_f32_f16_e32 v2, v3
	s_wait_loadcnt 0x0
	global_store_b32 v[0:1], v2, off
.LBB25_1088:
	s_mov_b32 s4, 0
.LBB25_1089:
	s_delay_alu instid0(SALU_CYCLE_1)
	s_and_not1_b32 vcc_lo, exec_lo, s4
	s_cbranch_vccnz .LBB25_1091
; %bb.1090:
	s_wait_loadcnt 0x0
	global_store_b16 v[0:1], v3, off
.LBB25_1091:
	s_mov_b32 s4, 0
.LBB25_1092:
	s_delay_alu instid0(SALU_CYCLE_1)
	s_and_not1_b32 vcc_lo, exec_lo, s4
	s_cbranch_vccnz .LBB25_1108
; %bb.1093:
	s_sext_i32_i16 s5, s1
	s_mov_b32 s4, -1
	s_cmp_lt_i32 s5, 2
	s_cbranch_scc1 .LBB25_1103
; %bb.1094:
	s_cmp_lt_i32 s5, 3
	s_cbranch_scc1 .LBB25_1100
; %bb.1095:
	s_cmp_gt_i32 s5, 3
	s_cbranch_scc0 .LBB25_1097
; %bb.1096:
	s_wait_xcnt 0x0
	v_cvt_f32_f16_e32 v2, v3
	s_mov_b32 s4, 0
	s_delay_alu instid0(VALU_DEP_1) | instskip(NEXT) | instid1(VALU_DEP_1)
	v_cvt_i32_f32_e32 v4, v2
	v_ashrrev_i32_e32 v5, 31, v4
	s_wait_loadcnt 0x0
	global_store_b64 v[0:1], v[4:5], off
.LBB25_1097:
	s_and_not1_b32 vcc_lo, exec_lo, s4
	s_cbranch_vccnz .LBB25_1099
; %bb.1098:
	s_wait_xcnt 0x0
	v_cvt_f32_f16_e32 v2, v3
	s_delay_alu instid0(VALU_DEP_1)
	v_cvt_i32_f32_e32 v2, v2
	s_wait_loadcnt 0x0
	global_store_b32 v[0:1], v2, off
.LBB25_1099:
	s_mov_b32 s4, 0
.LBB25_1100:
	s_delay_alu instid0(SALU_CYCLE_1)
	s_and_not1_b32 vcc_lo, exec_lo, s4
	s_cbranch_vccnz .LBB25_1102
; %bb.1101:
	s_wait_xcnt 0x0
	v_cvt_i16_f16_e32 v2, v3
	s_wait_loadcnt 0x0
	global_store_b16 v[0:1], v2, off
.LBB25_1102:
	s_mov_b32 s4, 0
.LBB25_1103:
	s_delay_alu instid0(SALU_CYCLE_1)
	s_and_not1_b32 vcc_lo, exec_lo, s4
	s_cbranch_vccnz .LBB25_1108
; %bb.1104:
	s_sext_i32_i16 s1, s1
	s_delay_alu instid0(SALU_CYCLE_1)
	s_cmp_gt_i32 s1, 0
	s_mov_b32 s1, -1
	s_cbranch_scc0 .LBB25_1106
; %bb.1105:
	s_wait_xcnt 0x0
	v_cvt_i16_f16_e32 v2, v3
	s_mov_b32 s1, 0
	s_wait_loadcnt 0x0
	global_store_b8 v[0:1], v2, off
.LBB25_1106:
	s_and_not1_b32 vcc_lo, exec_lo, s1
	s_cbranch_vccnz .LBB25_1108
; %bb.1107:
	s_wait_xcnt 0x0
	v_cvt_f32_f16_e32 v2, v3
	s_delay_alu instid0(VALU_DEP_1)
	v_cvt_i32_f32_e32 v2, v2
	s_wait_loadcnt 0x0
	global_store_b8 v[0:1], v2, off
.LBB25_1108:
	s_wait_xcnt 0x0
	s_or_b32 exec_lo, exec_lo, s0
	s_delay_alu instid0(SALU_CYCLE_1)
	s_and_b32 s8, s6, exec_lo
                                        ; implicit-def: $vgpr9
                                        ; implicit-def: $vgpr0
.LBB25_1109:
	s_or_saveexec_b32 s9, s33
	s_mov_b32 s0, 0
                                        ; implicit-def: $vgpr2_vgpr3
                                        ; implicit-def: $sgpr1
                                        ; implicit-def: $vgpr1
	s_xor_b32 exec_lo, exec_lo, s9
	s_cbranch_execz .LBB25_2134
; %bb.1110:
	s_wait_loadcnt 0x0
	v_cndmask_b32_e64 v1, 0, 1, s31
	s_and_not1_b32 vcc_lo, exec_lo, s31
	s_cbranch_vccnz .LBB25_1116
; %bb.1111:
	s_cmp_lg_u32 s28, 0
	s_mov_b32 s10, 0
	s_cbranch_scc0 .LBB25_1117
; %bb.1112:
	s_min_u32 s1, s29, 15
	s_delay_alu instid0(SALU_CYCLE_1)
	s_add_co_i32 s1, s1, 1
	s_cmp_eq_u32 s29, 2
	s_cbranch_scc1 .LBB25_1118
; %bb.1113:
	v_dual_mov_b32 v6, 0 :: v_dual_mov_b32 v14, 0
	v_mov_b32_e32 v2, v0
	s_and_b32 s0, s1, 28
	s_add_nc_u64 s[4:5], s[2:3], 0xc4
	s_mov_b32 s11, 0
	s_mov_b64 s[6:7], s[2:3]
.LBB25_1114:                            ; =>This Inner Loop Header: Depth=1
	s_clause 0x1
	s_load_b256 s[12:19], s[6:7], 0x4
	s_load_b128 s[36:39], s[6:7], 0x24
	s_load_b256 s[20:27], s[4:5], 0x0
	s_add_co_i32 s11, s11, 4
	s_wait_xcnt 0x0
	s_add_nc_u64 s[6:7], s[6:7], 48
	s_cmp_lg_u32 s0, s11
	s_add_nc_u64 s[4:5], s[4:5], 32
	s_wait_kmcnt 0x0
	v_mul_hi_u32 v3, s13, v2
	s_delay_alu instid0(VALU_DEP_1) | instskip(NEXT) | instid1(VALU_DEP_1)
	v_add_nc_u32_e32 v3, v2, v3
	v_lshrrev_b32_e32 v3, s14, v3
	s_delay_alu instid0(VALU_DEP_1) | instskip(NEXT) | instid1(VALU_DEP_1)
	v_mul_hi_u32 v4, s16, v3
	v_add_nc_u32_e32 v4, v3, v4
	s_delay_alu instid0(VALU_DEP_1) | instskip(NEXT) | instid1(VALU_DEP_1)
	v_lshrrev_b32_e32 v4, s17, v4
	v_mul_hi_u32 v5, s19, v4
	s_delay_alu instid0(VALU_DEP_1) | instskip(SKIP_1) | instid1(VALU_DEP_1)
	v_add_nc_u32_e32 v5, v4, v5
	v_mul_lo_u32 v7, v3, s12
	v_sub_nc_u32_e32 v2, v2, v7
	v_mul_lo_u32 v7, v4, s15
	s_delay_alu instid0(VALU_DEP_4) | instskip(NEXT) | instid1(VALU_DEP_3)
	v_lshrrev_b32_e32 v5, s36, v5
	v_mad_u32 v10, v2, s21, v14
	v_mad_u32 v2, v2, s20, v6
	s_delay_alu instid0(VALU_DEP_4) | instskip(NEXT) | instid1(VALU_DEP_4)
	v_sub_nc_u32_e32 v3, v3, v7
	v_mul_hi_u32 v8, s38, v5
	v_mul_lo_u32 v6, v5, s18
	s_delay_alu instid0(VALU_DEP_1) | instskip(NEXT) | instid1(VALU_DEP_4)
	v_dual_add_nc_u32 v7, v5, v8 :: v_dual_sub_nc_u32 v4, v4, v6
	v_mad_u32 v8, v3, s23, v10
	v_mad_u32 v3, v3, s22, v2
	s_delay_alu instid0(VALU_DEP_3) | instskip(NEXT) | instid1(VALU_DEP_1)
	v_lshrrev_b32_e32 v2, s39, v7
	v_mul_lo_u32 v6, v2, s37
	s_delay_alu instid0(VALU_DEP_4) | instskip(NEXT) | instid1(VALU_DEP_4)
	v_mad_u32 v7, v4, s25, v8
	v_mad_u32 v3, v4, s24, v3
	s_delay_alu instid0(VALU_DEP_3) | instskip(NEXT) | instid1(VALU_DEP_1)
	v_sub_nc_u32_e32 v4, v5, v6
	v_mad_u32 v14, v4, s27, v7
	s_delay_alu instid0(VALU_DEP_3)
	v_mad_u32 v6, v4, s26, v3
	s_cbranch_scc1 .LBB25_1114
; %bb.1115:
	s_delay_alu instid0(VALU_DEP_2)
	v_mov_b32_e32 v7, v14
	s_and_b32 s6, s1, 3
	s_mov_b32 s1, 0
	s_cmp_eq_u32 s6, 0
	s_cbranch_scc0 .LBB25_1119
	s_branch .LBB25_1122
.LBB25_1116:
	s_mov_b32 s10, -1
                                        ; implicit-def: $vgpr14
                                        ; implicit-def: $vgpr6
	s_branch .LBB25_1122
.LBB25_1117:
	v_dual_mov_b32 v14, 0 :: v_dual_mov_b32 v6, 0
	s_branch .LBB25_1122
.LBB25_1118:
	v_mov_b64_e32 v[6:7], 0
	v_mov_b32_e32 v2, v0
                                        ; implicit-def: $vgpr14
	s_and_b32 s6, s1, 3
	s_mov_b32 s1, 0
	s_cmp_eq_u32 s6, 0
	s_cbranch_scc1 .LBB25_1122
.LBB25_1119:
	s_lshl_b32 s4, s0, 3
	s_mov_b32 s5, s1
	s_mul_u64 s[12:13], s[0:1], 12
	s_add_nc_u64 s[4:5], s[2:3], s[4:5]
	s_delay_alu instid0(SALU_CYCLE_1)
	s_add_nc_u64 s[0:1], s[4:5], 0xc4
	s_add_nc_u64 s[4:5], s[2:3], s[12:13]
.LBB25_1120:                            ; =>This Inner Loop Header: Depth=1
	s_load_b96 s[12:14], s[4:5], 0x4
	s_add_co_i32 s6, s6, -1
	s_wait_xcnt 0x0
	s_add_nc_u64 s[4:5], s[4:5], 12
	s_cmp_lg_u32 s6, 0
	s_wait_kmcnt 0x0
	v_mul_hi_u32 v3, s13, v2
	s_delay_alu instid0(VALU_DEP_1) | instskip(NEXT) | instid1(VALU_DEP_1)
	v_add_nc_u32_e32 v3, v2, v3
	v_lshrrev_b32_e32 v3, s14, v3
	s_load_b64 s[14:15], s[0:1], 0x0
	s_wait_xcnt 0x0
	s_add_nc_u64 s[0:1], s[0:1], 8
	s_delay_alu instid0(VALU_DEP_1) | instskip(NEXT) | instid1(VALU_DEP_1)
	v_mul_lo_u32 v4, v3, s12
	v_sub_nc_u32_e32 v2, v2, v4
	s_wait_kmcnt 0x0
	s_delay_alu instid0(VALU_DEP_1)
	v_mad_u32 v7, v2, s15, v7
	v_mad_u32 v6, v2, s14, v6
	v_mov_b32_e32 v2, v3
	s_cbranch_scc1 .LBB25_1120
; %bb.1121:
	s_delay_alu instid0(VALU_DEP_3)
	v_mov_b32_e32 v14, v7
.LBB25_1122:
	s_and_not1_b32 vcc_lo, exec_lo, s10
	s_cbranch_vccnz .LBB25_1125
; %bb.1123:
	s_clause 0x1
	s_load_b96 s[4:6], s[2:3], 0x4
	s_load_b64 s[0:1], s[2:3], 0xc4
	s_cmp_lt_u32 s28, 2
	s_wait_kmcnt 0x0
	v_mul_hi_u32 v2, s5, v0
	s_delay_alu instid0(VALU_DEP_1) | instskip(NEXT) | instid1(VALU_DEP_1)
	v_add_nc_u32_e32 v2, v0, v2
	v_lshrrev_b32_e32 v2, s6, v2
	s_delay_alu instid0(VALU_DEP_1) | instskip(NEXT) | instid1(VALU_DEP_1)
	v_mul_lo_u32 v3, v2, s4
	v_sub_nc_u32_e32 v3, v0, v3
	s_delay_alu instid0(VALU_DEP_1)
	v_mul_lo_u32 v14, v3, s1
	v_mul_lo_u32 v6, v3, s0
	s_cbranch_scc1 .LBB25_1125
; %bb.1124:
	s_clause 0x1
	s_load_b96 s[4:6], s[2:3], 0x10
	s_load_b64 s[0:1], s[2:3], 0xcc
	s_wait_kmcnt 0x0
	v_mul_hi_u32 v3, s5, v2
	s_delay_alu instid0(VALU_DEP_1) | instskip(NEXT) | instid1(VALU_DEP_1)
	v_add_nc_u32_e32 v3, v2, v3
	v_lshrrev_b32_e32 v3, s6, v3
	s_delay_alu instid0(VALU_DEP_1) | instskip(NEXT) | instid1(VALU_DEP_1)
	v_mul_lo_u32 v3, v3, s4
	v_sub_nc_u32_e32 v2, v2, v3
	s_delay_alu instid0(VALU_DEP_1)
	v_mad_u32 v6, v2, s0, v6
	v_mad_u32 v14, v2, s1, v14
.LBB25_1125:
	v_cmp_ne_u32_e32 vcc_lo, 1, v1
	v_add_nc_u32_e32 v2, 0x80, v0
	s_cbranch_vccnz .LBB25_1131
; %bb.1126:
	s_cmp_lg_u32 s28, 0
	s_mov_b32 s10, 0
	s_cbranch_scc0 .LBB25_1132
; %bb.1127:
	s_min_u32 s1, s29, 15
	s_delay_alu instid0(SALU_CYCLE_1)
	s_add_co_i32 s1, s1, 1
	s_cmp_eq_u32 s29, 2
	s_cbranch_scc1 .LBB25_1133
; %bb.1128:
	v_dual_mov_b32 v4, 0 :: v_dual_mov_b32 v12, 0
	v_mov_b32_e32 v3, v2
	s_and_b32 s0, s1, 28
	s_add_nc_u64 s[4:5], s[2:3], 0xc4
	s_mov_b32 s11, 0
	s_mov_b64 s[6:7], s[2:3]
.LBB25_1129:                            ; =>This Inner Loop Header: Depth=1
	s_clause 0x1
	s_load_b256 s[12:19], s[6:7], 0x4
	s_load_b128 s[36:39], s[6:7], 0x24
	s_load_b256 s[20:27], s[4:5], 0x0
	s_add_co_i32 s11, s11, 4
	s_wait_xcnt 0x0
	s_add_nc_u64 s[6:7], s[6:7], 48
	s_cmp_lg_u32 s0, s11
	s_add_nc_u64 s[4:5], s[4:5], 32
	s_wait_kmcnt 0x0
	v_mul_hi_u32 v5, s13, v3
	s_delay_alu instid0(VALU_DEP_1) | instskip(NEXT) | instid1(VALU_DEP_1)
	v_add_nc_u32_e32 v5, v3, v5
	v_lshrrev_b32_e32 v5, s14, v5
	s_delay_alu instid0(VALU_DEP_1) | instskip(NEXT) | instid1(VALU_DEP_1)
	v_mul_hi_u32 v7, s16, v5
	v_add_nc_u32_e32 v7, v5, v7
	s_delay_alu instid0(VALU_DEP_1) | instskip(NEXT) | instid1(VALU_DEP_1)
	v_lshrrev_b32_e32 v7, s17, v7
	v_mul_hi_u32 v8, s19, v7
	s_delay_alu instid0(VALU_DEP_1) | instskip(SKIP_1) | instid1(VALU_DEP_1)
	v_add_nc_u32_e32 v8, v7, v8
	v_mul_lo_u32 v10, v5, s12
	v_sub_nc_u32_e32 v3, v3, v10
	v_mul_lo_u32 v10, v7, s15
	s_delay_alu instid0(VALU_DEP_4) | instskip(NEXT) | instid1(VALU_DEP_3)
	v_lshrrev_b32_e32 v8, s36, v8
	v_mad_u32 v12, v3, s21, v12
	v_mad_u32 v3, v3, s20, v4
	s_delay_alu instid0(VALU_DEP_4) | instskip(NEXT) | instid1(VALU_DEP_4)
	v_sub_nc_u32_e32 v4, v5, v10
	v_mul_hi_u32 v11, s38, v8
	v_mul_lo_u32 v5, v8, s18
	s_delay_alu instid0(VALU_DEP_1) | instskip(NEXT) | instid1(VALU_DEP_4)
	v_dual_add_nc_u32 v10, v8, v11 :: v_dual_sub_nc_u32 v5, v7, v5
	v_mad_u32 v11, v4, s23, v12
	v_mad_u32 v4, v4, s22, v3
	s_delay_alu instid0(VALU_DEP_3) | instskip(NEXT) | instid1(VALU_DEP_1)
	v_lshrrev_b32_e32 v3, s39, v10
	v_mul_lo_u32 v7, v3, s37
	s_delay_alu instid0(VALU_DEP_4) | instskip(NEXT) | instid1(VALU_DEP_4)
	v_mad_u32 v10, v5, s25, v11
	v_mad_u32 v4, v5, s24, v4
	s_delay_alu instid0(VALU_DEP_3) | instskip(NEXT) | instid1(VALU_DEP_1)
	v_sub_nc_u32_e32 v5, v8, v7
	v_mad_u32 v12, v5, s27, v10
	s_delay_alu instid0(VALU_DEP_3)
	v_mad_u32 v4, v5, s26, v4
	s_cbranch_scc1 .LBB25_1129
; %bb.1130:
	s_delay_alu instid0(VALU_DEP_2)
	v_mov_b32_e32 v5, v12
	s_and_b32 s6, s1, 3
	s_mov_b32 s1, 0
	s_cmp_eq_u32 s6, 0
	s_cbranch_scc0 .LBB25_1134
	s_branch .LBB25_1137
.LBB25_1131:
	s_mov_b32 s10, -1
                                        ; implicit-def: $vgpr12
                                        ; implicit-def: $vgpr4
	s_branch .LBB25_1137
.LBB25_1132:
	v_dual_mov_b32 v12, 0 :: v_dual_mov_b32 v4, 0
	s_branch .LBB25_1137
.LBB25_1133:
	v_mov_b64_e32 v[4:5], 0
	v_mov_b32_e32 v3, v2
	s_mov_b32 s0, 0
                                        ; implicit-def: $vgpr12
	s_and_b32 s6, s1, 3
	s_mov_b32 s1, 0
	s_cmp_eq_u32 s6, 0
	s_cbranch_scc1 .LBB25_1137
.LBB25_1134:
	s_lshl_b32 s4, s0, 3
	s_mov_b32 s5, s1
	s_mul_u64 s[12:13], s[0:1], 12
	s_add_nc_u64 s[4:5], s[2:3], s[4:5]
	s_delay_alu instid0(SALU_CYCLE_1)
	s_add_nc_u64 s[0:1], s[4:5], 0xc4
	s_add_nc_u64 s[4:5], s[2:3], s[12:13]
.LBB25_1135:                            ; =>This Inner Loop Header: Depth=1
	s_load_b96 s[12:14], s[4:5], 0x4
	s_add_co_i32 s6, s6, -1
	s_wait_xcnt 0x0
	s_add_nc_u64 s[4:5], s[4:5], 12
	s_cmp_lg_u32 s6, 0
	s_wait_kmcnt 0x0
	v_mul_hi_u32 v7, s13, v3
	s_delay_alu instid0(VALU_DEP_1) | instskip(NEXT) | instid1(VALU_DEP_1)
	v_add_nc_u32_e32 v7, v3, v7
	v_lshrrev_b32_e32 v7, s14, v7
	s_load_b64 s[14:15], s[0:1], 0x0
	s_wait_xcnt 0x0
	s_add_nc_u64 s[0:1], s[0:1], 8
	s_delay_alu instid0(VALU_DEP_1) | instskip(NEXT) | instid1(VALU_DEP_1)
	v_mul_lo_u32 v8, v7, s12
	v_sub_nc_u32_e32 v3, v3, v8
	s_wait_kmcnt 0x0
	s_delay_alu instid0(VALU_DEP_1)
	v_mad_u32 v5, v3, s15, v5
	v_mad_u32 v4, v3, s14, v4
	v_mov_b32_e32 v3, v7
	s_cbranch_scc1 .LBB25_1135
; %bb.1136:
	s_delay_alu instid0(VALU_DEP_3)
	v_mov_b32_e32 v12, v5
.LBB25_1137:
	s_and_not1_b32 vcc_lo, exec_lo, s10
	s_cbranch_vccnz .LBB25_1140
; %bb.1138:
	s_clause 0x1
	s_load_b96 s[4:6], s[2:3], 0x4
	s_load_b64 s[0:1], s[2:3], 0xc4
	s_cmp_lt_u32 s28, 2
	s_wait_kmcnt 0x0
	v_mul_hi_u32 v3, s5, v2
	s_delay_alu instid0(VALU_DEP_1) | instskip(NEXT) | instid1(VALU_DEP_1)
	v_add_nc_u32_e32 v3, v2, v3
	v_lshrrev_b32_e32 v3, s6, v3
	s_delay_alu instid0(VALU_DEP_1) | instskip(NEXT) | instid1(VALU_DEP_1)
	v_mul_lo_u32 v4, v3, s4
	v_sub_nc_u32_e32 v2, v2, v4
	s_delay_alu instid0(VALU_DEP_1)
	v_mul_lo_u32 v12, v2, s1
	v_mul_lo_u32 v4, v2, s0
	s_cbranch_scc1 .LBB25_1140
; %bb.1139:
	s_clause 0x1
	s_load_b96 s[4:6], s[2:3], 0x10
	s_load_b64 s[0:1], s[2:3], 0xcc
	s_wait_kmcnt 0x0
	v_mul_hi_u32 v2, s5, v3
	s_delay_alu instid0(VALU_DEP_1) | instskip(NEXT) | instid1(VALU_DEP_1)
	v_add_nc_u32_e32 v2, v3, v2
	v_lshrrev_b32_e32 v2, s6, v2
	s_delay_alu instid0(VALU_DEP_1) | instskip(NEXT) | instid1(VALU_DEP_1)
	v_mul_lo_u32 v2, v2, s4
	v_sub_nc_u32_e32 v2, v3, v2
	s_delay_alu instid0(VALU_DEP_1)
	v_mad_u32 v4, v2, s0, v4
	v_mad_u32 v12, v2, s1, v12
.LBB25_1140:
	v_cmp_ne_u32_e32 vcc_lo, 1, v1
	v_add_nc_u32_e32 v0, 0x100, v0
	s_cbranch_vccnz .LBB25_1146
; %bb.1141:
	s_cmp_lg_u32 s28, 0
	s_mov_b32 s10, 0
	s_cbranch_scc0 .LBB25_1147
; %bb.1142:
	s_min_u32 s1, s29, 15
	s_delay_alu instid0(SALU_CYCLE_1)
	s_add_co_i32 s1, s1, 1
	s_cmp_eq_u32 s29, 2
	s_cbranch_scc1 .LBB25_1148
; %bb.1143:
	v_dual_mov_b32 v2, 0 :: v_dual_mov_b32 v10, 0
	v_mov_b32_e32 v5, v0
	s_and_b32 s0, s1, 28
	s_add_nc_u64 s[4:5], s[2:3], 0xc4
	s_mov_b32 s11, 0
	s_mov_b64 s[6:7], s[2:3]
.LBB25_1144:                            ; =>This Inner Loop Header: Depth=1
	s_clause 0x1
	s_load_b256 s[12:19], s[6:7], 0x4
	s_load_b128 s[36:39], s[6:7], 0x24
	s_load_b256 s[20:27], s[4:5], 0x0
	s_add_co_i32 s11, s11, 4
	s_wait_xcnt 0x0
	s_add_nc_u64 s[6:7], s[6:7], 48
	s_cmp_lg_u32 s0, s11
	s_add_nc_u64 s[4:5], s[4:5], 32
	s_wait_kmcnt 0x0
	v_mul_hi_u32 v3, s13, v5
	s_delay_alu instid0(VALU_DEP_1) | instskip(NEXT) | instid1(VALU_DEP_1)
	v_add_nc_u32_e32 v3, v5, v3
	v_lshrrev_b32_e32 v3, s14, v3
	s_delay_alu instid0(VALU_DEP_1) | instskip(NEXT) | instid1(VALU_DEP_1)
	v_mul_hi_u32 v7, s16, v3
	v_add_nc_u32_e32 v7, v3, v7
	s_delay_alu instid0(VALU_DEP_1) | instskip(NEXT) | instid1(VALU_DEP_1)
	v_lshrrev_b32_e32 v7, s17, v7
	v_mul_hi_u32 v8, s19, v7
	s_delay_alu instid0(VALU_DEP_1) | instskip(NEXT) | instid1(VALU_DEP_1)
	v_add_nc_u32_e32 v8, v7, v8
	v_lshrrev_b32_e32 v8, s36, v8
	v_mul_lo_u32 v11, v3, s12
	s_delay_alu instid0(VALU_DEP_2) | instskip(NEXT) | instid1(VALU_DEP_2)
	v_mul_hi_u32 v13, s38, v8
	v_sub_nc_u32_e32 v5, v5, v11
	s_delay_alu instid0(VALU_DEP_1) | instskip(SKIP_1) | instid1(VALU_DEP_4)
	v_mad_u32 v10, v5, s21, v10
	v_mad_u32 v2, v5, s20, v2
	v_add_nc_u32_e32 v5, v8, v13
	s_delay_alu instid0(VALU_DEP_1) | instskip(SKIP_1) | instid1(VALU_DEP_1)
	v_lshrrev_b32_e32 v5, s39, v5
	v_mul_lo_u32 v11, v7, s15
	v_sub_nc_u32_e32 v3, v3, v11
	v_mul_lo_u32 v11, v8, s18
	s_delay_alu instid0(VALU_DEP_2) | instskip(SKIP_1) | instid1(VALU_DEP_3)
	v_mad_u32 v10, v3, s23, v10
	v_mad_u32 v2, v3, s22, v2
	v_sub_nc_u32_e32 v3, v7, v11
	v_mul_lo_u32 v7, v5, s37
	s_delay_alu instid0(VALU_DEP_2) | instskip(NEXT) | instid1(VALU_DEP_4)
	v_mad_u32 v10, v3, s25, v10
	v_mad_u32 v2, v3, s24, v2
	s_delay_alu instid0(VALU_DEP_3) | instskip(NEXT) | instid1(VALU_DEP_1)
	v_sub_nc_u32_e32 v3, v8, v7
	v_mad_u32 v10, v3, s27, v10
	s_delay_alu instid0(VALU_DEP_3)
	v_mad_u32 v2, v3, s26, v2
	s_cbranch_scc1 .LBB25_1144
; %bb.1145:
	s_delay_alu instid0(VALU_DEP_2)
	v_mov_b32_e32 v3, v10
	s_and_b32 s6, s1, 3
	s_mov_b32 s1, 0
	s_cmp_eq_u32 s6, 0
	s_cbranch_scc0 .LBB25_1149
	s_branch .LBB25_1152
.LBB25_1146:
	s_mov_b32 s10, -1
                                        ; implicit-def: $vgpr10
                                        ; implicit-def: $vgpr2
	s_branch .LBB25_1152
.LBB25_1147:
	v_dual_mov_b32 v10, 0 :: v_dual_mov_b32 v2, 0
	s_branch .LBB25_1152
.LBB25_1148:
	v_mov_b64_e32 v[2:3], 0
	v_mov_b32_e32 v5, v0
	s_mov_b32 s0, 0
                                        ; implicit-def: $vgpr10
	s_and_b32 s6, s1, 3
	s_mov_b32 s1, 0
	s_cmp_eq_u32 s6, 0
	s_cbranch_scc1 .LBB25_1152
.LBB25_1149:
	s_lshl_b32 s4, s0, 3
	s_mov_b32 s5, s1
	s_mul_u64 s[12:13], s[0:1], 12
	s_add_nc_u64 s[4:5], s[2:3], s[4:5]
	s_delay_alu instid0(SALU_CYCLE_1)
	s_add_nc_u64 s[0:1], s[4:5], 0xc4
	s_add_nc_u64 s[4:5], s[2:3], s[12:13]
.LBB25_1150:                            ; =>This Inner Loop Header: Depth=1
	s_load_b96 s[12:14], s[4:5], 0x4
	s_add_co_i32 s6, s6, -1
	s_wait_xcnt 0x0
	s_add_nc_u64 s[4:5], s[4:5], 12
	s_cmp_lg_u32 s6, 0
	s_wait_kmcnt 0x0
	v_mul_hi_u32 v7, s13, v5
	s_delay_alu instid0(VALU_DEP_1) | instskip(NEXT) | instid1(VALU_DEP_1)
	v_add_nc_u32_e32 v7, v5, v7
	v_lshrrev_b32_e32 v7, s14, v7
	s_load_b64 s[14:15], s[0:1], 0x0
	s_wait_xcnt 0x0
	s_add_nc_u64 s[0:1], s[0:1], 8
	s_delay_alu instid0(VALU_DEP_1) | instskip(NEXT) | instid1(VALU_DEP_1)
	v_mul_lo_u32 v8, v7, s12
	v_sub_nc_u32_e32 v5, v5, v8
	s_wait_kmcnt 0x0
	s_delay_alu instid0(VALU_DEP_1)
	v_mad_u32 v3, v5, s15, v3
	v_mad_u32 v2, v5, s14, v2
	v_mov_b32_e32 v5, v7
	s_cbranch_scc1 .LBB25_1150
; %bb.1151:
	s_delay_alu instid0(VALU_DEP_3)
	v_mov_b32_e32 v10, v3
.LBB25_1152:
	s_and_not1_b32 vcc_lo, exec_lo, s10
	s_cbranch_vccnz .LBB25_1155
; %bb.1153:
	s_clause 0x1
	s_load_b96 s[4:6], s[2:3], 0x4
	s_load_b64 s[0:1], s[2:3], 0xc4
	s_cmp_lt_u32 s28, 2
	s_wait_kmcnt 0x0
	v_mul_hi_u32 v2, s5, v0
	s_delay_alu instid0(VALU_DEP_1) | instskip(NEXT) | instid1(VALU_DEP_1)
	v_add_nc_u32_e32 v2, v0, v2
	v_lshrrev_b32_e32 v3, s6, v2
	s_delay_alu instid0(VALU_DEP_1) | instskip(NEXT) | instid1(VALU_DEP_1)
	v_mul_lo_u32 v2, v3, s4
	v_sub_nc_u32_e32 v0, v0, v2
	s_delay_alu instid0(VALU_DEP_1)
	v_mul_lo_u32 v10, v0, s1
	v_mul_lo_u32 v2, v0, s0
	s_cbranch_scc1 .LBB25_1155
; %bb.1154:
	s_clause 0x1
	s_load_b96 s[4:6], s[2:3], 0x10
	s_load_b64 s[0:1], s[2:3], 0xcc
	s_wait_kmcnt 0x0
	v_mul_hi_u32 v0, s5, v3
	s_delay_alu instid0(VALU_DEP_1) | instskip(NEXT) | instid1(VALU_DEP_1)
	v_add_nc_u32_e32 v0, v3, v0
	v_lshrrev_b32_e32 v0, s6, v0
	s_delay_alu instid0(VALU_DEP_1) | instskip(NEXT) | instid1(VALU_DEP_1)
	v_mul_lo_u32 v0, v0, s4
	v_sub_nc_u32_e32 v0, v3, v0
	s_delay_alu instid0(VALU_DEP_1)
	v_mad_u32 v2, v0, s0, v2
	v_mad_u32 v10, v0, s1, v10
.LBB25_1155:
	v_cmp_ne_u32_e32 vcc_lo, 1, v1
	s_cbranch_vccnz .LBB25_1161
; %bb.1156:
	s_cmp_lg_u32 s28, 0
	s_mov_b32 s10, 0
	s_cbranch_scc0 .LBB25_1162
; %bb.1157:
	s_min_u32 s1, s29, 15
	s_delay_alu instid0(SALU_CYCLE_1)
	s_add_co_i32 s1, s1, 1
	s_cmp_eq_u32 s29, 2
	s_cbranch_scc1 .LBB25_1163
; %bb.1158:
	v_dual_mov_b32 v0, 0 :: v_dual_mov_b32 v8, 0
	v_mov_b32_e32 v3, v9
	s_and_b32 s0, s1, 28
	s_add_nc_u64 s[4:5], s[2:3], 0xc4
	s_mov_b32 s11, 0
	s_mov_b64 s[6:7], s[2:3]
.LBB25_1159:                            ; =>This Inner Loop Header: Depth=1
	s_clause 0x1
	s_load_b256 s[12:19], s[6:7], 0x4
	s_load_b128 s[36:39], s[6:7], 0x24
	s_load_b256 s[20:27], s[4:5], 0x0
	s_add_co_i32 s11, s11, 4
	s_wait_xcnt 0x0
	s_add_nc_u64 s[6:7], s[6:7], 48
	s_cmp_lg_u32 s0, s11
	s_add_nc_u64 s[4:5], s[4:5], 32
	s_wait_kmcnt 0x0
	v_mul_hi_u32 v1, s13, v3
	s_delay_alu instid0(VALU_DEP_1) | instskip(NEXT) | instid1(VALU_DEP_1)
	v_add_nc_u32_e32 v1, v3, v1
	v_lshrrev_b32_e32 v1, s14, v1
	s_delay_alu instid0(VALU_DEP_1) | instskip(NEXT) | instid1(VALU_DEP_1)
	v_mul_lo_u32 v11, v1, s12
	v_sub_nc_u32_e32 v3, v3, v11
	v_mul_hi_u32 v5, s16, v1
	s_delay_alu instid0(VALU_DEP_2) | instskip(SKIP_1) | instid1(VALU_DEP_3)
	v_mad_u32 v8, v3, s21, v8
	v_mad_u32 v0, v3, s20, v0
	v_add_nc_u32_e32 v5, v1, v5
	s_delay_alu instid0(VALU_DEP_1) | instskip(NEXT) | instid1(VALU_DEP_1)
	v_lshrrev_b32_e32 v5, s17, v5
	v_mul_lo_u32 v11, v5, s15
	s_delay_alu instid0(VALU_DEP_1) | instskip(SKIP_1) | instid1(VALU_DEP_2)
	v_sub_nc_u32_e32 v1, v1, v11
	v_mul_hi_u32 v7, s19, v5
	v_mad_u32 v8, v1, s23, v8
	v_mad_u32 v0, v1, s22, v0
	s_delay_alu instid0(VALU_DEP_3) | instskip(NEXT) | instid1(VALU_DEP_1)
	v_add_nc_u32_e32 v7, v5, v7
	v_lshrrev_b32_e32 v7, s36, v7
	s_delay_alu instid0(VALU_DEP_1) | instskip(SKIP_1) | instid1(VALU_DEP_1)
	v_mul_hi_u32 v13, s38, v7
	v_mul_lo_u32 v11, v7, s18
	v_dual_add_nc_u32 v3, v7, v13 :: v_dual_sub_nc_u32 v1, v5, v11
	s_delay_alu instid0(VALU_DEP_1) | instskip(NEXT) | instid1(VALU_DEP_2)
	v_lshrrev_b32_e32 v3, s39, v3
	v_mad_u32 v8, v1, s25, v8
	v_mad_u32 v0, v1, s24, v0
	s_delay_alu instid0(VALU_DEP_3) | instskip(NEXT) | instid1(VALU_DEP_1)
	v_mul_lo_u32 v5, v3, s37
	v_sub_nc_u32_e32 v1, v7, v5
	s_delay_alu instid0(VALU_DEP_1) | instskip(NEXT) | instid1(VALU_DEP_4)
	v_mad_u32 v8, v1, s27, v8
	v_mad_u32 v0, v1, s26, v0
	s_cbranch_scc1 .LBB25_1159
; %bb.1160:
	s_delay_alu instid0(VALU_DEP_2)
	v_mov_b32_e32 v1, v8
	s_and_b32 s6, s1, 3
	s_mov_b32 s1, 0
	s_cmp_eq_u32 s6, 0
	s_cbranch_scc0 .LBB25_1164
	s_branch .LBB25_1167
.LBB25_1161:
	s_mov_b32 s10, -1
                                        ; implicit-def: $vgpr8
                                        ; implicit-def: $vgpr0
	s_branch .LBB25_1167
.LBB25_1162:
	v_dual_mov_b32 v8, 0 :: v_dual_mov_b32 v0, 0
	s_branch .LBB25_1167
.LBB25_1163:
	v_mov_b64_e32 v[0:1], 0
	v_mov_b32_e32 v3, v9
	s_mov_b32 s0, 0
                                        ; implicit-def: $vgpr8
	s_and_b32 s6, s1, 3
	s_mov_b32 s1, 0
	s_cmp_eq_u32 s6, 0
	s_cbranch_scc1 .LBB25_1167
.LBB25_1164:
	s_lshl_b32 s4, s0, 3
	s_mov_b32 s5, s1
	s_mul_u64 s[12:13], s[0:1], 12
	s_add_nc_u64 s[4:5], s[2:3], s[4:5]
	s_delay_alu instid0(SALU_CYCLE_1)
	s_add_nc_u64 s[0:1], s[4:5], 0xc4
	s_add_nc_u64 s[4:5], s[2:3], s[12:13]
.LBB25_1165:                            ; =>This Inner Loop Header: Depth=1
	s_load_b96 s[12:14], s[4:5], 0x4
	s_add_co_i32 s6, s6, -1
	s_wait_xcnt 0x0
	s_add_nc_u64 s[4:5], s[4:5], 12
	s_cmp_lg_u32 s6, 0
	s_wait_kmcnt 0x0
	v_mul_hi_u32 v5, s13, v3
	s_delay_alu instid0(VALU_DEP_1) | instskip(NEXT) | instid1(VALU_DEP_1)
	v_add_nc_u32_e32 v5, v3, v5
	v_lshrrev_b32_e32 v5, s14, v5
	s_load_b64 s[14:15], s[0:1], 0x0
	s_wait_xcnt 0x0
	s_add_nc_u64 s[0:1], s[0:1], 8
	s_delay_alu instid0(VALU_DEP_1) | instskip(NEXT) | instid1(VALU_DEP_1)
	v_mul_lo_u32 v7, v5, s12
	v_sub_nc_u32_e32 v3, v3, v7
	s_wait_kmcnt 0x0
	s_delay_alu instid0(VALU_DEP_1)
	v_mad_u32 v1, v3, s15, v1
	v_mad_u32 v0, v3, s14, v0
	v_mov_b32_e32 v3, v5
	s_cbranch_scc1 .LBB25_1165
; %bb.1166:
	s_delay_alu instid0(VALU_DEP_3)
	v_mov_b32_e32 v8, v1
.LBB25_1167:
	s_and_not1_b32 vcc_lo, exec_lo, s10
	s_cbranch_vccnz .LBB25_1170
; %bb.1168:
	s_clause 0x1
	s_load_b96 s[4:6], s[2:3], 0x4
	s_load_b64 s[0:1], s[2:3], 0xc4
	s_cmp_lt_u32 s28, 2
	s_wait_kmcnt 0x0
	v_mul_hi_u32 v0, s5, v9
	s_delay_alu instid0(VALU_DEP_1) | instskip(NEXT) | instid1(VALU_DEP_1)
	v_add_nc_u32_e32 v0, v9, v0
	v_lshrrev_b32_e32 v1, s6, v0
	s_delay_alu instid0(VALU_DEP_1) | instskip(NEXT) | instid1(VALU_DEP_1)
	v_mul_lo_u32 v0, v1, s4
	v_sub_nc_u32_e32 v0, v9, v0
	s_delay_alu instid0(VALU_DEP_1)
	v_mul_lo_u32 v8, v0, s1
	v_mul_lo_u32 v0, v0, s0
	s_cbranch_scc1 .LBB25_1170
; %bb.1169:
	s_clause 0x1
	s_load_b96 s[4:6], s[2:3], 0x10
	s_load_b64 s[0:1], s[2:3], 0xcc
	s_wait_kmcnt 0x0
	v_mul_hi_u32 v3, s5, v1
	s_delay_alu instid0(VALU_DEP_1) | instskip(NEXT) | instid1(VALU_DEP_1)
	v_add_nc_u32_e32 v3, v1, v3
	v_lshrrev_b32_e32 v3, s6, v3
	s_delay_alu instid0(VALU_DEP_1) | instskip(NEXT) | instid1(VALU_DEP_1)
	v_mul_lo_u32 v3, v3, s4
	v_sub_nc_u32_e32 v1, v1, v3
	s_delay_alu instid0(VALU_DEP_1)
	v_mad_u32 v0, v1, s0, v0
	v_mad_u32 v8, v1, s1, v8
.LBB25_1170:
	v_mov_b32_e32 v15, 0
	s_load_b128 s[4:7], s[2:3], 0x148
	global_load_u8 v1, v15, s[2:3] offset:346
	s_wait_kmcnt 0x0
	v_add_nc_u64_e32 v[14:15], s[6:7], v[14:15]
	s_wait_loadcnt 0x0
	v_and_b32_e32 v3, 0xffff, v1
	v_readfirstlane_b32 s11, v1
	s_delay_alu instid0(VALU_DEP_2)
	v_cmp_gt_i32_e32 vcc_lo, 11, v3
	s_cbranch_vccnz .LBB25_1177
; %bb.1171:
	s_and_b32 s0, 0xffff, s11
	s_mov_b32 s12, 0
	s_cmp_gt_i32 s0, 25
	s_cbranch_scc0 .LBB25_1179
; %bb.1172:
	s_cmp_gt_i32 s0, 28
	s_cbranch_scc0 .LBB25_1180
; %bb.1173:
	;; [unrolled: 3-line block ×4, first 2 shown]
	s_cmp_eq_u32 s0, 46
	s_mov_b32 s10, 0
	s_cbranch_scc0 .LBB25_1185
; %bb.1176:
	global_load_b32 v1, v[14:15], off
	s_mov_b32 s1, 0
	s_mov_b32 s13, -1
	s_wait_loadcnt 0x0
	v_lshlrev_b32_e32 v1, 16, v1
	s_delay_alu instid0(VALU_DEP_1)
	v_cvt_f16_f32_e32 v1, v1
	s_branch .LBB25_1187
.LBB25_1177:
	s_mov_b32 s13, 0
	s_mov_b32 s10, s8
                                        ; implicit-def: $vgpr1
	s_cbranch_execnz .LBB25_1250
.LBB25_1178:
	s_and_not1_b32 vcc_lo, exec_lo, s13
	s_cbranch_vccz .LBB25_1295
	s_branch .LBB25_2132
.LBB25_1179:
	s_mov_b32 s13, 0
	s_mov_b32 s1, 0
                                        ; implicit-def: $vgpr1
	s_cbranch_execnz .LBB25_1215
	s_branch .LBB25_1246
.LBB25_1180:
	s_mov_b32 s10, -1
	s_mov_b32 s13, 0
	s_mov_b32 s1, 0
                                        ; implicit-def: $vgpr1
	s_branch .LBB25_1196
.LBB25_1181:
	s_mov_b32 s13, 0
	s_mov_b32 s1, 0
                                        ; implicit-def: $vgpr1
	s_cbranch_execnz .LBB25_1192
	s_branch .LBB25_1195
.LBB25_1182:
	s_mov_b32 s10, -1
	s_mov_b32 s13, 0
	s_mov_b32 s1, 0
	s_branch .LBB25_1186
.LBB25_1183:
	s_and_not1_saveexec_b32 s9, s9
	s_cbranch_execz .LBB25_1019
.LBB25_1184:
	v_add_f32_e64 v4, 0x46000000, |v2|
	s_and_not1_b32 s8, s8, exec_lo
	s_delay_alu instid0(VALU_DEP_1) | instskip(NEXT) | instid1(VALU_DEP_1)
	v_and_b32_e32 v4, 0xff, v4
	v_cmp_ne_u32_e32 vcc_lo, 0, v4
	s_and_b32 s10, vcc_lo, exec_lo
	s_delay_alu instid0(SALU_CYCLE_1)
	s_or_b32 s8, s8, s10
	s_or_b32 exec_lo, exec_lo, s9
	v_mov_b32_e32 v5, 0
	s_and_saveexec_b32 s9, s8
	s_cbranch_execnz .LBB25_1020
	s_branch .LBB25_1021
.LBB25_1185:
	s_mov_b32 s1, -1
	s_mov_b32 s13, 0
.LBB25_1186:
                                        ; implicit-def: $vgpr1
.LBB25_1187:
	s_and_b32 vcc_lo, exec_lo, s10
	s_cbranch_vccz .LBB25_1190
; %bb.1188:
	s_cmp_eq_u32 s0, 44
	s_cbranch_scc0 .LBB25_1191
; %bb.1189:
	global_load_u8 v1, v[14:15], off
	s_mov_b32 s1, 0
	s_mov_b32 s13, -1
	s_wait_loadcnt 0x0
	v_lshlrev_b32_e32 v3, 23, v1
	v_cmp_ne_u32_e32 vcc_lo, 0xff, v1
	s_delay_alu instid0(VALU_DEP_2) | instskip(NEXT) | instid1(VALU_DEP_1)
	v_cvt_f16_f32_e32 v3, v3
	v_cndmask_b32_e32 v3, 0x7e00, v3, vcc_lo
	v_cmp_ne_u32_e32 vcc_lo, 0, v1
	s_delay_alu instid0(VALU_DEP_2)
	v_cndmask_b32_e32 v1, 0, v3, vcc_lo
.LBB25_1190:
	s_branch .LBB25_1195
.LBB25_1191:
	s_mov_b32 s1, -1
                                        ; implicit-def: $vgpr1
	s_branch .LBB25_1195
.LBB25_1192:
	s_cmp_eq_u32 s0, 29
	s_cbranch_scc0 .LBB25_1194
; %bb.1193:
	global_load_b64 v[16:17], v[14:15], off
	s_mov_b32 s1, 0
	s_mov_b32 s13, -1
	s_mov_b32 s10, 0
	s_wait_loadcnt 0x0
	v_clz_i32_u32_e32 v1, v17
	s_delay_alu instid0(VALU_DEP_1) | instskip(NEXT) | instid1(VALU_DEP_1)
	v_min_u32_e32 v1, 32, v1
	v_lshlrev_b64_e32 v[16:17], v1, v[16:17]
	v_sub_nc_u32_e32 v1, 32, v1
	s_delay_alu instid0(VALU_DEP_2) | instskip(NEXT) | instid1(VALU_DEP_1)
	v_min_u32_e32 v3, 1, v16
	v_or_b32_e32 v3, v17, v3
	s_delay_alu instid0(VALU_DEP_1) | instskip(NEXT) | instid1(VALU_DEP_1)
	v_cvt_f32_u32_e32 v3, v3
	v_ldexp_f32 v1, v3, v1
	s_delay_alu instid0(VALU_DEP_1)
	v_cvt_f16_f32_e32 v1, v1
	s_branch .LBB25_1196
.LBB25_1194:
	s_mov_b32 s1, -1
                                        ; implicit-def: $vgpr1
.LBB25_1195:
	s_mov_b32 s10, 0
.LBB25_1196:
	s_delay_alu instid0(SALU_CYCLE_1)
	s_and_b32 vcc_lo, exec_lo, s10
	s_cbranch_vccz .LBB25_1214
; %bb.1197:
	s_cmp_lt_i32 s0, 27
	s_cbranch_scc1 .LBB25_1200
; %bb.1198:
	s_cmp_gt_i32 s0, 27
	s_cbranch_scc0 .LBB25_1201
; %bb.1199:
	global_load_b32 v1, v[14:15], off
	s_mov_b32 s10, 0
	s_wait_loadcnt 0x0
	v_cvt_f32_u32_e32 v1, v1
	s_delay_alu instid0(VALU_DEP_1)
	v_cvt_f16_f32_e32 v1, v1
	s_branch .LBB25_1202
.LBB25_1200:
	s_mov_b32 s10, -1
                                        ; implicit-def: $vgpr1
	s_branch .LBB25_1205
.LBB25_1201:
	s_mov_b32 s10, -1
                                        ; implicit-def: $vgpr1
.LBB25_1202:
	s_delay_alu instid0(SALU_CYCLE_1)
	s_and_not1_b32 vcc_lo, exec_lo, s10
	s_cbranch_vccnz .LBB25_1204
; %bb.1203:
	global_load_u16 v1, v[14:15], off
	s_wait_loadcnt 0x0
	v_cvt_f16_u16_e32 v1, v1
.LBB25_1204:
	s_mov_b32 s10, 0
.LBB25_1205:
	s_delay_alu instid0(SALU_CYCLE_1)
	s_and_not1_b32 vcc_lo, exec_lo, s10
	s_cbranch_vccnz .LBB25_1213
; %bb.1206:
	global_load_u8 v3, v[14:15], off
	s_mov_b32 s10, 0
	s_mov_b32 s13, exec_lo
	s_wait_loadcnt 0x0
	v_cmpx_lt_i16_e32 0x7f, v3
	s_xor_b32 s13, exec_lo, s13
	s_cbranch_execz .LBB25_1226
; %bb.1207:
	s_mov_b32 s10, -1
	s_mov_b32 s14, exec_lo
	v_cmpx_eq_u16_e32 0x80, v3
; %bb.1208:
	s_xor_b32 s10, exec_lo, -1
; %bb.1209:
	s_or_b32 exec_lo, exec_lo, s14
	s_delay_alu instid0(SALU_CYCLE_1)
	s_and_b32 s10, s10, exec_lo
	s_or_saveexec_b32 s13, s13
	v_mov_b32_e32 v1, 0x7e00
	s_xor_b32 exec_lo, exec_lo, s13
	s_cbranch_execnz .LBB25_1227
.LBB25_1210:
	s_or_b32 exec_lo, exec_lo, s13
	s_and_saveexec_b32 s13, s10
	s_cbranch_execz .LBB25_1212
.LBB25_1211:
	v_and_b32_e32 v1, 0xffff, v3
	s_delay_alu instid0(VALU_DEP_1) | instskip(SKIP_1) | instid1(VALU_DEP_2)
	v_and_b32_e32 v5, 7, v1
	v_bfe_u32 v11, v1, 3, 4
	v_clz_i32_u32_e32 v7, v5
	s_delay_alu instid0(VALU_DEP_2) | instskip(NEXT) | instid1(VALU_DEP_2)
	v_cmp_eq_u32_e32 vcc_lo, 0, v11
	v_min_u32_e32 v7, 32, v7
	s_delay_alu instid0(VALU_DEP_1) | instskip(NEXT) | instid1(VALU_DEP_1)
	v_subrev_nc_u32_e32 v9, 28, v7
	v_dual_lshlrev_b32 v1, v9, v1 :: v_dual_sub_nc_u32 v7, 29, v7
	s_delay_alu instid0(VALU_DEP_1) | instskip(NEXT) | instid1(VALU_DEP_1)
	v_dual_lshlrev_b32 v3, 24, v3 :: v_dual_bitop2_b32 v1, 7, v1 bitop3:0x40
	v_dual_cndmask_b32 v1, v5, v1, vcc_lo :: v_dual_cndmask_b32 v7, v11, v7, vcc_lo
	s_delay_alu instid0(VALU_DEP_2) | instskip(NEXT) | instid1(VALU_DEP_2)
	v_and_b32_e32 v3, 0x80000000, v3
	v_lshlrev_b32_e32 v1, 20, v1
	s_delay_alu instid0(VALU_DEP_3) | instskip(NEXT) | instid1(VALU_DEP_1)
	v_lshl_add_u32 v5, v7, 23, 0x3b800000
	v_or3_b32 v1, v3, v5, v1
	s_delay_alu instid0(VALU_DEP_1)
	v_cvt_f16_f32_e32 v1, v1
.LBB25_1212:
	s_or_b32 exec_lo, exec_lo, s13
.LBB25_1213:
	s_mov_b32 s13, -1
.LBB25_1214:
	s_branch .LBB25_1246
.LBB25_1215:
	s_cmp_gt_i32 s0, 22
	s_cbranch_scc0 .LBB25_1225
; %bb.1216:
	s_cmp_lt_i32 s0, 24
	s_cbranch_scc1 .LBB25_1228
; %bb.1217:
	s_cmp_gt_i32 s0, 24
	s_cbranch_scc0 .LBB25_1229
; %bb.1218:
	global_load_u8 v3, v[14:15], off
	s_mov_b32 s10, 0
	s_mov_b32 s12, exec_lo
	s_wait_loadcnt 0x0
	v_cmpx_lt_i16_e32 0x7f, v3
	s_xor_b32 s12, exec_lo, s12
	s_cbranch_execz .LBB25_1240
; %bb.1219:
	s_mov_b32 s10, -1
	s_mov_b32 s13, exec_lo
	v_cmpx_eq_u16_e32 0x80, v3
; %bb.1220:
	s_xor_b32 s10, exec_lo, -1
; %bb.1221:
	s_or_b32 exec_lo, exec_lo, s13
	s_delay_alu instid0(SALU_CYCLE_1)
	s_and_b32 s10, s10, exec_lo
	s_or_saveexec_b32 s12, s12
	v_mov_b32_e32 v1, 0x7e00
	s_xor_b32 exec_lo, exec_lo, s12
	s_cbranch_execnz .LBB25_1241
.LBB25_1222:
	s_or_b32 exec_lo, exec_lo, s12
	s_and_saveexec_b32 s12, s10
	s_cbranch_execz .LBB25_1224
.LBB25_1223:
	v_and_b32_e32 v1, 0xffff, v3
	s_delay_alu instid0(VALU_DEP_1) | instskip(SKIP_1) | instid1(VALU_DEP_2)
	v_and_b32_e32 v5, 3, v1
	v_bfe_u32 v11, v1, 2, 5
	v_clz_i32_u32_e32 v7, v5
	s_delay_alu instid0(VALU_DEP_2) | instskip(NEXT) | instid1(VALU_DEP_2)
	v_cmp_eq_u32_e32 vcc_lo, 0, v11
	v_min_u32_e32 v7, 32, v7
	s_delay_alu instid0(VALU_DEP_1) | instskip(NEXT) | instid1(VALU_DEP_1)
	v_subrev_nc_u32_e32 v9, 29, v7
	v_dual_lshlrev_b32 v1, v9, v1 :: v_dual_sub_nc_u32 v7, 30, v7
	s_delay_alu instid0(VALU_DEP_1) | instskip(NEXT) | instid1(VALU_DEP_1)
	v_dual_lshlrev_b32 v3, 24, v3 :: v_dual_bitop2_b32 v1, 3, v1 bitop3:0x40
	v_dual_cndmask_b32 v1, v5, v1, vcc_lo :: v_dual_cndmask_b32 v7, v11, v7, vcc_lo
	s_delay_alu instid0(VALU_DEP_2) | instskip(NEXT) | instid1(VALU_DEP_2)
	v_and_b32_e32 v3, 0x80000000, v3
	v_lshlrev_b32_e32 v1, 21, v1
	s_delay_alu instid0(VALU_DEP_3) | instskip(NEXT) | instid1(VALU_DEP_1)
	v_lshl_add_u32 v5, v7, 23, 0x37800000
	v_or3_b32 v1, v3, v5, v1
	s_delay_alu instid0(VALU_DEP_1)
	v_cvt_f16_f32_e32 v1, v1
.LBB25_1224:
	s_or_b32 exec_lo, exec_lo, s12
	s_mov_b32 s10, 0
	s_branch .LBB25_1230
.LBB25_1225:
                                        ; implicit-def: $vgpr1
	s_mov_b32 s12, 0
	s_branch .LBB25_1236
.LBB25_1226:
	s_or_saveexec_b32 s13, s13
	v_mov_b32_e32 v1, 0x7e00
	s_xor_b32 exec_lo, exec_lo, s13
	s_cbranch_execz .LBB25_1210
.LBB25_1227:
	v_cmp_ne_u16_e32 vcc_lo, 0, v3
	v_mov_b32_e32 v1, v3
	s_and_not1_b32 s10, s10, exec_lo
	s_and_b32 s14, vcc_lo, exec_lo
	s_delay_alu instid0(SALU_CYCLE_1)
	s_or_b32 s10, s10, s14
	s_or_b32 exec_lo, exec_lo, s13
	s_and_saveexec_b32 s13, s10
	s_cbranch_execnz .LBB25_1211
	s_branch .LBB25_1212
.LBB25_1228:
	s_mov_b32 s10, -1
                                        ; implicit-def: $vgpr1
	s_branch .LBB25_1233
.LBB25_1229:
	s_mov_b32 s10, -1
                                        ; implicit-def: $vgpr1
.LBB25_1230:
	s_delay_alu instid0(SALU_CYCLE_1)
	s_and_b32 vcc_lo, exec_lo, s10
	s_cbranch_vccz .LBB25_1232
; %bb.1231:
	global_load_u8 v1, v[14:15], off
	s_wait_loadcnt 0x0
	v_lshlrev_b32_e32 v1, 24, v1
	s_delay_alu instid0(VALU_DEP_1) | instskip(NEXT) | instid1(VALU_DEP_1)
	v_and_b32_e32 v3, 0x7f000000, v1
	v_clz_i32_u32_e32 v5, v3
	v_add_nc_u32_e32 v9, 0x1000000, v3
	v_cmp_ne_u32_e32 vcc_lo, 0, v3
	s_delay_alu instid0(VALU_DEP_3) | instskip(NEXT) | instid1(VALU_DEP_1)
	v_min_u32_e32 v5, 32, v5
	v_sub_nc_u32_e64 v5, v5, 4 clamp
	s_delay_alu instid0(VALU_DEP_1) | instskip(NEXT) | instid1(VALU_DEP_1)
	v_dual_lshlrev_b32 v7, v5, v3 :: v_dual_lshlrev_b32 v5, 23, v5
	v_lshrrev_b32_e32 v7, 4, v7
	s_delay_alu instid0(VALU_DEP_1) | instskip(SKIP_1) | instid1(VALU_DEP_2)
	v_sub_nc_u32_e32 v5, v7, v5
	v_ashrrev_i32_e32 v7, 8, v9
	v_add_nc_u32_e32 v5, 0x3c000000, v5
	s_delay_alu instid0(VALU_DEP_1) | instskip(NEXT) | instid1(VALU_DEP_1)
	v_and_or_b32 v5, 0x7f800000, v7, v5
	v_cndmask_b32_e32 v3, 0, v5, vcc_lo
	s_delay_alu instid0(VALU_DEP_1) | instskip(NEXT) | instid1(VALU_DEP_1)
	v_and_or_b32 v1, 0x80000000, v1, v3
	v_cvt_f16_f32_e32 v1, v1
.LBB25_1232:
	s_mov_b32 s10, 0
.LBB25_1233:
	s_delay_alu instid0(SALU_CYCLE_1)
	s_and_not1_b32 vcc_lo, exec_lo, s10
	s_cbranch_vccnz .LBB25_1235
; %bb.1234:
	global_load_u8 v1, v[14:15], off
	s_wait_loadcnt 0x0
	v_lshlrev_b32_e32 v3, 25, v1
	v_lshlrev_b16 v1, 8, v1
	s_delay_alu instid0(VALU_DEP_1) | instskip(SKIP_1) | instid1(VALU_DEP_2)
	v_and_or_b32 v7, 0x7f00, v1, 0.5
	v_bfe_i32 v1, v1, 0, 16
	v_add_f32_e32 v7, -0.5, v7
	v_lshrrev_b32_e32 v5, 4, v3
	v_cmp_gt_u32_e32 vcc_lo, 0x8000000, v3
	s_delay_alu instid0(VALU_DEP_2) | instskip(NEXT) | instid1(VALU_DEP_1)
	v_or_b32_e32 v5, 0x70000000, v5
	v_mul_f32_e32 v5, 0x7800000, v5
	s_delay_alu instid0(VALU_DEP_1) | instskip(NEXT) | instid1(VALU_DEP_1)
	v_cndmask_b32_e32 v3, v5, v7, vcc_lo
	v_and_or_b32 v1, 0x80000000, v1, v3
	s_delay_alu instid0(VALU_DEP_1)
	v_cvt_f16_f32_e32 v1, v1
.LBB25_1235:
	s_mov_b32 s13, -1
	s_mov_b32 s12, 0
	s_cbranch_execnz .LBB25_1246
.LBB25_1236:
	s_cmp_gt_i32 s0, 14
	s_cbranch_scc0 .LBB25_1239
; %bb.1237:
	s_cmp_eq_u32 s0, 15
	s_cbranch_scc0 .LBB25_1242
; %bb.1238:
	global_load_u16 v1, v[14:15], off
	s_mov_b32 s1, 0
	s_mov_b32 s13, -1
	s_wait_loadcnt 0x0
	v_lshlrev_b32_e32 v1, 16, v1
	s_delay_alu instid0(VALU_DEP_1)
	v_cvt_f16_f32_e32 v1, v1
	s_branch .LBB25_1243
.LBB25_1239:
	s_mov_b32 s10, -1
                                        ; implicit-def: $vgpr1
	s_branch .LBB25_1244
.LBB25_1240:
	s_or_saveexec_b32 s12, s12
	v_mov_b32_e32 v1, 0x7e00
	s_xor_b32 exec_lo, exec_lo, s12
	s_cbranch_execz .LBB25_1222
.LBB25_1241:
	v_cmp_ne_u16_e32 vcc_lo, 0, v3
	v_mov_b32_e32 v1, v3
	s_and_not1_b32 s10, s10, exec_lo
	s_and_b32 s13, vcc_lo, exec_lo
	s_delay_alu instid0(SALU_CYCLE_1)
	s_or_b32 s10, s10, s13
	s_or_b32 exec_lo, exec_lo, s12
	s_and_saveexec_b32 s12, s10
	s_cbranch_execnz .LBB25_1223
	s_branch .LBB25_1224
.LBB25_1242:
	s_mov_b32 s1, -1
                                        ; implicit-def: $vgpr1
.LBB25_1243:
	s_mov_b32 s10, 0
.LBB25_1244:
	s_delay_alu instid0(SALU_CYCLE_1)
	s_and_b32 vcc_lo, exec_lo, s10
	s_cbranch_vccz .LBB25_1246
; %bb.1245:
	s_cmp_lg_u32 s0, 11
	s_mov_b32 s12, -1
	s_cselect_b32 s1, -1, 0
.LBB25_1246:
	s_delay_alu instid0(SALU_CYCLE_1)
	s_and_b32 vcc_lo, exec_lo, s1
	s_mov_b32 s10, s8
	s_cbranch_vccnz .LBB25_1311
; %bb.1247:
	s_and_not1_b32 vcc_lo, exec_lo, s12
	s_cbranch_vccnz .LBB25_1249
.LBB25_1248:
	global_load_u8 v1, v[14:15], off
	s_mov_b32 s13, -1
	s_wait_loadcnt 0x0
	v_cmp_ne_u16_e32 vcc_lo, 0, v1
	v_cndmask_b32_e64 v1, 0, 0x3c00, vcc_lo
.LBB25_1249:
	s_branch .LBB25_1178
.LBB25_1250:
	s_and_b32 s0, 0xffff, s11
	s_delay_alu instid0(SALU_CYCLE_1)
	s_cmp_lt_i32 s0, 5
	s_cbranch_scc1 .LBB25_1255
; %bb.1251:
	s_cmp_lt_i32 s0, 8
	s_cbranch_scc1 .LBB25_1256
; %bb.1252:
	;; [unrolled: 3-line block ×3, first 2 shown]
	s_cmp_gt_i32 s0, 9
	s_cbranch_scc0 .LBB25_1258
; %bb.1254:
	global_load_b64 v[16:17], v[14:15], off
	s_mov_b32 s1, 0
	s_wait_loadcnt 0x0
	v_and_or_b32 v1, 0x1ff, v17, v16
	v_lshrrev_b32_e32 v3, 8, v17
	v_bfe_u32 v5, v17, 20, 11
	s_delay_alu instid0(VALU_DEP_3) | instskip(NEXT) | instid1(VALU_DEP_2)
	v_cmp_ne_u32_e32 vcc_lo, 0, v1
	v_sub_nc_u32_e32 v7, 0x3f1, v5
	v_add_nc_u32_e32 v5, 0xfffffc10, v5
	v_cndmask_b32_e64 v1, 0, 1, vcc_lo
	s_delay_alu instid0(VALU_DEP_1) | instskip(NEXT) | instid1(VALU_DEP_4)
	v_and_or_b32 v1, 0xffe, v3, v1
	v_med3_i32 v3, v7, 0, 13
	s_delay_alu instid0(VALU_DEP_2) | instskip(NEXT) | instid1(VALU_DEP_1)
	v_or_b32_e32 v7, 0x1000, v1
	v_lshrrev_b32_e32 v9, v3, v7
	s_delay_alu instid0(VALU_DEP_1) | instskip(NEXT) | instid1(VALU_DEP_1)
	v_lshlrev_b32_e32 v3, v3, v9
	v_cmp_ne_u32_e32 vcc_lo, v3, v7
	v_lshl_or_b32 v7, v5, 12, v1
	v_cndmask_b32_e64 v3, 0, 1, vcc_lo
	v_cmp_gt_i32_e32 vcc_lo, 1, v5
	s_delay_alu instid0(VALU_DEP_2) | instskip(NEXT) | instid1(VALU_DEP_1)
	v_or_b32_e32 v3, v9, v3
	v_cndmask_b32_e32 v3, v7, v3, vcc_lo
	s_delay_alu instid0(VALU_DEP_1) | instskip(NEXT) | instid1(VALU_DEP_1)
	v_and_b32_e32 v7, 7, v3
	v_cmp_lt_i32_e32 vcc_lo, 5, v7
	v_cndmask_b32_e64 v9, 0, 1, vcc_lo
	v_cmp_eq_u32_e32 vcc_lo, 3, v7
	v_cndmask_b32_e64 v7, 0, 1, vcc_lo
	v_cmp_ne_u32_e32 vcc_lo, 0, v1
	s_delay_alu instid0(VALU_DEP_2) | instskip(SKIP_1) | instid1(VALU_DEP_2)
	v_dual_lshrrev_b32 v3, 2, v3 :: v_dual_bitop2_b32 v7, v7, v9 bitop3:0x54
	v_mov_b32_e32 v9, 0x7e00
	v_add_nc_u32_e32 v3, v3, v7
	s_delay_alu instid0(VALU_DEP_2) | instskip(SKIP_1) | instid1(VALU_DEP_3)
	v_cndmask_b32_e32 v1, 0x7c00, v9, vcc_lo
	v_cmp_gt_i32_e32 vcc_lo, 31, v5
	v_cndmask_b32_e32 v3, 0x7c00, v3, vcc_lo
	v_cmp_eq_u32_e32 vcc_lo, 0x40f, v5
	s_delay_alu instid0(VALU_DEP_2) | instskip(SKIP_1) | instid1(VALU_DEP_1)
	v_cndmask_b32_e32 v1, v3, v1, vcc_lo
	v_lshrrev_b32_e32 v3, 16, v17
	v_and_or_b32 v1, 0x8000, v3, v1
	s_branch .LBB25_1259
.LBB25_1255:
                                        ; implicit-def: $vgpr1
	s_branch .LBB25_1276
.LBB25_1256:
                                        ; implicit-def: $vgpr1
	s_branch .LBB25_1265
.LBB25_1257:
	s_mov_b32 s1, -1
                                        ; implicit-def: $vgpr1
	s_branch .LBB25_1262
.LBB25_1258:
	s_mov_b32 s1, -1
                                        ; implicit-def: $vgpr1
.LBB25_1259:
	s_delay_alu instid0(SALU_CYCLE_1)
	s_and_not1_b32 vcc_lo, exec_lo, s1
	s_cbranch_vccnz .LBB25_1261
; %bb.1260:
	global_load_b32 v1, v[14:15], off
	s_wait_loadcnt 0x0
	v_cvt_f16_f32_e32 v1, v1
.LBB25_1261:
	s_mov_b32 s1, 0
.LBB25_1262:
	s_delay_alu instid0(SALU_CYCLE_1)
	s_and_not1_b32 vcc_lo, exec_lo, s1
	s_cbranch_vccnz .LBB25_1264
; %bb.1263:
	global_load_b32 v1, v[14:15], off
.LBB25_1264:
	s_cbranch_execnz .LBB25_1275
.LBB25_1265:
	s_cmp_lt_i32 s0, 6
	s_cbranch_scc1 .LBB25_1268
; %bb.1266:
	s_cmp_gt_i32 s0, 6
	s_cbranch_scc0 .LBB25_1269
; %bb.1267:
	global_load_b64 v[16:17], v[14:15], off
	s_mov_b32 s1, 0
	s_wait_loadcnt 0x0
	v_and_or_b32 v1, 0x1ff, v17, v16
	v_lshrrev_b32_e32 v3, 8, v17
	v_bfe_u32 v5, v17, 20, 11
	s_delay_alu instid0(VALU_DEP_3) | instskip(NEXT) | instid1(VALU_DEP_2)
	v_cmp_ne_u32_e32 vcc_lo, 0, v1
	v_sub_nc_u32_e32 v7, 0x3f1, v5
	v_add_nc_u32_e32 v5, 0xfffffc10, v5
	v_cndmask_b32_e64 v1, 0, 1, vcc_lo
	s_delay_alu instid0(VALU_DEP_1) | instskip(NEXT) | instid1(VALU_DEP_4)
	v_and_or_b32 v1, 0xffe, v3, v1
	v_med3_i32 v3, v7, 0, 13
	s_delay_alu instid0(VALU_DEP_2) | instskip(NEXT) | instid1(VALU_DEP_1)
	v_or_b32_e32 v7, 0x1000, v1
	v_lshrrev_b32_e32 v9, v3, v7
	s_delay_alu instid0(VALU_DEP_1) | instskip(NEXT) | instid1(VALU_DEP_1)
	v_lshlrev_b32_e32 v3, v3, v9
	v_cmp_ne_u32_e32 vcc_lo, v3, v7
	v_lshl_or_b32 v7, v5, 12, v1
	v_cndmask_b32_e64 v3, 0, 1, vcc_lo
	v_cmp_gt_i32_e32 vcc_lo, 1, v5
	s_delay_alu instid0(VALU_DEP_2) | instskip(NEXT) | instid1(VALU_DEP_1)
	v_or_b32_e32 v3, v9, v3
	v_cndmask_b32_e32 v3, v7, v3, vcc_lo
	s_delay_alu instid0(VALU_DEP_1) | instskip(NEXT) | instid1(VALU_DEP_1)
	v_and_b32_e32 v7, 7, v3
	v_cmp_lt_i32_e32 vcc_lo, 5, v7
	v_cndmask_b32_e64 v9, 0, 1, vcc_lo
	v_cmp_eq_u32_e32 vcc_lo, 3, v7
	v_cndmask_b32_e64 v7, 0, 1, vcc_lo
	v_cmp_ne_u32_e32 vcc_lo, 0, v1
	s_delay_alu instid0(VALU_DEP_2) | instskip(SKIP_1) | instid1(VALU_DEP_2)
	v_dual_lshrrev_b32 v3, 2, v3 :: v_dual_bitop2_b32 v7, v7, v9 bitop3:0x54
	v_mov_b32_e32 v9, 0x7e00
	v_add_nc_u32_e32 v3, v3, v7
	s_delay_alu instid0(VALU_DEP_2) | instskip(SKIP_1) | instid1(VALU_DEP_3)
	v_cndmask_b32_e32 v1, 0x7c00, v9, vcc_lo
	v_cmp_gt_i32_e32 vcc_lo, 31, v5
	v_cndmask_b32_e32 v3, 0x7c00, v3, vcc_lo
	v_cmp_eq_u32_e32 vcc_lo, 0x40f, v5
	s_delay_alu instid0(VALU_DEP_2) | instskip(SKIP_1) | instid1(VALU_DEP_1)
	v_cndmask_b32_e32 v1, v3, v1, vcc_lo
	v_lshrrev_b32_e32 v3, 16, v17
	v_and_or_b32 v1, 0x8000, v3, v1
	s_branch .LBB25_1270
.LBB25_1268:
	s_mov_b32 s1, -1
                                        ; implicit-def: $vgpr1
	s_branch .LBB25_1273
.LBB25_1269:
	s_mov_b32 s1, -1
                                        ; implicit-def: $vgpr1
.LBB25_1270:
	s_delay_alu instid0(SALU_CYCLE_1)
	s_and_not1_b32 vcc_lo, exec_lo, s1
	s_cbranch_vccnz .LBB25_1272
; %bb.1271:
	s_wait_loadcnt 0x0
	global_load_b32 v1, v[14:15], off
	s_wait_loadcnt 0x0
	v_cvt_f16_f32_e32 v1, v1
.LBB25_1272:
	s_mov_b32 s1, 0
.LBB25_1273:
	s_delay_alu instid0(SALU_CYCLE_1)
	s_and_not1_b32 vcc_lo, exec_lo, s1
	s_cbranch_vccnz .LBB25_1275
; %bb.1274:
	s_wait_loadcnt 0x0
	global_load_u16 v1, v[14:15], off
.LBB25_1275:
	s_cbranch_execnz .LBB25_1294
.LBB25_1276:
	s_cmp_lt_i32 s0, 2
	s_cbranch_scc1 .LBB25_1280
; %bb.1277:
	s_cmp_lt_i32 s0, 3
	s_cbranch_scc1 .LBB25_1281
; %bb.1278:
	s_cmp_gt_i32 s0, 3
	s_cbranch_scc0 .LBB25_1282
; %bb.1279:
	global_load_b64 v[16:17], v[14:15], off
	s_mov_b32 s1, 0
	s_wait_loadcnt 0x0
	v_xor_b32_e32 v1, v16, v17
	v_cls_i32_e32 v3, v17
	s_delay_alu instid0(VALU_DEP_2) | instskip(NEXT) | instid1(VALU_DEP_1)
	v_ashrrev_i32_e32 v1, 31, v1
	v_add_nc_u32_e32 v1, 32, v1
	s_delay_alu instid0(VALU_DEP_1) | instskip(NEXT) | instid1(VALU_DEP_1)
	v_add_min_u32_e64 v1, v3, -1, v1
	v_lshlrev_b64_e32 v[16:17], v1, v[16:17]
	v_sub_nc_u32_e32 v1, 32, v1
	s_delay_alu instid0(VALU_DEP_2) | instskip(NEXT) | instid1(VALU_DEP_1)
	v_min_u32_e32 v3, 1, v16
	v_or_b32_e32 v3, v17, v3
	s_delay_alu instid0(VALU_DEP_1) | instskip(NEXT) | instid1(VALU_DEP_1)
	v_cvt_f32_i32_e32 v3, v3
	v_ldexp_f32 v1, v3, v1
	s_delay_alu instid0(VALU_DEP_1)
	v_cvt_f16_f32_e32 v1, v1
	s_branch .LBB25_1283
.LBB25_1280:
                                        ; implicit-def: $vgpr1
	s_branch .LBB25_1289
.LBB25_1281:
	s_mov_b32 s1, -1
                                        ; implicit-def: $vgpr1
	s_branch .LBB25_1286
.LBB25_1282:
	s_mov_b32 s1, -1
                                        ; implicit-def: $vgpr1
.LBB25_1283:
	s_delay_alu instid0(SALU_CYCLE_1)
	s_and_not1_b32 vcc_lo, exec_lo, s1
	s_cbranch_vccnz .LBB25_1285
; %bb.1284:
	s_wait_loadcnt 0x0
	global_load_b32 v1, v[14:15], off
	s_wait_loadcnt 0x0
	v_cvt_f32_i32_e32 v1, v1
	s_delay_alu instid0(VALU_DEP_1)
	v_cvt_f16_f32_e32 v1, v1
.LBB25_1285:
	s_mov_b32 s1, 0
.LBB25_1286:
	s_delay_alu instid0(SALU_CYCLE_1)
	s_and_not1_b32 vcc_lo, exec_lo, s1
	s_cbranch_vccnz .LBB25_1288
; %bb.1287:
	s_wait_loadcnt 0x0
	global_load_u16 v1, v[14:15], off
	s_wait_loadcnt 0x0
	v_cvt_f16_i16_e32 v1, v1
.LBB25_1288:
	s_cbranch_execnz .LBB25_1294
.LBB25_1289:
	s_cmp_gt_i32 s0, 0
	s_mov_b32 s0, 0
	s_cbranch_scc0 .LBB25_1291
; %bb.1290:
	s_wait_loadcnt 0x0
	global_load_i8 v1, v[14:15], off
	s_wait_loadcnt 0x0
	v_cvt_f16_i16_e32 v1, v1
	s_branch .LBB25_1292
.LBB25_1291:
	s_mov_b32 s0, -1
                                        ; implicit-def: $vgpr1
.LBB25_1292:
	s_delay_alu instid0(SALU_CYCLE_1)
	s_and_not1_b32 vcc_lo, exec_lo, s0
	s_cbranch_vccnz .LBB25_1294
; %bb.1293:
	s_wait_loadcnt 0x0
	global_load_u8 v1, v[14:15], off
	s_wait_loadcnt 0x0
	v_cvt_f16_u16_e32 v1, v1
.LBB25_1294:
.LBB25_1295:
	s_wait_loadcnt 0x0
	s_delay_alu instid0(VALU_DEP_1) | instskip(SKIP_1) | instid1(VALU_DEP_1)
	v_cvt_f32_f16_e32 v1, v1
                                        ; implicit-def: $vgpr14
                                        ; implicit-def: $vgpr5
	s_mov_b32 s1, exec_lo
	v_and_b32_e32 v3, 0x7fffffff, v1
	s_wait_xcnt 0x0
	v_cmpx_ngt_f32_e64 0x48000000, |v1|
	s_xor_b32 s12, exec_lo, s1
	s_cbranch_execz .LBB25_1297
; %bb.1296:
	s_mov_b32 s0, 0x7fffff
	v_mov_b32_e32 v15, 0
	v_and_or_b32 v14, v3, s0, 0x800000
	s_mov_b64 s[0:1], 0xfe5163ab
	v_lshrrev_b32_e32 v5, 23, v3
	s_delay_alu instid0(VALU_DEP_2) | instskip(NEXT) | instid1(VALU_DEP_1)
	v_mul_u64_e32 v[16:17], s[0:1], v[14:15]
	v_dual_mov_b32 v18, v17 :: v_dual_mov_b32 v19, v15
	v_dual_mov_b32 v21, v15 :: v_dual_mov_b32 v23, v15
	v_mov_b32_e32 v25, v15
	s_delay_alu instid0(VALU_DEP_3) | instskip(NEXT) | instid1(VALU_DEP_1)
	v_mad_nc_u64_u32 v[18:19], 0x3c439041, v14, v[18:19]
	v_mov_b32_e32 v20, v19
	s_delay_alu instid0(VALU_DEP_1) | instskip(NEXT) | instid1(VALU_DEP_1)
	v_mad_nc_u64_u32 v[20:21], 0xdb629599, v14, v[20:21]
	v_mov_b32_e32 v22, v21
	s_delay_alu instid0(VALU_DEP_1) | instskip(NEXT) | instid1(VALU_DEP_1)
	;; [unrolled: 3-line block ×3, first 2 shown]
	v_mad_nc_u64_u32 v[24:25], 0xfc2757d1, v14, v[24:25]
	v_dual_mov_b32 v27, v15 :: v_dual_mov_b32 v26, v25
	s_delay_alu instid0(VALU_DEP_1) | instskip(NEXT) | instid1(VALU_DEP_1)
	v_mad_nc_u64_u32 v[26:27], 0x4e441529, v14, v[26:27]
	v_dual_mov_b32 v28, v27 :: v_dual_add_nc_u32 v5, 0xffffff88, v5
	s_delay_alu instid0(VALU_DEP_1) | instskip(SKIP_2) | instid1(VALU_DEP_2)
	v_cmp_lt_u32_e32 vcc_lo, 63, v5
	v_mov_b32_e32 v29, v15
	v_cndmask_b32_e64 v7, 0, 0xffffffc0, vcc_lo
	v_mad_nc_u64_u32 v[14:15], 0xa2f9836e, v14, v[28:29]
	v_dual_cndmask_b32 v9, v26, v22 :: v_dual_cndmask_b32 v16, v20, v16
	s_delay_alu instid0(VALU_DEP_3) | instskip(NEXT) | instid1(VALU_DEP_1)
	v_add_nc_u32_e32 v5, v7, v5
	v_cmp_lt_u32_e64 s0, 31, v5
	s_delay_alu instid0(VALU_DEP_4) | instskip(SKIP_1) | instid1(VALU_DEP_3)
	v_cndmask_b32_e32 v11, v14, v24, vcc_lo
	v_cndmask_b32_e32 v14, v24, v20, vcc_lo
	v_cndmask_b32_e64 v7, 0, 0xffffffe0, s0
	s_delay_alu instid0(VALU_DEP_1) | instskip(NEXT) | instid1(VALU_DEP_1)
	v_add_nc_u32_e32 v5, v7, v5
	v_cmp_lt_u32_e64 s1, 31, v5
	s_delay_alu instid0(VALU_DEP_1) | instskip(NEXT) | instid1(VALU_DEP_1)
	v_cndmask_b32_e64 v7, 0, 0xffffffe0, s1
	v_dual_add_nc_u32 v5, v7, v5 :: v_dual_cndmask_b32 v7, v22, v18, vcc_lo
	v_cndmask_b32_e32 v13, v15, v26, vcc_lo
	v_dual_cndmask_b32 v15, v11, v9, s0 :: v_dual_cndmask_b32 v9, v9, v14, s0
	s_delay_alu instid0(VALU_DEP_3) | instskip(NEXT) | instid1(VALU_DEP_4)
	v_cmp_eq_u32_e32 vcc_lo, 0, v5
	v_cndmask_b32_e64 v14, v14, v7, s0
	s_delay_alu instid0(VALU_DEP_4) | instskip(SKIP_1) | instid1(VALU_DEP_2)
	v_dual_cndmask_b32 v11, v13, v11, s0 :: v_dual_sub_nc_u32 v13, 32, v5
	v_cndmask_b32_e64 v7, v7, v16, s0
	v_cndmask_b32_e64 v11, v11, v15, s1
	s_delay_alu instid0(VALU_DEP_4) | instskip(NEXT) | instid1(VALU_DEP_1)
	v_dual_cndmask_b32 v15, v15, v9, s1 :: v_dual_cndmask_b32 v9, v9, v14, s1
	v_alignbit_b32 v17, v11, v15, v13
	s_delay_alu instid0(VALU_DEP_2) | instskip(NEXT) | instid1(VALU_DEP_2)
	v_alignbit_b32 v18, v15, v9, v13
	v_cndmask_b32_e32 v5, v17, v11, vcc_lo
	s_delay_alu instid0(VALU_DEP_2) | instskip(NEXT) | instid1(VALU_DEP_2)
	v_cndmask_b32_e32 v11, v18, v15, vcc_lo
	v_bfe_u32 v15, v5, 29, 1
	s_delay_alu instid0(VALU_DEP_1) | instskip(SKIP_1) | instid1(VALU_DEP_4)
	v_sub_nc_u32_e32 v16, 0, v15
	v_cndmask_b32_e64 v7, v14, v7, s1
	v_alignbit_b32 v14, v5, v11, 30
	s_delay_alu instid0(VALU_DEP_1) | instskip(NEXT) | instid1(VALU_DEP_3)
	v_xor_b32_e32 v14, v14, v16
	v_alignbit_b32 v13, v9, v7, v13
	s_delay_alu instid0(VALU_DEP_1) | instskip(NEXT) | instid1(VALU_DEP_3)
	v_cndmask_b32_e32 v9, v13, v9, vcc_lo
	v_clz_i32_u32_e32 v13, v14
	s_delay_alu instid0(VALU_DEP_2) | instskip(NEXT) | instid1(VALU_DEP_2)
	v_alignbit_b32 v7, v9, v7, 30
	v_min_u32_e32 v13, 32, v13
	s_delay_alu instid0(VALU_DEP_2) | instskip(SKIP_1) | instid1(VALU_DEP_1)
	v_xor_b32_e32 v7, v7, v16
	v_alignbit_b32 v11, v11, v9, 30
	v_dual_lshlrev_b32 v17, 23, v13 :: v_dual_bitop2_b32 v9, v11, v16 bitop3:0x14
	v_sub_nc_u32_e32 v11, 31, v13
	s_delay_alu instid0(VALU_DEP_1) | instskip(SKIP_2) | instid1(VALU_DEP_1)
	v_alignbit_b32 v14, v14, v9, v11
	v_lshrrev_b32_e32 v16, 29, v5
	v_alignbit_b32 v7, v9, v7, v11
	v_alignbit_b32 v11, v14, v7, 9
	s_delay_alu instid0(VALU_DEP_3) | instskip(NEXT) | instid1(VALU_DEP_2)
	v_dual_lshrrev_b32 v14, 9, v14 :: v_dual_lshlrev_b32 v9, 31, v16
	v_clz_i32_u32_e32 v18, v11
	s_delay_alu instid0(VALU_DEP_2) | instskip(SKIP_1) | instid1(VALU_DEP_2)
	v_or_b32_e32 v16, 0.5, v9
	v_or_b32_e32 v9, 0x33000000, v9
	v_sub_nc_u32_e32 v16, v16, v17
	s_delay_alu instid0(VALU_DEP_4) | instskip(NEXT) | instid1(VALU_DEP_1)
	v_min_u32_e32 v17, 32, v18
	v_add_lshl_u32 v13, v17, v13, 23
	s_delay_alu instid0(VALU_DEP_3) | instskip(SKIP_1) | instid1(VALU_DEP_3)
	v_or_b32_e32 v14, v14, v16
	v_not_b32_e32 v16, v17
	v_sub_nc_u32_e32 v9, v9, v13
	s_delay_alu instid0(VALU_DEP_2) | instskip(NEXT) | instid1(VALU_DEP_1)
	v_alignbit_b32 v7, v11, v7, v16
	v_lshrrev_b32_e32 v7, 9, v7
	s_delay_alu instid0(VALU_DEP_1) | instskip(SKIP_1) | instid1(VALU_DEP_1)
	v_or_b32_e32 v7, v9, v7
	v_mul_f32_e32 v18, 0x3fc90fda, v14
	v_fma_f32 v11, 0x3fc90fda, v14, -v18
	s_delay_alu instid0(VALU_DEP_1) | instskip(NEXT) | instid1(VALU_DEP_1)
	v_fmamk_f32 v11, v14, 0x33a22168, v11
	v_fmac_f32_e32 v11, 0x3fc90fda, v7
	s_delay_alu instid0(VALU_DEP_1) | instskip(NEXT) | instid1(VALU_DEP_1)
	v_dual_lshrrev_b32 v7, 30, v5 :: v_dual_add_f32 v5, v18, v11
	v_add_nc_u32_e32 v14, v15, v7
.LBB25_1297:
	s_and_not1_saveexec_b32 s0, s12
; %bb.1298:
	v_mul_f32_e64 v5, 0x3f22f983, |v1|
	s_delay_alu instid0(VALU_DEP_1) | instskip(NEXT) | instid1(VALU_DEP_1)
	v_rndne_f32_e32 v7, v5
	v_fma_f32 v5, 0xbfc90fda, v7, |v1|
	v_cvt_i32_f32_e32 v14, v7
	s_delay_alu instid0(VALU_DEP_2) | instskip(NEXT) | instid1(VALU_DEP_1)
	v_fmamk_f32 v5, v7, 0xb3a22168, v5
	v_fmamk_f32 v5, v7, 0xa7c234c4, v5
; %bb.1299:
	s_or_b32 exec_lo, exec_lo, s0
	v_mov_b32_e32 v13, 0
	s_and_b32 s11, 0xffff, s11
	s_delay_alu instid0(SALU_CYCLE_1) | instskip(NEXT) | instid1(VALU_DEP_1)
	s_cmp_lt_i32 s11, 11
	v_add_nc_u64_e32 v[12:13], s[6:7], v[12:13]
	s_cbranch_scc1 .LBB25_1306
; %bb.1300:
	s_cmp_gt_i32 s11, 25
	s_mov_b32 s1, 0
	s_cbranch_scc0 .LBB25_1308
; %bb.1301:
	s_cmp_gt_i32 s11, 28
	s_cbranch_scc0 .LBB25_1309
; %bb.1302:
	s_cmp_gt_i32 s11, 43
	;; [unrolled: 3-line block ×3, first 2 shown]
	s_cbranch_scc0 .LBB25_1312
; %bb.1304:
	s_cmp_eq_u32 s11, 46
	s_mov_b32 s13, 0
	s_cbranch_scc0 .LBB25_1315
; %bb.1305:
	global_load_b32 v7, v[12:13], off
	s_mov_b32 s0, 0
	s_mov_b32 s12, -1
	s_wait_loadcnt 0x0
	v_lshlrev_b32_e32 v7, 16, v7
	s_delay_alu instid0(VALU_DEP_1)
	v_cvt_f16_f32_e32 v7, v7
	s_branch .LBB25_1317
.LBB25_1306:
	s_mov_b32 s12, 0
                                        ; implicit-def: $vgpr7
	s_cbranch_execnz .LBB25_1382
.LBB25_1307:
	s_and_not1_b32 vcc_lo, exec_lo, s12
	s_cbranch_vccz .LBB25_1429
	s_branch .LBB25_2132
.LBB25_1308:
	s_mov_b32 s12, 0
	s_mov_b32 s0, 0
                                        ; implicit-def: $vgpr7
	s_cbranch_execnz .LBB25_1346
	s_branch .LBB25_1378
.LBB25_1309:
	s_mov_b32 s13, -1
	s_mov_b32 s12, 0
	s_mov_b32 s0, 0
                                        ; implicit-def: $vgpr7
	s_branch .LBB25_1327
.LBB25_1310:
	s_mov_b32 s13, -1
	s_mov_b32 s12, 0
	s_mov_b32 s0, 0
                                        ; implicit-def: $vgpr7
	s_branch .LBB25_1322
.LBB25_1311:
	s_or_b32 s10, s8, exec_lo
	s_trap 2
	s_cbranch_execz .LBB25_1248
	s_branch .LBB25_1249
.LBB25_1312:
	s_mov_b32 s13, -1
	s_mov_b32 s12, 0
	s_mov_b32 s0, 0
	s_branch .LBB25_1316
.LBB25_1313:
	s_and_not1_saveexec_b32 s10, s10
	s_cbranch_execz .LBB25_1031
.LBB25_1314:
	v_add_f32_e64 v4, 0x42800000, |v2|
	s_and_not1_b32 s9, s9, exec_lo
	s_delay_alu instid0(VALU_DEP_1) | instskip(NEXT) | instid1(VALU_DEP_1)
	v_and_b32_e32 v4, 0xff, v4
	v_cmp_ne_u32_e32 vcc_lo, 0, v4
	s_and_b32 s11, vcc_lo, exec_lo
	s_delay_alu instid0(SALU_CYCLE_1)
	s_or_b32 s9, s9, s11
	s_or_b32 exec_lo, exec_lo, s10
	v_mov_b32_e32 v5, 0
	s_and_saveexec_b32 s10, s9
	s_cbranch_execnz .LBB25_1032
	s_branch .LBB25_1033
.LBB25_1315:
	s_mov_b32 s0, -1
	s_mov_b32 s12, 0
.LBB25_1316:
                                        ; implicit-def: $vgpr7
.LBB25_1317:
	s_and_b32 vcc_lo, exec_lo, s13
	s_cbranch_vccz .LBB25_1321
; %bb.1318:
	s_cmp_eq_u32 s11, 44
	s_cbranch_scc0 .LBB25_1320
; %bb.1319:
	global_load_u8 v7, v[12:13], off
	s_mov_b32 s0, 0
	s_mov_b32 s12, -1
	s_wait_loadcnt 0x0
	v_lshlrev_b32_e32 v9, 23, v7
	v_cmp_ne_u32_e32 vcc_lo, 0xff, v7
	s_delay_alu instid0(VALU_DEP_2) | instskip(NEXT) | instid1(VALU_DEP_1)
	v_cvt_f16_f32_e32 v9, v9
	v_cndmask_b32_e32 v9, 0x7e00, v9, vcc_lo
	v_cmp_ne_u32_e32 vcc_lo, 0, v7
	s_delay_alu instid0(VALU_DEP_2)
	v_cndmask_b32_e32 v7, 0, v9, vcc_lo
	s_branch .LBB25_1321
.LBB25_1320:
	s_mov_b32 s0, -1
                                        ; implicit-def: $vgpr7
.LBB25_1321:
	s_mov_b32 s13, 0
.LBB25_1322:
	s_delay_alu instid0(SALU_CYCLE_1)
	s_and_b32 vcc_lo, exec_lo, s13
	s_cbranch_vccz .LBB25_1326
; %bb.1323:
	s_cmp_eq_u32 s11, 29
	s_cbranch_scc0 .LBB25_1325
; %bb.1324:
	global_load_b64 v[16:17], v[12:13], off
	s_mov_b32 s0, 0
	s_mov_b32 s12, -1
	s_mov_b32 s13, 0
	s_wait_loadcnt 0x0
	v_clz_i32_u32_e32 v7, v17
	s_delay_alu instid0(VALU_DEP_1) | instskip(NEXT) | instid1(VALU_DEP_1)
	v_min_u32_e32 v7, 32, v7
	v_lshlrev_b64_e32 v[16:17], v7, v[16:17]
	v_sub_nc_u32_e32 v7, 32, v7
	s_delay_alu instid0(VALU_DEP_2) | instskip(NEXT) | instid1(VALU_DEP_1)
	v_min_u32_e32 v9, 1, v16
	v_or_b32_e32 v9, v17, v9
	s_delay_alu instid0(VALU_DEP_1) | instskip(NEXT) | instid1(VALU_DEP_1)
	v_cvt_f32_u32_e32 v9, v9
	v_ldexp_f32 v7, v9, v7
	s_delay_alu instid0(VALU_DEP_1)
	v_cvt_f16_f32_e32 v7, v7
	s_branch .LBB25_1327
.LBB25_1325:
	s_mov_b32 s0, -1
                                        ; implicit-def: $vgpr7
.LBB25_1326:
	s_mov_b32 s13, 0
.LBB25_1327:
	s_delay_alu instid0(SALU_CYCLE_1)
	s_and_b32 vcc_lo, exec_lo, s13
	s_cbranch_vccz .LBB25_1345
; %bb.1328:
	s_cmp_lt_i32 s11, 27
	s_cbranch_scc1 .LBB25_1331
; %bb.1329:
	s_cmp_gt_i32 s11, 27
	s_cbranch_scc0 .LBB25_1332
; %bb.1330:
	global_load_b32 v7, v[12:13], off
	s_mov_b32 s12, 0
	s_wait_loadcnt 0x0
	v_cvt_f32_u32_e32 v7, v7
	s_delay_alu instid0(VALU_DEP_1)
	v_cvt_f16_f32_e32 v7, v7
	s_branch .LBB25_1333
.LBB25_1331:
	s_mov_b32 s12, -1
                                        ; implicit-def: $vgpr7
	s_branch .LBB25_1336
.LBB25_1332:
	s_mov_b32 s12, -1
                                        ; implicit-def: $vgpr7
.LBB25_1333:
	s_delay_alu instid0(SALU_CYCLE_1)
	s_and_not1_b32 vcc_lo, exec_lo, s12
	s_cbranch_vccnz .LBB25_1335
; %bb.1334:
	global_load_u16 v7, v[12:13], off
	s_wait_loadcnt 0x0
	v_cvt_f16_u16_e32 v7, v7
.LBB25_1335:
	s_mov_b32 s12, 0
.LBB25_1336:
	s_delay_alu instid0(SALU_CYCLE_1)
	s_and_not1_b32 vcc_lo, exec_lo, s12
	s_cbranch_vccnz .LBB25_1344
; %bb.1337:
	global_load_u8 v9, v[12:13], off
	s_mov_b32 s12, 0
	s_mov_b32 s13, exec_lo
	s_wait_loadcnt 0x0
	v_cmpx_lt_i16_e32 0x7f, v9
	s_xor_b32 s13, exec_lo, s13
	s_cbranch_execz .LBB25_1357
; %bb.1338:
	s_mov_b32 s12, -1
	s_mov_b32 s14, exec_lo
	v_cmpx_eq_u16_e32 0x80, v9
; %bb.1339:
	s_xor_b32 s12, exec_lo, -1
; %bb.1340:
	s_or_b32 exec_lo, exec_lo, s14
	s_delay_alu instid0(SALU_CYCLE_1)
	s_and_b32 s12, s12, exec_lo
	s_or_saveexec_b32 s13, s13
	v_mov_b32_e32 v7, 0x7e00
	s_xor_b32 exec_lo, exec_lo, s13
	s_cbranch_execnz .LBB25_1358
.LBB25_1341:
	s_or_b32 exec_lo, exec_lo, s13
	s_and_saveexec_b32 s13, s12
	s_cbranch_execz .LBB25_1343
.LBB25_1342:
	v_and_b32_e32 v7, 0xffff, v9
	s_delay_alu instid0(VALU_DEP_1) | instskip(SKIP_1) | instid1(VALU_DEP_2)
	v_dual_lshlrev_b32 v9, 24, v9 :: v_dual_bitop2_b32 v11, 7, v7 bitop3:0x40
	v_bfe_u32 v17, v7, 3, 4
	v_and_b32_e32 v9, 0x80000000, v9
	s_delay_alu instid0(VALU_DEP_3) | instskip(NEXT) | instid1(VALU_DEP_3)
	v_clz_i32_u32_e32 v15, v11
	v_cmp_eq_u32_e32 vcc_lo, 0, v17
	s_delay_alu instid0(VALU_DEP_2) | instskip(NEXT) | instid1(VALU_DEP_1)
	v_min_u32_e32 v15, 32, v15
	v_subrev_nc_u32_e32 v16, 28, v15
	v_sub_nc_u32_e32 v15, 29, v15
	s_delay_alu instid0(VALU_DEP_2) | instskip(NEXT) | instid1(VALU_DEP_2)
	v_lshlrev_b32_e32 v7, v16, v7
	v_cndmask_b32_e32 v15, v17, v15, vcc_lo
	s_delay_alu instid0(VALU_DEP_2) | instskip(NEXT) | instid1(VALU_DEP_1)
	v_and_b32_e32 v7, 7, v7
	v_cndmask_b32_e32 v7, v11, v7, vcc_lo
	s_delay_alu instid0(VALU_DEP_3) | instskip(NEXT) | instid1(VALU_DEP_2)
	v_lshl_add_u32 v11, v15, 23, 0x3b800000
	v_lshlrev_b32_e32 v7, 20, v7
	s_delay_alu instid0(VALU_DEP_1) | instskip(NEXT) | instid1(VALU_DEP_1)
	v_or3_b32 v7, v9, v11, v7
	v_cvt_f16_f32_e32 v7, v7
.LBB25_1343:
	s_or_b32 exec_lo, exec_lo, s13
.LBB25_1344:
	s_mov_b32 s12, -1
.LBB25_1345:
	s_branch .LBB25_1378
.LBB25_1346:
	s_cmp_gt_i32 s11, 22
	s_cbranch_scc0 .LBB25_1356
; %bb.1347:
	s_cmp_lt_i32 s11, 24
	s_cbranch_scc1 .LBB25_1359
; %bb.1348:
	s_cmp_gt_i32 s11, 24
	s_cbranch_scc0 .LBB25_1360
; %bb.1349:
	global_load_u8 v9, v[12:13], off
	s_mov_b32 s12, exec_lo
	s_wait_loadcnt 0x0
	v_cmpx_lt_i16_e32 0x7f, v9
	s_xor_b32 s12, exec_lo, s12
	s_cbranch_execz .LBB25_1372
; %bb.1350:
	s_mov_b32 s1, -1
	s_mov_b32 s13, exec_lo
	v_cmpx_eq_u16_e32 0x80, v9
; %bb.1351:
	s_xor_b32 s1, exec_lo, -1
; %bb.1352:
	s_or_b32 exec_lo, exec_lo, s13
	s_delay_alu instid0(SALU_CYCLE_1)
	s_and_b32 s1, s1, exec_lo
	s_or_saveexec_b32 s12, s12
	v_mov_b32_e32 v7, 0x7e00
	s_xor_b32 exec_lo, exec_lo, s12
	s_cbranch_execnz .LBB25_1373
.LBB25_1353:
	s_or_b32 exec_lo, exec_lo, s12
	s_and_saveexec_b32 s12, s1
	s_cbranch_execz .LBB25_1355
.LBB25_1354:
	v_and_b32_e32 v7, 0xffff, v9
	s_delay_alu instid0(VALU_DEP_1) | instskip(SKIP_1) | instid1(VALU_DEP_2)
	v_dual_lshlrev_b32 v9, 24, v9 :: v_dual_bitop2_b32 v11, 3, v7 bitop3:0x40
	v_bfe_u32 v17, v7, 2, 5
	v_and_b32_e32 v9, 0x80000000, v9
	s_delay_alu instid0(VALU_DEP_3) | instskip(NEXT) | instid1(VALU_DEP_3)
	v_clz_i32_u32_e32 v15, v11
	v_cmp_eq_u32_e32 vcc_lo, 0, v17
	s_delay_alu instid0(VALU_DEP_2) | instskip(NEXT) | instid1(VALU_DEP_1)
	v_min_u32_e32 v15, 32, v15
	v_subrev_nc_u32_e32 v16, 29, v15
	v_sub_nc_u32_e32 v15, 30, v15
	s_delay_alu instid0(VALU_DEP_2) | instskip(NEXT) | instid1(VALU_DEP_2)
	v_lshlrev_b32_e32 v7, v16, v7
	v_cndmask_b32_e32 v15, v17, v15, vcc_lo
	s_delay_alu instid0(VALU_DEP_2) | instskip(NEXT) | instid1(VALU_DEP_1)
	v_and_b32_e32 v7, 3, v7
	v_cndmask_b32_e32 v7, v11, v7, vcc_lo
	s_delay_alu instid0(VALU_DEP_3) | instskip(NEXT) | instid1(VALU_DEP_2)
	v_lshl_add_u32 v11, v15, 23, 0x37800000
	v_lshlrev_b32_e32 v7, 21, v7
	s_delay_alu instid0(VALU_DEP_1) | instskip(NEXT) | instid1(VALU_DEP_1)
	v_or3_b32 v7, v9, v11, v7
	v_cvt_f16_f32_e32 v7, v7
.LBB25_1355:
	s_or_b32 exec_lo, exec_lo, s12
	s_mov_b32 s1, 0
	s_branch .LBB25_1361
.LBB25_1356:
	s_mov_b32 s1, -1
                                        ; implicit-def: $vgpr7
	s_branch .LBB25_1367
.LBB25_1357:
	s_or_saveexec_b32 s13, s13
	v_mov_b32_e32 v7, 0x7e00
	s_xor_b32 exec_lo, exec_lo, s13
	s_cbranch_execz .LBB25_1341
.LBB25_1358:
	v_cmp_ne_u16_e32 vcc_lo, 0, v9
	v_mov_b32_e32 v7, v9
	s_and_not1_b32 s12, s12, exec_lo
	s_and_b32 s14, vcc_lo, exec_lo
	s_delay_alu instid0(SALU_CYCLE_1)
	s_or_b32 s12, s12, s14
	s_or_b32 exec_lo, exec_lo, s13
	s_and_saveexec_b32 s13, s12
	s_cbranch_execnz .LBB25_1342
	s_branch .LBB25_1343
.LBB25_1359:
	s_mov_b32 s1, -1
                                        ; implicit-def: $vgpr7
	s_branch .LBB25_1364
.LBB25_1360:
	s_mov_b32 s1, -1
                                        ; implicit-def: $vgpr7
.LBB25_1361:
	s_delay_alu instid0(SALU_CYCLE_1)
	s_and_b32 vcc_lo, exec_lo, s1
	s_cbranch_vccz .LBB25_1363
; %bb.1362:
	global_load_u8 v7, v[12:13], off
	s_wait_loadcnt 0x0
	v_lshlrev_b32_e32 v7, 24, v7
	s_delay_alu instid0(VALU_DEP_1) | instskip(NEXT) | instid1(VALU_DEP_1)
	v_and_b32_e32 v9, 0x7f000000, v7
	v_clz_i32_u32_e32 v11, v9
	v_cmp_ne_u32_e32 vcc_lo, 0, v9
	v_add_nc_u32_e32 v16, 0x1000000, v9
	s_delay_alu instid0(VALU_DEP_3) | instskip(NEXT) | instid1(VALU_DEP_1)
	v_min_u32_e32 v11, 32, v11
	v_sub_nc_u32_e64 v11, v11, 4 clamp
	s_delay_alu instid0(VALU_DEP_1) | instskip(NEXT) | instid1(VALU_DEP_1)
	v_dual_lshlrev_b32 v15, v11, v9 :: v_dual_lshlrev_b32 v11, 23, v11
	v_lshrrev_b32_e32 v15, 4, v15
	s_delay_alu instid0(VALU_DEP_1) | instskip(NEXT) | instid1(VALU_DEP_1)
	v_dual_sub_nc_u32 v11, v15, v11 :: v_dual_ashrrev_i32 v15, 8, v16
	v_add_nc_u32_e32 v11, 0x3c000000, v11
	s_delay_alu instid0(VALU_DEP_1) | instskip(NEXT) | instid1(VALU_DEP_1)
	v_and_or_b32 v11, 0x7f800000, v15, v11
	v_cndmask_b32_e32 v9, 0, v11, vcc_lo
	s_delay_alu instid0(VALU_DEP_1) | instskip(NEXT) | instid1(VALU_DEP_1)
	v_and_or_b32 v7, 0x80000000, v7, v9
	v_cvt_f16_f32_e32 v7, v7
.LBB25_1363:
	s_mov_b32 s1, 0
.LBB25_1364:
	s_delay_alu instid0(SALU_CYCLE_1)
	s_and_not1_b32 vcc_lo, exec_lo, s1
	s_cbranch_vccnz .LBB25_1366
; %bb.1365:
	global_load_u8 v7, v[12:13], off
	s_wait_loadcnt 0x0
	v_lshlrev_b32_e32 v9, 25, v7
	v_lshlrev_b16 v7, 8, v7
	s_delay_alu instid0(VALU_DEP_2) | instskip(NEXT) | instid1(VALU_DEP_2)
	v_cmp_gt_u32_e32 vcc_lo, 0x8000000, v9
	v_and_or_b32 v15, 0x7f00, v7, 0.5
	v_lshrrev_b32_e32 v11, 4, v9
	v_bfe_i32 v7, v7, 0, 16
	s_delay_alu instid0(VALU_DEP_3) | instskip(NEXT) | instid1(VALU_DEP_3)
	v_add_f32_e32 v15, -0.5, v15
	v_or_b32_e32 v11, 0x70000000, v11
	s_delay_alu instid0(VALU_DEP_1) | instskip(NEXT) | instid1(VALU_DEP_1)
	v_mul_f32_e32 v11, 0x7800000, v11
	v_cndmask_b32_e32 v9, v11, v15, vcc_lo
	s_delay_alu instid0(VALU_DEP_1) | instskip(NEXT) | instid1(VALU_DEP_1)
	v_and_or_b32 v7, 0x80000000, v7, v9
	v_cvt_f16_f32_e32 v7, v7
.LBB25_1366:
	s_mov_b32 s1, 0
	s_mov_b32 s12, -1
.LBB25_1367:
	s_and_not1_b32 vcc_lo, exec_lo, s1
	s_mov_b32 s1, 0
	s_cbranch_vccnz .LBB25_1378
; %bb.1368:
	s_cmp_gt_i32 s11, 14
	s_cbranch_scc0 .LBB25_1371
; %bb.1369:
	s_cmp_eq_u32 s11, 15
	s_cbranch_scc0 .LBB25_1374
; %bb.1370:
	global_load_u16 v7, v[12:13], off
	s_mov_b32 s0, 0
	s_mov_b32 s12, -1
	s_wait_loadcnt 0x0
	v_lshlrev_b32_e32 v7, 16, v7
	s_delay_alu instid0(VALU_DEP_1)
	v_cvt_f16_f32_e32 v7, v7
	s_branch .LBB25_1376
.LBB25_1371:
	s_mov_b32 s1, -1
	s_branch .LBB25_1375
.LBB25_1372:
	s_or_saveexec_b32 s12, s12
	v_mov_b32_e32 v7, 0x7e00
	s_xor_b32 exec_lo, exec_lo, s12
	s_cbranch_execz .LBB25_1353
.LBB25_1373:
	v_cmp_ne_u16_e32 vcc_lo, 0, v9
	v_mov_b32_e32 v7, v9
	s_and_not1_b32 s1, s1, exec_lo
	s_and_b32 s13, vcc_lo, exec_lo
	s_delay_alu instid0(SALU_CYCLE_1)
	s_or_b32 s1, s1, s13
	s_or_b32 exec_lo, exec_lo, s12
	s_and_saveexec_b32 s12, s1
	s_cbranch_execnz .LBB25_1354
	s_branch .LBB25_1355
.LBB25_1374:
	s_mov_b32 s0, -1
.LBB25_1375:
                                        ; implicit-def: $vgpr7
.LBB25_1376:
	s_and_b32 vcc_lo, exec_lo, s1
	s_mov_b32 s1, 0
	s_cbranch_vccz .LBB25_1378
; %bb.1377:
	s_cmp_lg_u32 s11, 11
	s_mov_b32 s1, -1
	s_cselect_b32 s0, -1, 0
.LBB25_1378:
	s_delay_alu instid0(SALU_CYCLE_1)
	s_and_b32 vcc_lo, exec_lo, s0
	s_cbranch_vccnz .LBB25_1445
; %bb.1379:
	s_and_not1_b32 vcc_lo, exec_lo, s1
	s_cbranch_vccnz .LBB25_1381
.LBB25_1380:
	global_load_u8 v7, v[12:13], off
	s_mov_b32 s12, -1
	s_wait_loadcnt 0x0
	v_cmp_ne_u16_e32 vcc_lo, 0, v7
	v_cndmask_b32_e64 v7, 0, 0x3c00, vcc_lo
.LBB25_1381:
	s_branch .LBB25_1307
.LBB25_1382:
	s_cmp_lt_i32 s11, 5
	s_cbranch_scc1 .LBB25_1387
; %bb.1383:
	s_cmp_lt_i32 s11, 8
	s_cbranch_scc1 .LBB25_1388
; %bb.1384:
	;; [unrolled: 3-line block ×3, first 2 shown]
	s_cmp_gt_i32 s11, 9
	s_cbranch_scc0 .LBB25_1390
; %bb.1386:
	global_load_b64 v[16:17], v[12:13], off
	s_mov_b32 s0, 0
	s_wait_loadcnt 0x0
	v_and_or_b32 v7, 0x1ff, v17, v16
	v_lshrrev_b32_e32 v9, 8, v17
	v_bfe_u32 v11, v17, 20, 11
	s_delay_alu instid0(VALU_DEP_3) | instskip(NEXT) | instid1(VALU_DEP_2)
	v_cmp_ne_u32_e32 vcc_lo, 0, v7
	v_sub_nc_u32_e32 v15, 0x3f1, v11
	v_add_nc_u32_e32 v11, 0xfffffc10, v11
	v_cndmask_b32_e64 v7, 0, 1, vcc_lo
	s_delay_alu instid0(VALU_DEP_1) | instskip(NEXT) | instid1(VALU_DEP_4)
	v_and_or_b32 v7, 0xffe, v9, v7
	v_med3_i32 v9, v15, 0, 13
	s_delay_alu instid0(VALU_DEP_2) | instskip(NEXT) | instid1(VALU_DEP_1)
	v_or_b32_e32 v15, 0x1000, v7
	v_lshrrev_b32_e32 v16, v9, v15
	s_delay_alu instid0(VALU_DEP_1) | instskip(NEXT) | instid1(VALU_DEP_1)
	v_lshlrev_b32_e32 v9, v9, v16
	v_cmp_ne_u32_e32 vcc_lo, v9, v15
	v_lshl_or_b32 v15, v11, 12, v7
	v_cndmask_b32_e64 v9, 0, 1, vcc_lo
	v_cmp_gt_i32_e32 vcc_lo, 1, v11
	s_delay_alu instid0(VALU_DEP_2) | instskip(NEXT) | instid1(VALU_DEP_1)
	v_or_b32_e32 v9, v16, v9
	v_cndmask_b32_e32 v9, v15, v9, vcc_lo
	s_delay_alu instid0(VALU_DEP_1) | instskip(NEXT) | instid1(VALU_DEP_1)
	v_dual_lshrrev_b32 v9, 2, v9 :: v_dual_bitop2_b32 v15, 7, v9 bitop3:0x40
	v_cmp_lt_i32_e32 vcc_lo, 5, v15
	v_cndmask_b32_e64 v16, 0, 1, vcc_lo
	v_cmp_eq_u32_e32 vcc_lo, 3, v15
	v_cndmask_b32_e64 v15, 0, 1, vcc_lo
	v_cmp_ne_u32_e32 vcc_lo, 0, v7
	s_delay_alu instid0(VALU_DEP_2) | instskip(NEXT) | instid1(VALU_DEP_1)
	v_or_b32_e32 v15, v15, v16
	v_dual_mov_b32 v16, 0x7e00 :: v_dual_add_nc_u32 v9, v9, v15
	s_delay_alu instid0(VALU_DEP_1) | instskip(SKIP_1) | instid1(VALU_DEP_3)
	v_cndmask_b32_e32 v7, 0x7c00, v16, vcc_lo
	v_cmp_gt_i32_e32 vcc_lo, 31, v11
	v_cndmask_b32_e32 v9, 0x7c00, v9, vcc_lo
	v_cmp_eq_u32_e32 vcc_lo, 0x40f, v11
	s_delay_alu instid0(VALU_DEP_2) | instskip(NEXT) | instid1(VALU_DEP_1)
	v_dual_cndmask_b32 v7, v9, v7, vcc_lo :: v_dual_lshrrev_b32 v9, 16, v17
	v_and_or_b32 v7, 0x8000, v9, v7
	s_branch .LBB25_1391
.LBB25_1387:
                                        ; implicit-def: $vgpr7
	s_branch .LBB25_1409
.LBB25_1388:
	s_mov_b32 s0, -1
                                        ; implicit-def: $vgpr7
	s_branch .LBB25_1397
.LBB25_1389:
	s_mov_b32 s0, -1
                                        ; implicit-def: $vgpr7
	s_branch .LBB25_1394
.LBB25_1390:
	s_mov_b32 s0, -1
                                        ; implicit-def: $vgpr7
.LBB25_1391:
	s_delay_alu instid0(SALU_CYCLE_1)
	s_and_not1_b32 vcc_lo, exec_lo, s0
	s_cbranch_vccnz .LBB25_1393
; %bb.1392:
	global_load_b32 v7, v[12:13], off
	s_wait_loadcnt 0x0
	v_cvt_f16_f32_e32 v7, v7
.LBB25_1393:
	s_mov_b32 s0, 0
.LBB25_1394:
	s_delay_alu instid0(SALU_CYCLE_1)
	s_and_not1_b32 vcc_lo, exec_lo, s0
	s_cbranch_vccnz .LBB25_1396
; %bb.1395:
	global_load_b32 v7, v[12:13], off
.LBB25_1396:
	s_mov_b32 s0, 0
.LBB25_1397:
	s_delay_alu instid0(SALU_CYCLE_1)
	s_and_not1_b32 vcc_lo, exec_lo, s0
	s_cbranch_vccnz .LBB25_1408
; %bb.1398:
	s_cmp_lt_i32 s11, 6
	s_cbranch_scc1 .LBB25_1401
; %bb.1399:
	s_cmp_gt_i32 s11, 6
	s_cbranch_scc0 .LBB25_1402
; %bb.1400:
	global_load_b64 v[16:17], v[12:13], off
	s_mov_b32 s0, 0
	s_wait_loadcnt 0x0
	v_and_or_b32 v7, 0x1ff, v17, v16
	v_lshrrev_b32_e32 v9, 8, v17
	v_bfe_u32 v11, v17, 20, 11
	s_delay_alu instid0(VALU_DEP_3) | instskip(NEXT) | instid1(VALU_DEP_2)
	v_cmp_ne_u32_e32 vcc_lo, 0, v7
	v_sub_nc_u32_e32 v15, 0x3f1, v11
	v_add_nc_u32_e32 v11, 0xfffffc10, v11
	v_cndmask_b32_e64 v7, 0, 1, vcc_lo
	s_delay_alu instid0(VALU_DEP_1) | instskip(NEXT) | instid1(VALU_DEP_4)
	v_and_or_b32 v7, 0xffe, v9, v7
	v_med3_i32 v9, v15, 0, 13
	s_delay_alu instid0(VALU_DEP_2) | instskip(NEXT) | instid1(VALU_DEP_1)
	v_or_b32_e32 v15, 0x1000, v7
	v_lshrrev_b32_e32 v16, v9, v15
	s_delay_alu instid0(VALU_DEP_1) | instskip(NEXT) | instid1(VALU_DEP_1)
	v_lshlrev_b32_e32 v9, v9, v16
	v_cmp_ne_u32_e32 vcc_lo, v9, v15
	v_lshl_or_b32 v15, v11, 12, v7
	v_cndmask_b32_e64 v9, 0, 1, vcc_lo
	v_cmp_gt_i32_e32 vcc_lo, 1, v11
	s_delay_alu instid0(VALU_DEP_2) | instskip(NEXT) | instid1(VALU_DEP_1)
	v_or_b32_e32 v9, v16, v9
	v_cndmask_b32_e32 v9, v15, v9, vcc_lo
	s_delay_alu instid0(VALU_DEP_1) | instskip(NEXT) | instid1(VALU_DEP_1)
	v_dual_lshrrev_b32 v9, 2, v9 :: v_dual_bitop2_b32 v15, 7, v9 bitop3:0x40
	v_cmp_lt_i32_e32 vcc_lo, 5, v15
	v_cndmask_b32_e64 v16, 0, 1, vcc_lo
	v_cmp_eq_u32_e32 vcc_lo, 3, v15
	v_cndmask_b32_e64 v15, 0, 1, vcc_lo
	v_cmp_ne_u32_e32 vcc_lo, 0, v7
	s_delay_alu instid0(VALU_DEP_2) | instskip(NEXT) | instid1(VALU_DEP_1)
	v_or_b32_e32 v15, v15, v16
	v_dual_mov_b32 v16, 0x7e00 :: v_dual_add_nc_u32 v9, v9, v15
	s_delay_alu instid0(VALU_DEP_1) | instskip(SKIP_1) | instid1(VALU_DEP_3)
	v_cndmask_b32_e32 v7, 0x7c00, v16, vcc_lo
	v_cmp_gt_i32_e32 vcc_lo, 31, v11
	v_cndmask_b32_e32 v9, 0x7c00, v9, vcc_lo
	v_cmp_eq_u32_e32 vcc_lo, 0x40f, v11
	s_delay_alu instid0(VALU_DEP_2) | instskip(NEXT) | instid1(VALU_DEP_1)
	v_dual_cndmask_b32 v7, v9, v7, vcc_lo :: v_dual_lshrrev_b32 v9, 16, v17
	v_and_or_b32 v7, 0x8000, v9, v7
	s_branch .LBB25_1403
.LBB25_1401:
	s_mov_b32 s0, -1
                                        ; implicit-def: $vgpr7
	s_branch .LBB25_1406
.LBB25_1402:
	s_mov_b32 s0, -1
                                        ; implicit-def: $vgpr7
.LBB25_1403:
	s_delay_alu instid0(SALU_CYCLE_1)
	s_and_not1_b32 vcc_lo, exec_lo, s0
	s_cbranch_vccnz .LBB25_1405
; %bb.1404:
	s_wait_loadcnt 0x0
	global_load_b32 v7, v[12:13], off
	s_wait_loadcnt 0x0
	v_cvt_f16_f32_e32 v7, v7
.LBB25_1405:
	s_mov_b32 s0, 0
.LBB25_1406:
	s_delay_alu instid0(SALU_CYCLE_1)
	s_and_not1_b32 vcc_lo, exec_lo, s0
	s_cbranch_vccnz .LBB25_1408
; %bb.1407:
	s_wait_loadcnt 0x0
	global_load_u16 v7, v[12:13], off
.LBB25_1408:
	s_cbranch_execnz .LBB25_1428
.LBB25_1409:
	s_cmp_lt_i32 s11, 2
	s_cbranch_scc1 .LBB25_1413
; %bb.1410:
	s_cmp_lt_i32 s11, 3
	s_cbranch_scc1 .LBB25_1414
; %bb.1411:
	s_cmp_gt_i32 s11, 3
	s_cbranch_scc0 .LBB25_1415
; %bb.1412:
	global_load_b64 v[16:17], v[12:13], off
	s_mov_b32 s0, 0
	s_wait_loadcnt 0x0
	v_xor_b32_e32 v7, v16, v17
	v_cls_i32_e32 v9, v17
	s_delay_alu instid0(VALU_DEP_2) | instskip(NEXT) | instid1(VALU_DEP_1)
	v_ashrrev_i32_e32 v7, 31, v7
	v_add_nc_u32_e32 v7, 32, v7
	s_delay_alu instid0(VALU_DEP_1) | instskip(NEXT) | instid1(VALU_DEP_1)
	v_add_min_u32_e64 v7, v9, -1, v7
	v_lshlrev_b64_e32 v[16:17], v7, v[16:17]
	v_sub_nc_u32_e32 v7, 32, v7
	s_delay_alu instid0(VALU_DEP_2) | instskip(NEXT) | instid1(VALU_DEP_1)
	v_min_u32_e32 v9, 1, v16
	v_or_b32_e32 v9, v17, v9
	s_delay_alu instid0(VALU_DEP_1) | instskip(NEXT) | instid1(VALU_DEP_1)
	v_cvt_f32_i32_e32 v9, v9
	v_ldexp_f32 v7, v9, v7
	s_delay_alu instid0(VALU_DEP_1)
	v_cvt_f16_f32_e32 v7, v7
	s_branch .LBB25_1416
.LBB25_1413:
	s_mov_b32 s0, -1
                                        ; implicit-def: $vgpr7
	s_branch .LBB25_1422
.LBB25_1414:
	s_mov_b32 s0, -1
                                        ; implicit-def: $vgpr7
	s_branch .LBB25_1419
.LBB25_1415:
	s_mov_b32 s0, -1
                                        ; implicit-def: $vgpr7
.LBB25_1416:
	s_delay_alu instid0(SALU_CYCLE_1)
	s_and_not1_b32 vcc_lo, exec_lo, s0
	s_cbranch_vccnz .LBB25_1418
; %bb.1417:
	s_wait_loadcnt 0x0
	global_load_b32 v7, v[12:13], off
	s_wait_loadcnt 0x0
	v_cvt_f32_i32_e32 v7, v7
	s_delay_alu instid0(VALU_DEP_1)
	v_cvt_f16_f32_e32 v7, v7
.LBB25_1418:
	s_mov_b32 s0, 0
.LBB25_1419:
	s_delay_alu instid0(SALU_CYCLE_1)
	s_and_not1_b32 vcc_lo, exec_lo, s0
	s_cbranch_vccnz .LBB25_1421
; %bb.1420:
	s_wait_loadcnt 0x0
	global_load_u16 v7, v[12:13], off
	s_wait_loadcnt 0x0
	v_cvt_f16_i16_e32 v7, v7
.LBB25_1421:
	s_mov_b32 s0, 0
.LBB25_1422:
	s_delay_alu instid0(SALU_CYCLE_1)
	s_and_not1_b32 vcc_lo, exec_lo, s0
	s_cbranch_vccnz .LBB25_1428
; %bb.1423:
	s_cmp_gt_i32 s11, 0
	s_mov_b32 s0, 0
	s_cbranch_scc0 .LBB25_1425
; %bb.1424:
	s_wait_loadcnt 0x0
	global_load_i8 v7, v[12:13], off
	s_wait_loadcnt 0x0
	v_cvt_f16_i16_e32 v7, v7
	s_branch .LBB25_1426
.LBB25_1425:
	s_mov_b32 s0, -1
                                        ; implicit-def: $vgpr7
.LBB25_1426:
	s_delay_alu instid0(SALU_CYCLE_1)
	s_and_not1_b32 vcc_lo, exec_lo, s0
	s_cbranch_vccnz .LBB25_1428
; %bb.1427:
	s_wait_loadcnt 0x0
	global_load_u8 v7, v[12:13], off
	s_wait_loadcnt 0x0
	v_cvt_f16_u16_e32 v7, v7
.LBB25_1428:
.LBB25_1429:
	s_wait_loadcnt 0x0
	s_delay_alu instid0(VALU_DEP_1) | instskip(SKIP_1) | instid1(VALU_DEP_1)
	v_cvt_f32_f16_e32 v12, v7
                                        ; implicit-def: $vgpr16
                                        ; implicit-def: $vgpr15
	s_mov_b32 s1, exec_lo
	v_and_b32_e32 v13, 0x7fffffff, v12
	v_cmpx_ngt_f32_e64 0x48000000, |v12|
	s_xor_b32 s12, exec_lo, s1
	s_cbranch_execz .LBB25_1431
; %bb.1430:
	s_mov_b32 s0, 0x7fffff
	v_mov_b32_e32 v17, 0
	v_and_or_b32 v16, v13, s0, 0x800000
	s_mov_b64 s[0:1], 0xfe5163ab
	v_lshrrev_b32_e32 v7, 23, v13
	s_delay_alu instid0(VALU_DEP_2) | instskip(NEXT) | instid1(VALU_DEP_1)
	v_mul_u64_e32 v[18:19], s[0:1], v[16:17]
	v_dual_mov_b32 v20, v19 :: v_dual_mov_b32 v21, v17
	v_dual_mov_b32 v23, v17 :: v_dual_mov_b32 v25, v17
	v_mov_b32_e32 v27, v17
	s_delay_alu instid0(VALU_DEP_3) | instskip(NEXT) | instid1(VALU_DEP_1)
	v_mad_nc_u64_u32 v[20:21], 0x3c439041, v16, v[20:21]
	v_mov_b32_e32 v22, v21
	s_delay_alu instid0(VALU_DEP_1) | instskip(NEXT) | instid1(VALU_DEP_1)
	v_mad_nc_u64_u32 v[22:23], 0xdb629599, v16, v[22:23]
	v_mov_b32_e32 v24, v23
	s_delay_alu instid0(VALU_DEP_1) | instskip(NEXT) | instid1(VALU_DEP_1)
	;; [unrolled: 3-line block ×3, first 2 shown]
	v_mad_nc_u64_u32 v[26:27], 0xfc2757d1, v16, v[26:27]
	v_dual_mov_b32 v29, v17 :: v_dual_mov_b32 v28, v27
	s_delay_alu instid0(VALU_DEP_1) | instskip(NEXT) | instid1(VALU_DEP_1)
	v_mad_nc_u64_u32 v[28:29], 0x4e441529, v16, v[28:29]
	v_dual_mov_b32 v30, v29 :: v_dual_add_nc_u32 v7, 0xffffff88, v7
	s_delay_alu instid0(VALU_DEP_1) | instskip(SKIP_2) | instid1(VALU_DEP_2)
	v_cmp_lt_u32_e32 vcc_lo, 63, v7
	v_mov_b32_e32 v31, v17
	v_cndmask_b32_e64 v9, 0, 0xffffffc0, vcc_lo
	v_mad_nc_u64_u32 v[16:17], 0xa2f9836e, v16, v[30:31]
	v_dual_cndmask_b32 v11, v28, v24 :: v_dual_cndmask_b32 v18, v22, v18
	s_delay_alu instid0(VALU_DEP_3) | instskip(NEXT) | instid1(VALU_DEP_1)
	v_add_nc_u32_e32 v7, v9, v7
	v_cmp_lt_u32_e64 s0, 31, v7
	s_delay_alu instid0(VALU_DEP_4) | instskip(SKIP_1) | instid1(VALU_DEP_3)
	v_dual_cndmask_b32 v15, v16, v26 :: v_dual_cndmask_b32 v16, v17, v28
	v_cndmask_b32_e32 v17, v26, v22, vcc_lo
	v_cndmask_b32_e64 v9, 0, 0xffffffe0, s0
	s_delay_alu instid0(VALU_DEP_3) | instskip(NEXT) | instid1(VALU_DEP_3)
	v_cndmask_b32_e64 v19, v15, v11, s0
	v_dual_cndmask_b32 v15, v16, v15, s0 :: v_dual_cndmask_b32 v11, v11, v17, s0
	s_delay_alu instid0(VALU_DEP_3) | instskip(NEXT) | instid1(VALU_DEP_1)
	v_add_nc_u32_e32 v7, v9, v7
	v_cmp_lt_u32_e64 s1, 31, v7
	s_delay_alu instid0(VALU_DEP_1) | instskip(NEXT) | instid1(VALU_DEP_4)
	v_cndmask_b32_e64 v9, 0, 0xffffffe0, s1
	v_cndmask_b32_e64 v15, v15, v19, s1
	s_delay_alu instid0(VALU_DEP_2) | instskip(SKIP_1) | instid1(VALU_DEP_2)
	v_dual_add_nc_u32 v7, v9, v7 :: v_dual_cndmask_b32 v9, v24, v20, vcc_lo
	v_cndmask_b32_e64 v19, v19, v11, s1
	v_dual_sub_nc_u32 v16, 32, v7 :: v_dual_cndmask_b32 v17, v17, v9, s0
	v_cmp_eq_u32_e32 vcc_lo, 0, v7
	v_cndmask_b32_e64 v9, v9, v18, s0
	s_delay_alu instid0(VALU_DEP_3) | instskip(NEXT) | instid1(VALU_DEP_1)
	v_alignbit_b32 v20, v15, v19, v16
	v_dual_cndmask_b32 v11, v11, v17, s1 :: v_dual_cndmask_b32 v7, v20, v15, vcc_lo
	s_delay_alu instid0(VALU_DEP_1) | instskip(NEXT) | instid1(VALU_DEP_2)
	v_alignbit_b32 v21, v19, v11, v16
	v_bfe_u32 v18, v7, 29, 1
	s_delay_alu instid0(VALU_DEP_1) | instskip(SKIP_1) | instid1(VALU_DEP_2)
	v_dual_cndmask_b32 v15, v21, v19, vcc_lo :: v_dual_sub_nc_u32 v19, 0, v18
	v_cndmask_b32_e64 v9, v17, v9, s1
	v_alignbit_b32 v17, v7, v15, 30
	s_delay_alu instid0(VALU_DEP_1) | instskip(NEXT) | instid1(VALU_DEP_3)
	v_xor_b32_e32 v17, v17, v19
	v_alignbit_b32 v16, v11, v9, v16
	s_delay_alu instid0(VALU_DEP_1) | instskip(NEXT) | instid1(VALU_DEP_3)
	v_cndmask_b32_e32 v11, v16, v11, vcc_lo
	v_clz_i32_u32_e32 v16, v17
	s_delay_alu instid0(VALU_DEP_2) | instskip(NEXT) | instid1(VALU_DEP_2)
	v_alignbit_b32 v15, v15, v11, 30
	v_min_u32_e32 v16, 32, v16
	v_alignbit_b32 v9, v11, v9, 30
	s_delay_alu instid0(VALU_DEP_2) | instskip(NEXT) | instid1(VALU_DEP_2)
	v_dual_lshlrev_b32 v20, 23, v16 :: v_dual_bitop2_b32 v11, v15, v19 bitop3:0x14
	v_dual_sub_nc_u32 v15, 31, v16 :: v_dual_bitop2_b32 v9, v9, v19 bitop3:0x14
	s_delay_alu instid0(VALU_DEP_1) | instskip(SKIP_1) | instid1(VALU_DEP_3)
	v_alignbit_b32 v17, v17, v11, v15
	v_lshrrev_b32_e32 v19, 29, v7
	v_alignbit_b32 v9, v11, v9, v15
	v_lshrrev_b32_e32 v7, 30, v7
	s_delay_alu instid0(VALU_DEP_2) | instskip(NEXT) | instid1(VALU_DEP_4)
	v_alignbit_b32 v15, v17, v9, 9
	v_dual_lshrrev_b32 v17, 9, v17 :: v_dual_lshlrev_b32 v11, 31, v19
	s_delay_alu instid0(VALU_DEP_2) | instskip(NEXT) | instid1(VALU_DEP_2)
	v_clz_i32_u32_e32 v21, v15
	v_or_b32_e32 v19, 0.5, v11
	v_or_b32_e32 v11, 0x33000000, v11
	s_delay_alu instid0(VALU_DEP_2) | instskip(NEXT) | instid1(VALU_DEP_4)
	v_sub_nc_u32_e32 v19, v19, v20
	v_min_u32_e32 v20, 32, v21
	s_delay_alu instid0(VALU_DEP_2) | instskip(NEXT) | instid1(VALU_DEP_2)
	v_or_b32_e32 v17, v17, v19
	v_not_b32_e32 v19, v20
	v_add_lshl_u32 v16, v20, v16, 23
	s_delay_alu instid0(VALU_DEP_3) | instskip(NEXT) | instid1(VALU_DEP_3)
	v_mul_f32_e32 v21, 0x3fc90fda, v17
	v_alignbit_b32 v9, v15, v9, v19
	s_delay_alu instid0(VALU_DEP_3) | instskip(NEXT) | instid1(VALU_DEP_3)
	v_dual_sub_nc_u32 v11, v11, v16 :: v_dual_add_nc_u32 v16, v18, v7
	v_fma_f32 v15, 0x3fc90fda, v17, -v21
	s_delay_alu instid0(VALU_DEP_3) | instskip(NEXT) | instid1(VALU_DEP_2)
	v_lshrrev_b32_e32 v9, 9, v9
	v_fmamk_f32 v15, v17, 0x33a22168, v15
	s_delay_alu instid0(VALU_DEP_2) | instskip(NEXT) | instid1(VALU_DEP_1)
	v_or_b32_e32 v9, v11, v9
	v_fmac_f32_e32 v15, 0x3fc90fda, v9
	s_delay_alu instid0(VALU_DEP_1)
	v_add_f32_e32 v15, v21, v15
.LBB25_1431:
	s_and_not1_saveexec_b32 s0, s12
; %bb.1432:
	v_mul_f32_e64 v7, 0x3f22f983, |v12|
	s_delay_alu instid0(VALU_DEP_1) | instskip(NEXT) | instid1(VALU_DEP_1)
	v_rndne_f32_e32 v7, v7
	v_fma_f32 v9, 0xbfc90fda, v7, |v12|
	v_cvt_i32_f32_e32 v16, v7
	s_delay_alu instid0(VALU_DEP_2) | instskip(NEXT) | instid1(VALU_DEP_1)
	v_fmamk_f32 v9, v7, 0xb3a22168, v9
	v_fmamk_f32 v15, v7, 0xa7c234c4, v9
; %bb.1433:
	s_or_b32 exec_lo, exec_lo, s0
	v_mov_b32_e32 v11, 0
	s_cmp_lt_i32 s11, 11
	s_delay_alu instid0(VALU_DEP_1)
	v_add_nc_u64_e32 v[10:11], s[6:7], v[10:11]
	s_cbranch_scc1 .LBB25_1440
; %bb.1434:
	s_cmp_gt_i32 s11, 25
	s_mov_b32 s1, 0
	s_cbranch_scc0 .LBB25_1442
; %bb.1435:
	s_cmp_gt_i32 s11, 28
	s_cbranch_scc0 .LBB25_1443
; %bb.1436:
	s_cmp_gt_i32 s11, 43
	;; [unrolled: 3-line block ×3, first 2 shown]
	s_cbranch_scc0 .LBB25_1446
; %bb.1438:
	s_cmp_eq_u32 s11, 46
	s_mov_b32 s13, 0
	s_cbranch_scc0 .LBB25_1447
; %bb.1439:
	global_load_b32 v7, v[10:11], off
	s_mov_b32 s0, 0
	s_mov_b32 s12, -1
	s_wait_loadcnt 0x0
	v_lshlrev_b32_e32 v7, 16, v7
	s_delay_alu instid0(VALU_DEP_1)
	v_cvt_f16_f32_e32 v7, v7
	s_branch .LBB25_1449
.LBB25_1440:
	s_mov_b32 s12, 0
                                        ; implicit-def: $vgpr7
	s_cbranch_execnz .LBB25_1515
.LBB25_1441:
	s_and_not1_b32 vcc_lo, exec_lo, s12
	s_cbranch_vccz .LBB25_1563
	s_branch .LBB25_2132
.LBB25_1442:
	s_mov_b32 s13, -1
	s_mov_b32 s12, 0
	s_mov_b32 s0, 0
                                        ; implicit-def: $vgpr7
	s_branch .LBB25_1478
.LBB25_1443:
	s_mov_b32 s13, -1
	s_mov_b32 s12, 0
	s_mov_b32 s0, 0
                                        ; implicit-def: $vgpr7
	s_branch .LBB25_1459
.LBB25_1444:
	s_mov_b32 s13, -1
	s_mov_b32 s12, 0
	s_mov_b32 s0, 0
                                        ; implicit-def: $vgpr7
	s_branch .LBB25_1454
.LBB25_1445:
	s_or_b32 s10, s10, exec_lo
	s_trap 2
	s_cbranch_execz .LBB25_1380
	s_branch .LBB25_1381
.LBB25_1446:
	s_mov_b32 s13, -1
	s_mov_b32 s12, 0
	s_mov_b32 s0, 0
	s_branch .LBB25_1448
.LBB25_1447:
	s_mov_b32 s0, -1
	s_mov_b32 s12, 0
.LBB25_1448:
                                        ; implicit-def: $vgpr7
.LBB25_1449:
	s_and_b32 vcc_lo, exec_lo, s13
	s_cbranch_vccz .LBB25_1453
; %bb.1450:
	s_cmp_eq_u32 s11, 44
	s_cbranch_scc0 .LBB25_1452
; %bb.1451:
	global_load_u8 v7, v[10:11], off
	s_mov_b32 s0, 0
	s_mov_b32 s12, -1
	s_wait_loadcnt 0x0
	v_lshlrev_b32_e32 v9, 23, v7
	v_cmp_ne_u32_e32 vcc_lo, 0xff, v7
	s_delay_alu instid0(VALU_DEP_2) | instskip(NEXT) | instid1(VALU_DEP_1)
	v_cvt_f16_f32_e32 v9, v9
	v_cndmask_b32_e32 v9, 0x7e00, v9, vcc_lo
	v_cmp_ne_u32_e32 vcc_lo, 0, v7
	s_delay_alu instid0(VALU_DEP_2)
	v_cndmask_b32_e32 v7, 0, v9, vcc_lo
	s_branch .LBB25_1453
.LBB25_1452:
	s_mov_b32 s0, -1
                                        ; implicit-def: $vgpr7
.LBB25_1453:
	s_mov_b32 s13, 0
.LBB25_1454:
	s_delay_alu instid0(SALU_CYCLE_1)
	s_and_b32 vcc_lo, exec_lo, s13
	s_cbranch_vccz .LBB25_1458
; %bb.1455:
	s_cmp_eq_u32 s11, 29
	s_cbranch_scc0 .LBB25_1457
; %bb.1456:
	global_load_b64 v[18:19], v[10:11], off
	s_mov_b32 s0, 0
	s_mov_b32 s12, -1
	s_mov_b32 s13, 0
	s_wait_loadcnt 0x0
	v_clz_i32_u32_e32 v7, v19
	s_delay_alu instid0(VALU_DEP_1) | instskip(NEXT) | instid1(VALU_DEP_1)
	v_min_u32_e32 v7, 32, v7
	v_lshlrev_b64_e32 v[18:19], v7, v[18:19]
	v_sub_nc_u32_e32 v7, 32, v7
	s_delay_alu instid0(VALU_DEP_2) | instskip(NEXT) | instid1(VALU_DEP_1)
	v_min_u32_e32 v9, 1, v18
	v_or_b32_e32 v9, v19, v9
	s_delay_alu instid0(VALU_DEP_1) | instskip(NEXT) | instid1(VALU_DEP_1)
	v_cvt_f32_u32_e32 v9, v9
	v_ldexp_f32 v7, v9, v7
	s_delay_alu instid0(VALU_DEP_1)
	v_cvt_f16_f32_e32 v7, v7
	s_branch .LBB25_1459
.LBB25_1457:
	s_mov_b32 s0, -1
                                        ; implicit-def: $vgpr7
.LBB25_1458:
	s_mov_b32 s13, 0
.LBB25_1459:
	s_delay_alu instid0(SALU_CYCLE_1)
	s_and_b32 vcc_lo, exec_lo, s13
	s_cbranch_vccz .LBB25_1477
; %bb.1460:
	s_cmp_lt_i32 s11, 27
	s_cbranch_scc1 .LBB25_1463
; %bb.1461:
	s_cmp_gt_i32 s11, 27
	s_cbranch_scc0 .LBB25_1464
; %bb.1462:
	global_load_b32 v7, v[10:11], off
	s_mov_b32 s12, 0
	s_wait_loadcnt 0x0
	v_cvt_f32_u32_e32 v7, v7
	s_delay_alu instid0(VALU_DEP_1)
	v_cvt_f16_f32_e32 v7, v7
	s_branch .LBB25_1465
.LBB25_1463:
	s_mov_b32 s12, -1
                                        ; implicit-def: $vgpr7
	s_branch .LBB25_1468
.LBB25_1464:
	s_mov_b32 s12, -1
                                        ; implicit-def: $vgpr7
.LBB25_1465:
	s_delay_alu instid0(SALU_CYCLE_1)
	s_and_not1_b32 vcc_lo, exec_lo, s12
	s_cbranch_vccnz .LBB25_1467
; %bb.1466:
	global_load_u16 v7, v[10:11], off
	s_wait_loadcnt 0x0
	v_cvt_f16_u16_e32 v7, v7
.LBB25_1467:
	s_mov_b32 s12, 0
.LBB25_1468:
	s_delay_alu instid0(SALU_CYCLE_1)
	s_and_not1_b32 vcc_lo, exec_lo, s12
	s_cbranch_vccnz .LBB25_1476
; %bb.1469:
	global_load_u8 v9, v[10:11], off
	s_mov_b32 s12, 0
	s_mov_b32 s13, exec_lo
	s_wait_loadcnt 0x0
	v_cmpx_lt_i16_e32 0x7f, v9
	s_xor_b32 s13, exec_lo, s13
	s_cbranch_execz .LBB25_1490
; %bb.1470:
	s_mov_b32 s12, -1
	s_mov_b32 s14, exec_lo
	v_cmpx_eq_u16_e32 0x80, v9
; %bb.1471:
	s_xor_b32 s12, exec_lo, -1
; %bb.1472:
	s_or_b32 exec_lo, exec_lo, s14
	s_delay_alu instid0(SALU_CYCLE_1)
	s_and_b32 s12, s12, exec_lo
	s_or_saveexec_b32 s13, s13
	v_mov_b32_e32 v7, 0x7e00
	s_xor_b32 exec_lo, exec_lo, s13
	s_cbranch_execnz .LBB25_1491
.LBB25_1473:
	s_or_b32 exec_lo, exec_lo, s13
	s_and_saveexec_b32 s13, s12
	s_cbranch_execz .LBB25_1475
.LBB25_1474:
	v_and_b32_e32 v7, 0xffff, v9
	s_delay_alu instid0(VALU_DEP_1) | instskip(SKIP_1) | instid1(VALU_DEP_2)
	v_and_b32_e32 v17, 7, v7
	v_bfe_u32 v20, v7, 3, 4
	v_clz_i32_u32_e32 v18, v17
	s_delay_alu instid0(VALU_DEP_2) | instskip(NEXT) | instid1(VALU_DEP_2)
	v_cmp_eq_u32_e32 vcc_lo, 0, v20
	v_min_u32_e32 v18, 32, v18
	s_delay_alu instid0(VALU_DEP_1) | instskip(NEXT) | instid1(VALU_DEP_1)
	v_subrev_nc_u32_e32 v19, 28, v18
	v_dual_lshlrev_b32 v7, v19, v7 :: v_dual_sub_nc_u32 v18, 29, v18
	s_delay_alu instid0(VALU_DEP_1) | instskip(NEXT) | instid1(VALU_DEP_1)
	v_dual_lshlrev_b32 v9, 24, v9 :: v_dual_bitop2_b32 v7, 7, v7 bitop3:0x40
	v_dual_cndmask_b32 v18, v20, v18 :: v_dual_cndmask_b32 v7, v17, v7
	s_delay_alu instid0(VALU_DEP_2) | instskip(NEXT) | instid1(VALU_DEP_2)
	v_and_b32_e32 v9, 0x80000000, v9
	v_lshl_add_u32 v17, v18, 23, 0x3b800000
	s_delay_alu instid0(VALU_DEP_3) | instskip(NEXT) | instid1(VALU_DEP_1)
	v_lshlrev_b32_e32 v7, 20, v7
	v_or3_b32 v7, v9, v17, v7
	s_delay_alu instid0(VALU_DEP_1)
	v_cvt_f16_f32_e32 v7, v7
.LBB25_1475:
	s_or_b32 exec_lo, exec_lo, s13
.LBB25_1476:
	s_mov_b32 s12, -1
.LBB25_1477:
	s_mov_b32 s13, 0
.LBB25_1478:
	s_delay_alu instid0(SALU_CYCLE_1)
	s_and_b32 vcc_lo, exec_lo, s13
	s_cbranch_vccz .LBB25_1511
; %bb.1479:
	s_cmp_gt_i32 s11, 22
	s_cbranch_scc0 .LBB25_1489
; %bb.1480:
	s_cmp_lt_i32 s11, 24
	s_cbranch_scc1 .LBB25_1492
; %bb.1481:
	s_cmp_gt_i32 s11, 24
	s_cbranch_scc0 .LBB25_1493
; %bb.1482:
	global_load_u8 v9, v[10:11], off
	s_mov_b32 s12, exec_lo
	s_wait_loadcnt 0x0
	v_cmpx_lt_i16_e32 0x7f, v9
	s_xor_b32 s12, exec_lo, s12
	s_cbranch_execz .LBB25_1505
; %bb.1483:
	s_mov_b32 s1, -1
	s_mov_b32 s13, exec_lo
	v_cmpx_eq_u16_e32 0x80, v9
; %bb.1484:
	s_xor_b32 s1, exec_lo, -1
; %bb.1485:
	s_or_b32 exec_lo, exec_lo, s13
	s_delay_alu instid0(SALU_CYCLE_1)
	s_and_b32 s1, s1, exec_lo
	s_or_saveexec_b32 s12, s12
	v_mov_b32_e32 v7, 0x7e00
	s_xor_b32 exec_lo, exec_lo, s12
	s_cbranch_execnz .LBB25_1506
.LBB25_1486:
	s_or_b32 exec_lo, exec_lo, s12
	s_and_saveexec_b32 s12, s1
	s_cbranch_execz .LBB25_1488
.LBB25_1487:
	v_and_b32_e32 v7, 0xffff, v9
	s_delay_alu instid0(VALU_DEP_1) | instskip(SKIP_1) | instid1(VALU_DEP_2)
	v_and_b32_e32 v17, 3, v7
	v_bfe_u32 v20, v7, 2, 5
	v_clz_i32_u32_e32 v18, v17
	s_delay_alu instid0(VALU_DEP_2) | instskip(NEXT) | instid1(VALU_DEP_2)
	v_cmp_eq_u32_e32 vcc_lo, 0, v20
	v_min_u32_e32 v18, 32, v18
	s_delay_alu instid0(VALU_DEP_1) | instskip(NEXT) | instid1(VALU_DEP_1)
	v_subrev_nc_u32_e32 v19, 29, v18
	v_dual_lshlrev_b32 v7, v19, v7 :: v_dual_sub_nc_u32 v18, 30, v18
	s_delay_alu instid0(VALU_DEP_1) | instskip(NEXT) | instid1(VALU_DEP_1)
	v_dual_lshlrev_b32 v9, 24, v9 :: v_dual_bitop2_b32 v7, 3, v7 bitop3:0x40
	v_dual_cndmask_b32 v18, v20, v18 :: v_dual_cndmask_b32 v7, v17, v7
	s_delay_alu instid0(VALU_DEP_2) | instskip(NEXT) | instid1(VALU_DEP_2)
	v_and_b32_e32 v9, 0x80000000, v9
	v_lshl_add_u32 v17, v18, 23, 0x37800000
	s_delay_alu instid0(VALU_DEP_3) | instskip(NEXT) | instid1(VALU_DEP_1)
	v_lshlrev_b32_e32 v7, 21, v7
	v_or3_b32 v7, v9, v17, v7
	s_delay_alu instid0(VALU_DEP_1)
	v_cvt_f16_f32_e32 v7, v7
.LBB25_1488:
	s_or_b32 exec_lo, exec_lo, s12
	s_mov_b32 s1, 0
	s_branch .LBB25_1494
.LBB25_1489:
	s_mov_b32 s1, -1
                                        ; implicit-def: $vgpr7
	s_branch .LBB25_1500
.LBB25_1490:
	s_or_saveexec_b32 s13, s13
	v_mov_b32_e32 v7, 0x7e00
	s_xor_b32 exec_lo, exec_lo, s13
	s_cbranch_execz .LBB25_1473
.LBB25_1491:
	v_cmp_ne_u16_e32 vcc_lo, 0, v9
	v_mov_b32_e32 v7, v9
	s_and_not1_b32 s12, s12, exec_lo
	s_and_b32 s14, vcc_lo, exec_lo
	s_delay_alu instid0(SALU_CYCLE_1)
	s_or_b32 s12, s12, s14
	s_or_b32 exec_lo, exec_lo, s13
	s_and_saveexec_b32 s13, s12
	s_cbranch_execnz .LBB25_1474
	s_branch .LBB25_1475
.LBB25_1492:
	s_mov_b32 s1, -1
                                        ; implicit-def: $vgpr7
	s_branch .LBB25_1497
.LBB25_1493:
	s_mov_b32 s1, -1
                                        ; implicit-def: $vgpr7
.LBB25_1494:
	s_delay_alu instid0(SALU_CYCLE_1)
	s_and_b32 vcc_lo, exec_lo, s1
	s_cbranch_vccz .LBB25_1496
; %bb.1495:
	global_load_u8 v7, v[10:11], off
	s_wait_loadcnt 0x0
	v_lshlrev_b32_e32 v7, 24, v7
	s_delay_alu instid0(VALU_DEP_1) | instskip(NEXT) | instid1(VALU_DEP_1)
	v_and_b32_e32 v9, 0x7f000000, v7
	v_clz_i32_u32_e32 v17, v9
	v_add_nc_u32_e32 v19, 0x1000000, v9
	v_cmp_ne_u32_e32 vcc_lo, 0, v9
	s_delay_alu instid0(VALU_DEP_3) | instskip(NEXT) | instid1(VALU_DEP_1)
	v_min_u32_e32 v17, 32, v17
	v_sub_nc_u32_e64 v17, v17, 4 clamp
	s_delay_alu instid0(VALU_DEP_1) | instskip(NEXT) | instid1(VALU_DEP_1)
	v_lshlrev_b32_e32 v18, v17, v9
	v_dual_lshlrev_b32 v17, 23, v17 :: v_dual_lshrrev_b32 v18, 4, v18
	s_delay_alu instid0(VALU_DEP_1) | instskip(NEXT) | instid1(VALU_DEP_1)
	v_dual_sub_nc_u32 v17, v18, v17 :: v_dual_ashrrev_i32 v18, 8, v19
	v_add_nc_u32_e32 v17, 0x3c000000, v17
	s_delay_alu instid0(VALU_DEP_1) | instskip(NEXT) | instid1(VALU_DEP_1)
	v_and_or_b32 v17, 0x7f800000, v18, v17
	v_cndmask_b32_e32 v9, 0, v17, vcc_lo
	s_delay_alu instid0(VALU_DEP_1) | instskip(NEXT) | instid1(VALU_DEP_1)
	v_and_or_b32 v7, 0x80000000, v7, v9
	v_cvt_f16_f32_e32 v7, v7
.LBB25_1496:
	s_mov_b32 s1, 0
.LBB25_1497:
	s_delay_alu instid0(SALU_CYCLE_1)
	s_and_not1_b32 vcc_lo, exec_lo, s1
	s_cbranch_vccnz .LBB25_1499
; %bb.1498:
	global_load_u8 v7, v[10:11], off
	s_wait_loadcnt 0x0
	v_lshlrev_b32_e32 v9, 25, v7
	v_lshlrev_b16 v7, 8, v7
	s_delay_alu instid0(VALU_DEP_1) | instskip(SKIP_1) | instid1(VALU_DEP_2)
	v_and_or_b32 v18, 0x7f00, v7, 0.5
	v_bfe_i32 v7, v7, 0, 16
	v_dual_add_f32 v18, -0.5, v18 :: v_dual_lshrrev_b32 v17, 4, v9
	v_cmp_gt_u32_e32 vcc_lo, 0x8000000, v9
	s_delay_alu instid0(VALU_DEP_2) | instskip(NEXT) | instid1(VALU_DEP_1)
	v_or_b32_e32 v17, 0x70000000, v17
	v_mul_f32_e32 v17, 0x7800000, v17
	s_delay_alu instid0(VALU_DEP_1) | instskip(NEXT) | instid1(VALU_DEP_1)
	v_cndmask_b32_e32 v9, v17, v18, vcc_lo
	v_and_or_b32 v7, 0x80000000, v7, v9
	s_delay_alu instid0(VALU_DEP_1)
	v_cvt_f16_f32_e32 v7, v7
.LBB25_1499:
	s_mov_b32 s1, 0
	s_mov_b32 s12, -1
.LBB25_1500:
	s_and_not1_b32 vcc_lo, exec_lo, s1
	s_mov_b32 s1, 0
	s_cbranch_vccnz .LBB25_1511
; %bb.1501:
	s_cmp_gt_i32 s11, 14
	s_cbranch_scc0 .LBB25_1504
; %bb.1502:
	s_cmp_eq_u32 s11, 15
	s_cbranch_scc0 .LBB25_1507
; %bb.1503:
	global_load_u16 v7, v[10:11], off
	s_mov_b32 s0, 0
	s_mov_b32 s12, -1
	s_wait_loadcnt 0x0
	v_lshlrev_b32_e32 v7, 16, v7
	s_delay_alu instid0(VALU_DEP_1)
	v_cvt_f16_f32_e32 v7, v7
	s_branch .LBB25_1509
.LBB25_1504:
	s_mov_b32 s1, -1
	s_branch .LBB25_1508
.LBB25_1505:
	s_or_saveexec_b32 s12, s12
	v_mov_b32_e32 v7, 0x7e00
	s_xor_b32 exec_lo, exec_lo, s12
	s_cbranch_execz .LBB25_1486
.LBB25_1506:
	v_cmp_ne_u16_e32 vcc_lo, 0, v9
	v_mov_b32_e32 v7, v9
	s_and_not1_b32 s1, s1, exec_lo
	s_and_b32 s13, vcc_lo, exec_lo
	s_delay_alu instid0(SALU_CYCLE_1)
	s_or_b32 s1, s1, s13
	s_or_b32 exec_lo, exec_lo, s12
	s_and_saveexec_b32 s12, s1
	s_cbranch_execnz .LBB25_1487
	s_branch .LBB25_1488
.LBB25_1507:
	s_mov_b32 s0, -1
.LBB25_1508:
                                        ; implicit-def: $vgpr7
.LBB25_1509:
	s_and_b32 vcc_lo, exec_lo, s1
	s_mov_b32 s1, 0
	s_cbranch_vccz .LBB25_1511
; %bb.1510:
	s_cmp_lg_u32 s11, 11
	s_mov_b32 s1, -1
	s_cselect_b32 s0, -1, 0
.LBB25_1511:
	s_delay_alu instid0(SALU_CYCLE_1)
	s_and_b32 vcc_lo, exec_lo, s0
	s_cbranch_vccnz .LBB25_1578
; %bb.1512:
	s_and_not1_b32 vcc_lo, exec_lo, s1
	s_cbranch_vccnz .LBB25_1514
.LBB25_1513:
	global_load_u8 v7, v[10:11], off
	s_mov_b32 s12, -1
	s_wait_loadcnt 0x0
	v_cmp_ne_u16_e32 vcc_lo, 0, v7
	v_cndmask_b32_e64 v7, 0, 0x3c00, vcc_lo
.LBB25_1514:
	s_branch .LBB25_1441
.LBB25_1515:
	s_cmp_lt_i32 s11, 5
	s_cbranch_scc1 .LBB25_1520
; %bb.1516:
	s_cmp_lt_i32 s11, 8
	s_cbranch_scc1 .LBB25_1521
; %bb.1517:
	;; [unrolled: 3-line block ×3, first 2 shown]
	s_cmp_gt_i32 s11, 9
	s_cbranch_scc0 .LBB25_1523
; %bb.1519:
	global_load_b64 v[18:19], v[10:11], off
	s_mov_b32 s0, 0
	s_wait_loadcnt 0x0
	v_and_or_b32 v7, 0x1ff, v19, v18
	v_lshrrev_b32_e32 v9, 8, v19
	v_bfe_u32 v17, v19, 20, 11
	s_delay_alu instid0(VALU_DEP_3) | instskip(NEXT) | instid1(VALU_DEP_2)
	v_cmp_ne_u32_e32 vcc_lo, 0, v7
	v_sub_nc_u32_e32 v18, 0x3f1, v17
	v_add_nc_u32_e32 v17, 0xfffffc10, v17
	v_cndmask_b32_e64 v7, 0, 1, vcc_lo
	s_delay_alu instid0(VALU_DEP_1) | instskip(NEXT) | instid1(VALU_DEP_4)
	v_and_or_b32 v7, 0xffe, v9, v7
	v_med3_i32 v9, v18, 0, 13
	s_delay_alu instid0(VALU_DEP_2) | instskip(NEXT) | instid1(VALU_DEP_1)
	v_or_b32_e32 v18, 0x1000, v7
	v_lshrrev_b32_e32 v20, v9, v18
	s_delay_alu instid0(VALU_DEP_1) | instskip(NEXT) | instid1(VALU_DEP_1)
	v_lshlrev_b32_e32 v9, v9, v20
	v_cmp_ne_u32_e32 vcc_lo, v9, v18
	v_lshl_or_b32 v18, v17, 12, v7
	v_cndmask_b32_e64 v9, 0, 1, vcc_lo
	v_cmp_gt_i32_e32 vcc_lo, 1, v17
	s_delay_alu instid0(VALU_DEP_2) | instskip(NEXT) | instid1(VALU_DEP_1)
	v_or_b32_e32 v9, v20, v9
	v_cndmask_b32_e32 v9, v18, v9, vcc_lo
	s_delay_alu instid0(VALU_DEP_1) | instskip(NEXT) | instid1(VALU_DEP_1)
	v_dual_lshrrev_b32 v9, 2, v9 :: v_dual_bitop2_b32 v18, 7, v9 bitop3:0x40
	v_cmp_lt_i32_e32 vcc_lo, 5, v18
	v_cndmask_b32_e64 v20, 0, 1, vcc_lo
	v_cmp_eq_u32_e32 vcc_lo, 3, v18
	v_cndmask_b32_e64 v18, 0, 1, vcc_lo
	v_cmp_ne_u32_e32 vcc_lo, 0, v7
	s_delay_alu instid0(VALU_DEP_2) | instskip(NEXT) | instid1(VALU_DEP_1)
	v_or_b32_e32 v18, v18, v20
	v_dual_mov_b32 v20, 0x7e00 :: v_dual_add_nc_u32 v9, v9, v18
	s_delay_alu instid0(VALU_DEP_1) | instskip(SKIP_1) | instid1(VALU_DEP_3)
	v_cndmask_b32_e32 v7, 0x7c00, v20, vcc_lo
	v_cmp_gt_i32_e32 vcc_lo, 31, v17
	v_cndmask_b32_e32 v9, 0x7c00, v9, vcc_lo
	v_cmp_eq_u32_e32 vcc_lo, 0x40f, v17
	s_delay_alu instid0(VALU_DEP_2) | instskip(SKIP_1) | instid1(VALU_DEP_1)
	v_cndmask_b32_e32 v7, v9, v7, vcc_lo
	v_lshrrev_b32_e32 v9, 16, v19
	v_and_or_b32 v7, 0x8000, v9, v7
	s_branch .LBB25_1524
.LBB25_1520:
	s_mov_b32 s0, -1
                                        ; implicit-def: $vgpr7
	s_branch .LBB25_1542
.LBB25_1521:
	s_mov_b32 s0, -1
                                        ; implicit-def: $vgpr7
	s_branch .LBB25_1530
.LBB25_1522:
	s_mov_b32 s0, -1
                                        ; implicit-def: $vgpr7
	s_branch .LBB25_1527
.LBB25_1523:
	s_mov_b32 s0, -1
                                        ; implicit-def: $vgpr7
.LBB25_1524:
	s_delay_alu instid0(SALU_CYCLE_1)
	s_and_not1_b32 vcc_lo, exec_lo, s0
	s_cbranch_vccnz .LBB25_1526
; %bb.1525:
	global_load_b32 v7, v[10:11], off
	s_wait_loadcnt 0x0
	v_cvt_f16_f32_e32 v7, v7
.LBB25_1526:
	s_mov_b32 s0, 0
.LBB25_1527:
	s_delay_alu instid0(SALU_CYCLE_1)
	s_and_not1_b32 vcc_lo, exec_lo, s0
	s_cbranch_vccnz .LBB25_1529
; %bb.1528:
	global_load_b32 v7, v[10:11], off
.LBB25_1529:
	s_mov_b32 s0, 0
.LBB25_1530:
	s_delay_alu instid0(SALU_CYCLE_1)
	s_and_not1_b32 vcc_lo, exec_lo, s0
	s_cbranch_vccnz .LBB25_1541
; %bb.1531:
	s_cmp_lt_i32 s11, 6
	s_cbranch_scc1 .LBB25_1534
; %bb.1532:
	s_cmp_gt_i32 s11, 6
	s_cbranch_scc0 .LBB25_1535
; %bb.1533:
	global_load_b64 v[18:19], v[10:11], off
	s_mov_b32 s0, 0
	s_wait_loadcnt 0x0
	v_and_or_b32 v7, 0x1ff, v19, v18
	v_lshrrev_b32_e32 v9, 8, v19
	v_bfe_u32 v17, v19, 20, 11
	s_delay_alu instid0(VALU_DEP_3) | instskip(NEXT) | instid1(VALU_DEP_2)
	v_cmp_ne_u32_e32 vcc_lo, 0, v7
	v_sub_nc_u32_e32 v18, 0x3f1, v17
	v_add_nc_u32_e32 v17, 0xfffffc10, v17
	v_cndmask_b32_e64 v7, 0, 1, vcc_lo
	s_delay_alu instid0(VALU_DEP_1) | instskip(NEXT) | instid1(VALU_DEP_4)
	v_and_or_b32 v7, 0xffe, v9, v7
	v_med3_i32 v9, v18, 0, 13
	s_delay_alu instid0(VALU_DEP_2) | instskip(NEXT) | instid1(VALU_DEP_1)
	v_or_b32_e32 v18, 0x1000, v7
	v_lshrrev_b32_e32 v20, v9, v18
	s_delay_alu instid0(VALU_DEP_1) | instskip(NEXT) | instid1(VALU_DEP_1)
	v_lshlrev_b32_e32 v9, v9, v20
	v_cmp_ne_u32_e32 vcc_lo, v9, v18
	v_lshl_or_b32 v18, v17, 12, v7
	v_cndmask_b32_e64 v9, 0, 1, vcc_lo
	v_cmp_gt_i32_e32 vcc_lo, 1, v17
	s_delay_alu instid0(VALU_DEP_2) | instskip(NEXT) | instid1(VALU_DEP_1)
	v_or_b32_e32 v9, v20, v9
	v_cndmask_b32_e32 v9, v18, v9, vcc_lo
	s_delay_alu instid0(VALU_DEP_1) | instskip(NEXT) | instid1(VALU_DEP_1)
	v_dual_lshrrev_b32 v9, 2, v9 :: v_dual_bitop2_b32 v18, 7, v9 bitop3:0x40
	v_cmp_lt_i32_e32 vcc_lo, 5, v18
	v_cndmask_b32_e64 v20, 0, 1, vcc_lo
	v_cmp_eq_u32_e32 vcc_lo, 3, v18
	v_cndmask_b32_e64 v18, 0, 1, vcc_lo
	v_cmp_ne_u32_e32 vcc_lo, 0, v7
	s_delay_alu instid0(VALU_DEP_2) | instskip(NEXT) | instid1(VALU_DEP_1)
	v_or_b32_e32 v18, v18, v20
	v_dual_mov_b32 v20, 0x7e00 :: v_dual_add_nc_u32 v9, v9, v18
	s_delay_alu instid0(VALU_DEP_1) | instskip(SKIP_1) | instid1(VALU_DEP_3)
	v_cndmask_b32_e32 v7, 0x7c00, v20, vcc_lo
	v_cmp_gt_i32_e32 vcc_lo, 31, v17
	v_cndmask_b32_e32 v9, 0x7c00, v9, vcc_lo
	v_cmp_eq_u32_e32 vcc_lo, 0x40f, v17
	s_delay_alu instid0(VALU_DEP_2) | instskip(SKIP_1) | instid1(VALU_DEP_1)
	v_cndmask_b32_e32 v7, v9, v7, vcc_lo
	v_lshrrev_b32_e32 v9, 16, v19
	v_and_or_b32 v7, 0x8000, v9, v7
	s_branch .LBB25_1536
.LBB25_1534:
	s_mov_b32 s0, -1
                                        ; implicit-def: $vgpr7
	s_branch .LBB25_1539
.LBB25_1535:
	s_mov_b32 s0, -1
                                        ; implicit-def: $vgpr7
.LBB25_1536:
	s_delay_alu instid0(SALU_CYCLE_1)
	s_and_not1_b32 vcc_lo, exec_lo, s0
	s_cbranch_vccnz .LBB25_1538
; %bb.1537:
	s_wait_loadcnt 0x0
	global_load_b32 v7, v[10:11], off
	s_wait_loadcnt 0x0
	v_cvt_f16_f32_e32 v7, v7
.LBB25_1538:
	s_mov_b32 s0, 0
.LBB25_1539:
	s_delay_alu instid0(SALU_CYCLE_1)
	s_and_not1_b32 vcc_lo, exec_lo, s0
	s_cbranch_vccnz .LBB25_1541
; %bb.1540:
	s_wait_loadcnt 0x0
	global_load_u16 v7, v[10:11], off
.LBB25_1541:
	s_mov_b32 s0, 0
.LBB25_1542:
	s_delay_alu instid0(SALU_CYCLE_1)
	s_and_not1_b32 vcc_lo, exec_lo, s0
	s_cbranch_vccnz .LBB25_1562
; %bb.1543:
	s_cmp_lt_i32 s11, 2
	s_cbranch_scc1 .LBB25_1547
; %bb.1544:
	s_cmp_lt_i32 s11, 3
	s_cbranch_scc1 .LBB25_1548
; %bb.1545:
	s_cmp_gt_i32 s11, 3
	s_cbranch_scc0 .LBB25_1549
; %bb.1546:
	global_load_b64 v[18:19], v[10:11], off
	s_mov_b32 s0, 0
	s_wait_loadcnt 0x0
	v_xor_b32_e32 v7, v18, v19
	v_cls_i32_e32 v9, v19
	s_delay_alu instid0(VALU_DEP_2) | instskip(NEXT) | instid1(VALU_DEP_1)
	v_ashrrev_i32_e32 v7, 31, v7
	v_add_nc_u32_e32 v7, 32, v7
	s_delay_alu instid0(VALU_DEP_1) | instskip(NEXT) | instid1(VALU_DEP_1)
	v_add_min_u32_e64 v7, v9, -1, v7
	v_lshlrev_b64_e32 v[18:19], v7, v[18:19]
	v_sub_nc_u32_e32 v7, 32, v7
	s_delay_alu instid0(VALU_DEP_2) | instskip(NEXT) | instid1(VALU_DEP_1)
	v_min_u32_e32 v9, 1, v18
	v_or_b32_e32 v9, v19, v9
	s_delay_alu instid0(VALU_DEP_1) | instskip(NEXT) | instid1(VALU_DEP_1)
	v_cvt_f32_i32_e32 v9, v9
	v_ldexp_f32 v7, v9, v7
	s_delay_alu instid0(VALU_DEP_1)
	v_cvt_f16_f32_e32 v7, v7
	s_branch .LBB25_1550
.LBB25_1547:
	s_mov_b32 s0, -1
                                        ; implicit-def: $vgpr7
	s_branch .LBB25_1556
.LBB25_1548:
	s_mov_b32 s0, -1
                                        ; implicit-def: $vgpr7
	s_branch .LBB25_1553
.LBB25_1549:
	s_mov_b32 s0, -1
                                        ; implicit-def: $vgpr7
.LBB25_1550:
	s_delay_alu instid0(SALU_CYCLE_1)
	s_and_not1_b32 vcc_lo, exec_lo, s0
	s_cbranch_vccnz .LBB25_1552
; %bb.1551:
	s_wait_loadcnt 0x0
	global_load_b32 v7, v[10:11], off
	s_wait_loadcnt 0x0
	v_cvt_f32_i32_e32 v7, v7
	s_delay_alu instid0(VALU_DEP_1)
	v_cvt_f16_f32_e32 v7, v7
.LBB25_1552:
	s_mov_b32 s0, 0
.LBB25_1553:
	s_delay_alu instid0(SALU_CYCLE_1)
	s_and_not1_b32 vcc_lo, exec_lo, s0
	s_cbranch_vccnz .LBB25_1555
; %bb.1554:
	s_wait_loadcnt 0x0
	global_load_u16 v7, v[10:11], off
	s_wait_loadcnt 0x0
	v_cvt_f16_i16_e32 v7, v7
.LBB25_1555:
	s_mov_b32 s0, 0
.LBB25_1556:
	s_delay_alu instid0(SALU_CYCLE_1)
	s_and_not1_b32 vcc_lo, exec_lo, s0
	s_cbranch_vccnz .LBB25_1562
; %bb.1557:
	s_cmp_gt_i32 s11, 0
	s_mov_b32 s0, 0
	s_cbranch_scc0 .LBB25_1559
; %bb.1558:
	s_wait_loadcnt 0x0
	global_load_i8 v7, v[10:11], off
	s_wait_loadcnt 0x0
	v_cvt_f16_i16_e32 v7, v7
	s_branch .LBB25_1560
.LBB25_1559:
	s_mov_b32 s0, -1
                                        ; implicit-def: $vgpr7
.LBB25_1560:
	s_delay_alu instid0(SALU_CYCLE_1)
	s_and_not1_b32 vcc_lo, exec_lo, s0
	s_cbranch_vccnz .LBB25_1562
; %bb.1561:
	s_wait_loadcnt 0x0
	global_load_u8 v7, v[10:11], off
	s_wait_loadcnt 0x0
	v_cvt_f16_u16_e32 v7, v7
.LBB25_1562:
.LBB25_1563:
	s_wait_loadcnt 0x0
	s_delay_alu instid0(VALU_DEP_1) | instskip(SKIP_1) | instid1(VALU_DEP_1)
	v_cvt_f32_f16_e32 v10, v7
                                        ; implicit-def: $vgpr18
                                        ; implicit-def: $vgpr17
	s_mov_b32 s1, exec_lo
	v_and_b32_e32 v11, 0x7fffffff, v10
	v_cmpx_ngt_f32_e64 0x48000000, |v10|
	s_xor_b32 s12, exec_lo, s1
	s_cbranch_execz .LBB25_1565
; %bb.1564:
	s_mov_b32 s0, 0x7fffff
	v_mov_b32_e32 v19, 0
	v_and_or_b32 v18, v11, s0, 0x800000
	s_mov_b64 s[0:1], 0xfe5163ab
	v_lshrrev_b32_e32 v7, 23, v11
	s_delay_alu instid0(VALU_DEP_2) | instskip(NEXT) | instid1(VALU_DEP_1)
	v_mul_u64_e32 v[20:21], s[0:1], v[18:19]
	v_dual_mov_b32 v22, v21 :: v_dual_mov_b32 v23, v19
	v_dual_mov_b32 v25, v19 :: v_dual_mov_b32 v27, v19
	;; [unrolled: 1-line block ×3, first 2 shown]
	s_delay_alu instid0(VALU_DEP_3) | instskip(NEXT) | instid1(VALU_DEP_1)
	v_mad_nc_u64_u32 v[22:23], 0x3c439041, v18, v[22:23]
	v_mov_b32_e32 v24, v23
	s_delay_alu instid0(VALU_DEP_1) | instskip(NEXT) | instid1(VALU_DEP_1)
	v_mad_nc_u64_u32 v[24:25], 0xdb629599, v18, v[24:25]
	v_mov_b32_e32 v26, v25
	s_delay_alu instid0(VALU_DEP_1) | instskip(NEXT) | instid1(VALU_DEP_1)
	;; [unrolled: 3-line block ×3, first 2 shown]
	v_mad_nc_u64_u32 v[28:29], 0xfc2757d1, v18, v[28:29]
	v_dual_mov_b32 v31, v19 :: v_dual_mov_b32 v30, v29
	s_delay_alu instid0(VALU_DEP_1) | instskip(NEXT) | instid1(VALU_DEP_1)
	v_mad_nc_u64_u32 v[30:31], 0x4e441529, v18, v[30:31]
	v_dual_mov_b32 v32, v31 :: v_dual_add_nc_u32 v7, 0xffffff88, v7
	s_delay_alu instid0(VALU_DEP_1) | instskip(NEXT) | instid1(VALU_DEP_2)
	v_cmp_lt_u32_e32 vcc_lo, 63, v7
	v_mad_nc_u64_u32 v[18:19], 0xa2f9836e, v18, v[32:33]
	v_cndmask_b32_e64 v9, 0, 0xffffffc0, vcc_lo
	v_dual_cndmask_b32 v17, v30, v26 :: v_dual_cndmask_b32 v20, v24, v20
	s_delay_alu instid0(VALU_DEP_2) | instskip(NEXT) | instid1(VALU_DEP_1)
	v_add_nc_u32_e32 v7, v9, v7
	v_cmp_lt_u32_e64 s0, 31, v7
	v_dual_cndmask_b32 v18, v18, v28 :: v_dual_cndmask_b32 v19, v19, v30
	s_delay_alu instid0(VALU_DEP_2) | instskip(NEXT) | instid1(VALU_DEP_1)
	v_cndmask_b32_e64 v9, 0, 0xffffffe0, s0
	v_add_nc_u32_e32 v7, v9, v7
	s_delay_alu instid0(VALU_DEP_1) | instskip(NEXT) | instid1(VALU_DEP_1)
	v_cmp_lt_u32_e64 s1, 31, v7
	v_cndmask_b32_e64 v9, 0, 0xffffffe0, s1
	s_delay_alu instid0(VALU_DEP_1) | instskip(SKIP_2) | instid1(VALU_DEP_3)
	v_dual_cndmask_b32 v21, v28, v24, vcc_lo :: v_dual_add_nc_u32 v7, v9, v7
	v_cndmask_b32_e32 v9, v26, v22, vcc_lo
	v_dual_cndmask_b32 v22, v18, v17, s0 :: v_dual_cndmask_b32 v18, v19, v18, s0
	v_dual_cndmask_b32 v17, v17, v21, s0 :: v_dual_sub_nc_u32 v19, 32, v7
	s_delay_alu instid0(VALU_DEP_3) | instskip(SKIP_1) | instid1(VALU_DEP_4)
	v_cndmask_b32_e64 v21, v21, v9, s0
	v_cmp_eq_u32_e32 vcc_lo, 0, v7
	v_cndmask_b32_e64 v18, v18, v22, s1
	s_delay_alu instid0(VALU_DEP_4) | instskip(NEXT) | instid1(VALU_DEP_4)
	v_dual_cndmask_b32 v22, v22, v17, s1 :: v_dual_cndmask_b32 v9, v9, v20, s0
	v_cndmask_b32_e64 v17, v17, v21, s1
	s_delay_alu instid0(VALU_DEP_2) | instskip(NEXT) | instid1(VALU_DEP_3)
	v_alignbit_b32 v23, v18, v22, v19
	v_cndmask_b32_e64 v9, v21, v9, s1
	s_delay_alu instid0(VALU_DEP_3) | instskip(NEXT) | instid1(VALU_DEP_3)
	v_alignbit_b32 v24, v22, v17, v19
	v_cndmask_b32_e32 v7, v23, v18, vcc_lo
	s_delay_alu instid0(VALU_DEP_3) | instskip(NEXT) | instid1(VALU_DEP_3)
	v_alignbit_b32 v19, v17, v9, v19
	v_cndmask_b32_e32 v18, v24, v22, vcc_lo
	s_delay_alu instid0(VALU_DEP_3) | instskip(NEXT) | instid1(VALU_DEP_3)
	v_bfe_u32 v20, v7, 29, 1
	v_cndmask_b32_e32 v17, v19, v17, vcc_lo
	s_delay_alu instid0(VALU_DEP_3) | instskip(NEXT) | instid1(VALU_DEP_3)
	v_alignbit_b32 v21, v7, v18, 30
	v_sub_nc_u32_e32 v22, 0, v20
	s_delay_alu instid0(VALU_DEP_3) | instskip(SKIP_1) | instid1(VALU_DEP_3)
	v_alignbit_b32 v18, v18, v17, 30
	v_alignbit_b32 v9, v17, v9, 30
	v_xor_b32_e32 v21, v21, v22
	s_delay_alu instid0(VALU_DEP_3) | instskip(NEXT) | instid1(VALU_DEP_3)
	v_xor_b32_e32 v17, v18, v22
	v_dual_lshrrev_b32 v22, 29, v7 :: v_dual_bitop2_b32 v9, v9, v22 bitop3:0x14
	v_lshrrev_b32_e32 v7, 30, v7
	s_delay_alu instid0(VALU_DEP_4) | instskip(NEXT) | instid1(VALU_DEP_1)
	v_clz_i32_u32_e32 v19, v21
	v_min_u32_e32 v19, 32, v19
	s_delay_alu instid0(VALU_DEP_1) | instskip(NEXT) | instid1(VALU_DEP_1)
	v_dual_sub_nc_u32 v18, 31, v19 :: v_dual_lshlrev_b32 v23, 23, v19
	v_alignbit_b32 v21, v21, v17, v18
	v_alignbit_b32 v9, v17, v9, v18
	v_lshlrev_b32_e32 v17, 31, v22
	s_delay_alu instid0(VALU_DEP_2) | instskip(NEXT) | instid1(VALU_DEP_2)
	v_alignbit_b32 v18, v21, v9, 9
	v_or_b32_e32 v22, 0.5, v17
	v_lshrrev_b32_e32 v21, 9, v21
	v_or_b32_e32 v17, 0x33000000, v17
	s_delay_alu instid0(VALU_DEP_4) | instskip(NEXT) | instid1(VALU_DEP_4)
	v_clz_i32_u32_e32 v24, v18
	v_sub_nc_u32_e32 v22, v22, v23
	s_delay_alu instid0(VALU_DEP_2) | instskip(NEXT) | instid1(VALU_DEP_2)
	v_min_u32_e32 v23, 32, v24
	v_or_b32_e32 v21, v21, v22
	s_delay_alu instid0(VALU_DEP_2) | instskip(SKIP_1) | instid1(VALU_DEP_2)
	v_not_b32_e32 v22, v23
	v_add_lshl_u32 v19, v23, v19, 23
	v_alignbit_b32 v9, v18, v9, v22
	s_delay_alu instid0(VALU_DEP_1) | instskip(SKIP_1) | instid1(VALU_DEP_2)
	v_dual_sub_nc_u32 v17, v17, v19 :: v_dual_lshrrev_b32 v9, 9, v9
	v_mul_f32_e32 v24, 0x3fc90fda, v21
	v_or_b32_e32 v9, v17, v9
	s_delay_alu instid0(VALU_DEP_2) | instskip(NEXT) | instid1(VALU_DEP_1)
	v_fma_f32 v18, 0x3fc90fda, v21, -v24
	v_fmamk_f32 v18, v21, 0x33a22168, v18
	s_delay_alu instid0(VALU_DEP_1) | instskip(NEXT) | instid1(VALU_DEP_1)
	v_fmac_f32_e32 v18, 0x3fc90fda, v9
	v_add_f32_e32 v17, v24, v18
	v_add_nc_u32_e32 v18, v20, v7
.LBB25_1565:
	s_and_not1_saveexec_b32 s0, s12
; %bb.1566:
	v_mul_f32_e64 v7, 0x3f22f983, |v10|
	s_delay_alu instid0(VALU_DEP_1) | instskip(NEXT) | instid1(VALU_DEP_1)
	v_rndne_f32_e32 v7, v7
	v_fma_f32 v9, 0xbfc90fda, v7, |v10|
	v_cvt_i32_f32_e32 v18, v7
	s_delay_alu instid0(VALU_DEP_2) | instskip(NEXT) | instid1(VALU_DEP_1)
	v_fmamk_f32 v9, v7, 0xb3a22168, v9
	v_fmamk_f32 v17, v7, 0xa7c234c4, v9
; %bb.1567:
	s_or_b32 exec_lo, exec_lo, s0
	v_mov_b32_e32 v9, 0
	s_cmp_lt_i32 s11, 11
	s_delay_alu instid0(VALU_DEP_1)
	v_add_nc_u64_e32 v[8:9], s[6:7], v[8:9]
	s_cbranch_scc1 .LBB25_1574
; %bb.1568:
	s_cmp_gt_i32 s11, 25
	s_mov_b32 s1, 0
	s_cbranch_scc0 .LBB25_1575
; %bb.1569:
	s_cmp_gt_i32 s11, 28
	s_cbranch_scc0 .LBB25_1576
; %bb.1570:
	s_cmp_gt_i32 s11, 43
	;; [unrolled: 3-line block ×3, first 2 shown]
	s_cbranch_scc0 .LBB25_1579
; %bb.1572:
	s_cmp_eq_u32 s11, 46
	s_mov_b32 s7, 0
	s_cbranch_scc0 .LBB25_1580
; %bb.1573:
	global_load_b32 v7, v[8:9], off
	s_mov_b32 s0, 0
	s_mov_b32 s6, -1
	s_wait_loadcnt 0x0
	v_lshlrev_b32_e32 v7, 16, v7
	s_delay_alu instid0(VALU_DEP_1)
	v_cvt_f16_f32_e32 v7, v7
	s_branch .LBB25_1582
.LBB25_1574:
	s_mov_b32 s0, -1
	s_mov_b32 s6, 0
                                        ; implicit-def: $vgpr7
	s_branch .LBB25_1648
.LBB25_1575:
	s_mov_b32 s7, -1
	s_mov_b32 s6, 0
	s_mov_b32 s0, 0
                                        ; implicit-def: $vgpr7
	s_branch .LBB25_1611
.LBB25_1576:
	s_mov_b32 s7, -1
	s_mov_b32 s6, 0
	s_mov_b32 s0, 0
                                        ; implicit-def: $vgpr7
	s_branch .LBB25_1592
.LBB25_1577:
	s_mov_b32 s7, -1
	s_mov_b32 s6, 0
	s_mov_b32 s0, 0
                                        ; implicit-def: $vgpr7
	s_branch .LBB25_1587
.LBB25_1578:
	s_or_b32 s10, s10, exec_lo
	s_trap 2
	s_cbranch_execz .LBB25_1513
	s_branch .LBB25_1514
.LBB25_1579:
	s_mov_b32 s7, -1
	s_mov_b32 s6, 0
	s_mov_b32 s0, 0
	s_branch .LBB25_1581
.LBB25_1580:
	s_mov_b32 s0, -1
	s_mov_b32 s6, 0
.LBB25_1581:
                                        ; implicit-def: $vgpr7
.LBB25_1582:
	s_and_b32 vcc_lo, exec_lo, s7
	s_cbranch_vccz .LBB25_1586
; %bb.1583:
	s_cmp_eq_u32 s11, 44
	s_cbranch_scc0 .LBB25_1585
; %bb.1584:
	global_load_u8 v7, v[8:9], off
	s_mov_b32 s0, 0
	s_mov_b32 s6, -1
	s_wait_loadcnt 0x0
	v_lshlrev_b32_e32 v19, 23, v7
	v_cmp_ne_u32_e32 vcc_lo, 0xff, v7
	s_delay_alu instid0(VALU_DEP_2) | instskip(NEXT) | instid1(VALU_DEP_1)
	v_cvt_f16_f32_e32 v19, v19
	v_cndmask_b32_e32 v19, 0x7e00, v19, vcc_lo
	v_cmp_ne_u32_e32 vcc_lo, 0, v7
	s_delay_alu instid0(VALU_DEP_2)
	v_cndmask_b32_e32 v7, 0, v19, vcc_lo
	s_branch .LBB25_1586
.LBB25_1585:
	s_mov_b32 s0, -1
                                        ; implicit-def: $vgpr7
.LBB25_1586:
	s_mov_b32 s7, 0
.LBB25_1587:
	s_delay_alu instid0(SALU_CYCLE_1)
	s_and_b32 vcc_lo, exec_lo, s7
	s_cbranch_vccz .LBB25_1591
; %bb.1588:
	s_cmp_eq_u32 s11, 29
	s_cbranch_scc0 .LBB25_1590
; %bb.1589:
	global_load_b64 v[20:21], v[8:9], off
	s_mov_b32 s0, 0
	s_mov_b32 s6, -1
	s_mov_b32 s7, 0
	s_wait_loadcnt 0x0
	v_clz_i32_u32_e32 v7, v21
	s_delay_alu instid0(VALU_DEP_1) | instskip(NEXT) | instid1(VALU_DEP_1)
	v_min_u32_e32 v7, 32, v7
	v_lshlrev_b64_e32 v[20:21], v7, v[20:21]
	v_sub_nc_u32_e32 v7, 32, v7
	s_delay_alu instid0(VALU_DEP_2) | instskip(NEXT) | instid1(VALU_DEP_1)
	v_min_u32_e32 v19, 1, v20
	v_or_b32_e32 v19, v21, v19
	s_delay_alu instid0(VALU_DEP_1) | instskip(NEXT) | instid1(VALU_DEP_1)
	v_cvt_f32_u32_e32 v19, v19
	v_ldexp_f32 v7, v19, v7
	s_delay_alu instid0(VALU_DEP_1)
	v_cvt_f16_f32_e32 v7, v7
	s_branch .LBB25_1592
.LBB25_1590:
	s_mov_b32 s0, -1
                                        ; implicit-def: $vgpr7
.LBB25_1591:
	s_mov_b32 s7, 0
.LBB25_1592:
	s_delay_alu instid0(SALU_CYCLE_1)
	s_and_b32 vcc_lo, exec_lo, s7
	s_cbranch_vccz .LBB25_1610
; %bb.1593:
	s_cmp_lt_i32 s11, 27
	s_cbranch_scc1 .LBB25_1596
; %bb.1594:
	s_cmp_gt_i32 s11, 27
	s_cbranch_scc0 .LBB25_1597
; %bb.1595:
	global_load_b32 v7, v[8:9], off
	s_mov_b32 s6, 0
	s_wait_loadcnt 0x0
	v_cvt_f32_u32_e32 v7, v7
	s_delay_alu instid0(VALU_DEP_1)
	v_cvt_f16_f32_e32 v7, v7
	s_branch .LBB25_1598
.LBB25_1596:
	s_mov_b32 s6, -1
                                        ; implicit-def: $vgpr7
	s_branch .LBB25_1601
.LBB25_1597:
	s_mov_b32 s6, -1
                                        ; implicit-def: $vgpr7
.LBB25_1598:
	s_delay_alu instid0(SALU_CYCLE_1)
	s_and_not1_b32 vcc_lo, exec_lo, s6
	s_cbranch_vccnz .LBB25_1600
; %bb.1599:
	global_load_u16 v7, v[8:9], off
	s_wait_loadcnt 0x0
	v_cvt_f16_u16_e32 v7, v7
.LBB25_1600:
	s_mov_b32 s6, 0
.LBB25_1601:
	s_delay_alu instid0(SALU_CYCLE_1)
	s_and_not1_b32 vcc_lo, exec_lo, s6
	s_cbranch_vccnz .LBB25_1609
; %bb.1602:
	global_load_u8 v19, v[8:9], off
	s_mov_b32 s6, 0
	s_mov_b32 s7, exec_lo
	s_wait_loadcnt 0x0
	v_cmpx_lt_i16_e32 0x7f, v19
	s_xor_b32 s7, exec_lo, s7
	s_cbranch_execz .LBB25_1623
; %bb.1603:
	s_mov_b32 s6, -1
	s_mov_b32 s12, exec_lo
	v_cmpx_eq_u16_e32 0x80, v19
; %bb.1604:
	s_xor_b32 s6, exec_lo, -1
; %bb.1605:
	s_or_b32 exec_lo, exec_lo, s12
	s_delay_alu instid0(SALU_CYCLE_1)
	s_and_b32 s6, s6, exec_lo
	s_or_saveexec_b32 s7, s7
	v_mov_b32_e32 v7, 0x7e00
	s_xor_b32 exec_lo, exec_lo, s7
	s_cbranch_execnz .LBB25_1624
.LBB25_1606:
	s_or_b32 exec_lo, exec_lo, s7
	s_and_saveexec_b32 s7, s6
	s_cbranch_execz .LBB25_1608
.LBB25_1607:
	v_and_b32_e32 v7, 0xffff, v19
	s_delay_alu instid0(VALU_DEP_1) | instskip(SKIP_1) | instid1(VALU_DEP_2)
	v_and_b32_e32 v20, 7, v7
	v_bfe_u32 v23, v7, 3, 4
	v_clz_i32_u32_e32 v21, v20
	s_delay_alu instid0(VALU_DEP_2) | instskip(NEXT) | instid1(VALU_DEP_2)
	v_cmp_eq_u32_e32 vcc_lo, 0, v23
	v_min_u32_e32 v21, 32, v21
	s_delay_alu instid0(VALU_DEP_1) | instskip(NEXT) | instid1(VALU_DEP_1)
	v_subrev_nc_u32_e32 v22, 28, v21
	v_dual_lshlrev_b32 v7, v22, v7 :: v_dual_sub_nc_u32 v21, 29, v21
	s_delay_alu instid0(VALU_DEP_1) | instskip(NEXT) | instid1(VALU_DEP_2)
	v_and_b32_e32 v7, 7, v7
	v_dual_lshlrev_b32 v19, 24, v19 :: v_dual_cndmask_b32 v21, v23, v21, vcc_lo
	s_delay_alu instid0(VALU_DEP_2) | instskip(NEXT) | instid1(VALU_DEP_2)
	v_cndmask_b32_e32 v7, v20, v7, vcc_lo
	v_and_b32_e32 v19, 0x80000000, v19
	s_delay_alu instid0(VALU_DEP_3) | instskip(NEXT) | instid1(VALU_DEP_3)
	v_lshl_add_u32 v20, v21, 23, 0x3b800000
	v_lshlrev_b32_e32 v7, 20, v7
	s_delay_alu instid0(VALU_DEP_1) | instskip(NEXT) | instid1(VALU_DEP_1)
	v_or3_b32 v7, v19, v20, v7
	v_cvt_f16_f32_e32 v7, v7
.LBB25_1608:
	s_or_b32 exec_lo, exec_lo, s7
.LBB25_1609:
	s_mov_b32 s6, -1
.LBB25_1610:
	s_mov_b32 s7, 0
.LBB25_1611:
	s_delay_alu instid0(SALU_CYCLE_1)
	s_and_b32 vcc_lo, exec_lo, s7
	s_cbranch_vccz .LBB25_1644
; %bb.1612:
	s_cmp_gt_i32 s11, 22
	s_cbranch_scc0 .LBB25_1622
; %bb.1613:
	s_cmp_lt_i32 s11, 24
	s_cbranch_scc1 .LBB25_1625
; %bb.1614:
	s_cmp_gt_i32 s11, 24
	s_cbranch_scc0 .LBB25_1626
; %bb.1615:
	global_load_u8 v19, v[8:9], off
	s_mov_b32 s6, exec_lo
	s_wait_loadcnt 0x0
	v_cmpx_lt_i16_e32 0x7f, v19
	s_xor_b32 s6, exec_lo, s6
	s_cbranch_execz .LBB25_1638
; %bb.1616:
	s_mov_b32 s1, -1
	s_mov_b32 s7, exec_lo
	v_cmpx_eq_u16_e32 0x80, v19
; %bb.1617:
	s_xor_b32 s1, exec_lo, -1
; %bb.1618:
	s_or_b32 exec_lo, exec_lo, s7
	s_delay_alu instid0(SALU_CYCLE_1)
	s_and_b32 s1, s1, exec_lo
	s_or_saveexec_b32 s6, s6
	v_mov_b32_e32 v7, 0x7e00
	s_xor_b32 exec_lo, exec_lo, s6
	s_cbranch_execnz .LBB25_1639
.LBB25_1619:
	s_or_b32 exec_lo, exec_lo, s6
	s_and_saveexec_b32 s6, s1
	s_cbranch_execz .LBB25_1621
.LBB25_1620:
	v_and_b32_e32 v7, 0xffff, v19
	s_delay_alu instid0(VALU_DEP_1) | instskip(SKIP_1) | instid1(VALU_DEP_2)
	v_and_b32_e32 v20, 3, v7
	v_bfe_u32 v23, v7, 2, 5
	v_clz_i32_u32_e32 v21, v20
	s_delay_alu instid0(VALU_DEP_2) | instskip(NEXT) | instid1(VALU_DEP_2)
	v_cmp_eq_u32_e32 vcc_lo, 0, v23
	v_min_u32_e32 v21, 32, v21
	s_delay_alu instid0(VALU_DEP_1) | instskip(NEXT) | instid1(VALU_DEP_1)
	v_subrev_nc_u32_e32 v22, 29, v21
	v_dual_lshlrev_b32 v7, v22, v7 :: v_dual_sub_nc_u32 v21, 30, v21
	s_delay_alu instid0(VALU_DEP_1) | instskip(NEXT) | instid1(VALU_DEP_2)
	v_and_b32_e32 v7, 3, v7
	v_dual_lshlrev_b32 v19, 24, v19 :: v_dual_cndmask_b32 v21, v23, v21, vcc_lo
	s_delay_alu instid0(VALU_DEP_2) | instskip(NEXT) | instid1(VALU_DEP_2)
	v_cndmask_b32_e32 v7, v20, v7, vcc_lo
	v_and_b32_e32 v19, 0x80000000, v19
	s_delay_alu instid0(VALU_DEP_3) | instskip(NEXT) | instid1(VALU_DEP_3)
	v_lshl_add_u32 v20, v21, 23, 0x37800000
	v_lshlrev_b32_e32 v7, 21, v7
	s_delay_alu instid0(VALU_DEP_1) | instskip(NEXT) | instid1(VALU_DEP_1)
	v_or3_b32 v7, v19, v20, v7
	v_cvt_f16_f32_e32 v7, v7
.LBB25_1621:
	s_or_b32 exec_lo, exec_lo, s6
	s_mov_b32 s1, 0
	s_branch .LBB25_1627
.LBB25_1622:
	s_mov_b32 s1, -1
                                        ; implicit-def: $vgpr7
	s_branch .LBB25_1633
.LBB25_1623:
	s_or_saveexec_b32 s7, s7
	v_mov_b32_e32 v7, 0x7e00
	s_xor_b32 exec_lo, exec_lo, s7
	s_cbranch_execz .LBB25_1606
.LBB25_1624:
	v_cmp_ne_u16_e32 vcc_lo, 0, v19
	v_mov_b32_e32 v7, v19
	s_and_not1_b32 s6, s6, exec_lo
	s_and_b32 s12, vcc_lo, exec_lo
	s_delay_alu instid0(SALU_CYCLE_1)
	s_or_b32 s6, s6, s12
	s_or_b32 exec_lo, exec_lo, s7
	s_and_saveexec_b32 s7, s6
	s_cbranch_execnz .LBB25_1607
	s_branch .LBB25_1608
.LBB25_1625:
	s_mov_b32 s1, -1
                                        ; implicit-def: $vgpr7
	s_branch .LBB25_1630
.LBB25_1626:
	s_mov_b32 s1, -1
                                        ; implicit-def: $vgpr7
.LBB25_1627:
	s_delay_alu instid0(SALU_CYCLE_1)
	s_and_b32 vcc_lo, exec_lo, s1
	s_cbranch_vccz .LBB25_1629
; %bb.1628:
	global_load_u8 v7, v[8:9], off
	s_wait_loadcnt 0x0
	v_lshlrev_b32_e32 v7, 24, v7
	s_delay_alu instid0(VALU_DEP_1) | instskip(NEXT) | instid1(VALU_DEP_1)
	v_and_b32_e32 v19, 0x7f000000, v7
	v_clz_i32_u32_e32 v20, v19
	v_cmp_ne_u32_e32 vcc_lo, 0, v19
	v_add_nc_u32_e32 v22, 0x1000000, v19
	s_delay_alu instid0(VALU_DEP_3) | instskip(NEXT) | instid1(VALU_DEP_1)
	v_min_u32_e32 v20, 32, v20
	v_sub_nc_u32_e64 v20, v20, 4 clamp
	s_delay_alu instid0(VALU_DEP_1) | instskip(NEXT) | instid1(VALU_DEP_1)
	v_dual_lshlrev_b32 v21, v20, v19 :: v_dual_lshlrev_b32 v20, 23, v20
	v_lshrrev_b32_e32 v21, 4, v21
	s_delay_alu instid0(VALU_DEP_1) | instskip(NEXT) | instid1(VALU_DEP_1)
	v_dual_sub_nc_u32 v20, v21, v20 :: v_dual_ashrrev_i32 v21, 8, v22
	v_add_nc_u32_e32 v20, 0x3c000000, v20
	s_delay_alu instid0(VALU_DEP_1) | instskip(NEXT) | instid1(VALU_DEP_1)
	v_and_or_b32 v20, 0x7f800000, v21, v20
	v_cndmask_b32_e32 v19, 0, v20, vcc_lo
	s_delay_alu instid0(VALU_DEP_1) | instskip(NEXT) | instid1(VALU_DEP_1)
	v_and_or_b32 v7, 0x80000000, v7, v19
	v_cvt_f16_f32_e32 v7, v7
.LBB25_1629:
	s_mov_b32 s1, 0
.LBB25_1630:
	s_delay_alu instid0(SALU_CYCLE_1)
	s_and_not1_b32 vcc_lo, exec_lo, s1
	s_cbranch_vccnz .LBB25_1632
; %bb.1631:
	global_load_u8 v7, v[8:9], off
	s_wait_loadcnt 0x0
	v_lshlrev_b32_e32 v19, 25, v7
	v_lshlrev_b16 v7, 8, v7
	s_delay_alu instid0(VALU_DEP_1) | instskip(SKIP_1) | instid1(VALU_DEP_2)
	v_and_or_b32 v21, 0x7f00, v7, 0.5
	v_bfe_i32 v7, v7, 0, 16
	v_dual_add_f32 v21, -0.5, v21 :: v_dual_lshrrev_b32 v20, 4, v19
	v_cmp_gt_u32_e32 vcc_lo, 0x8000000, v19
	s_delay_alu instid0(VALU_DEP_2) | instskip(NEXT) | instid1(VALU_DEP_1)
	v_or_b32_e32 v20, 0x70000000, v20
	v_mul_f32_e32 v20, 0x7800000, v20
	s_delay_alu instid0(VALU_DEP_1) | instskip(NEXT) | instid1(VALU_DEP_1)
	v_cndmask_b32_e32 v19, v20, v21, vcc_lo
	v_and_or_b32 v7, 0x80000000, v7, v19
	s_delay_alu instid0(VALU_DEP_1)
	v_cvt_f16_f32_e32 v7, v7
.LBB25_1632:
	s_mov_b32 s1, 0
	s_mov_b32 s6, -1
.LBB25_1633:
	s_and_not1_b32 vcc_lo, exec_lo, s1
	s_mov_b32 s1, 0
	s_cbranch_vccnz .LBB25_1644
; %bb.1634:
	s_cmp_gt_i32 s11, 14
	s_cbranch_scc0 .LBB25_1637
; %bb.1635:
	s_cmp_eq_u32 s11, 15
	s_cbranch_scc0 .LBB25_1640
; %bb.1636:
	global_load_u16 v7, v[8:9], off
	s_mov_b32 s0, 0
	s_mov_b32 s6, -1
	s_wait_loadcnt 0x0
	v_lshlrev_b32_e32 v7, 16, v7
	s_delay_alu instid0(VALU_DEP_1)
	v_cvt_f16_f32_e32 v7, v7
	s_branch .LBB25_1642
.LBB25_1637:
	s_mov_b32 s1, -1
	s_branch .LBB25_1641
.LBB25_1638:
	s_or_saveexec_b32 s6, s6
	v_mov_b32_e32 v7, 0x7e00
	s_xor_b32 exec_lo, exec_lo, s6
	s_cbranch_execz .LBB25_1619
.LBB25_1639:
	v_cmp_ne_u16_e32 vcc_lo, 0, v19
	v_mov_b32_e32 v7, v19
	s_and_not1_b32 s1, s1, exec_lo
	s_and_b32 s7, vcc_lo, exec_lo
	s_delay_alu instid0(SALU_CYCLE_1)
	s_or_b32 s1, s1, s7
	s_or_b32 exec_lo, exec_lo, s6
	s_and_saveexec_b32 s6, s1
	s_cbranch_execnz .LBB25_1620
	s_branch .LBB25_1621
.LBB25_1640:
	s_mov_b32 s0, -1
.LBB25_1641:
                                        ; implicit-def: $vgpr7
.LBB25_1642:
	s_and_b32 vcc_lo, exec_lo, s1
	s_mov_b32 s1, 0
	s_cbranch_vccz .LBB25_1644
; %bb.1643:
	s_cmp_lg_u32 s11, 11
	s_mov_b32 s1, -1
	s_cselect_b32 s0, -1, 0
.LBB25_1644:
	s_delay_alu instid0(SALU_CYCLE_1)
	s_and_b32 vcc_lo, exec_lo, s0
	s_cbranch_vccnz .LBB25_2177
; %bb.1645:
	s_and_not1_b32 vcc_lo, exec_lo, s1
	s_cbranch_vccnz .LBB25_1647
.LBB25_1646:
	global_load_u8 v7, v[8:9], off
	s_mov_b32 s6, -1
	s_wait_loadcnt 0x0
	v_cmp_ne_u16_e32 vcc_lo, 0, v7
	v_cndmask_b32_e64 v7, 0, 0x3c00, vcc_lo
.LBB25_1647:
	s_mov_b32 s0, 0
.LBB25_1648:
	s_delay_alu instid0(SALU_CYCLE_1)
	s_and_b32 vcc_lo, exec_lo, s0
	s_cbranch_vccz .LBB25_1697
; %bb.1649:
	s_cmp_lt_i32 s11, 5
	s_cbranch_scc1 .LBB25_1654
; %bb.1650:
	s_cmp_lt_i32 s11, 8
	s_cbranch_scc1 .LBB25_1655
	;; [unrolled: 3-line block ×3, first 2 shown]
; %bb.1652:
	s_cmp_gt_i32 s11, 9
	s_cbranch_scc0 .LBB25_1657
; %bb.1653:
	global_load_b64 v[20:21], v[8:9], off
	s_mov_b32 s0, 0
	s_wait_loadcnt 0x0
	v_and_or_b32 v7, 0x1ff, v21, v20
	v_lshrrev_b32_e32 v19, 8, v21
	v_bfe_u32 v20, v21, 20, 11
	s_delay_alu instid0(VALU_DEP_3) | instskip(NEXT) | instid1(VALU_DEP_2)
	v_cmp_ne_u32_e32 vcc_lo, 0, v7
	v_sub_nc_u32_e32 v22, 0x3f1, v20
	v_add_nc_u32_e32 v20, 0xfffffc10, v20
	v_cndmask_b32_e64 v7, 0, 1, vcc_lo
	s_delay_alu instid0(VALU_DEP_1) | instskip(NEXT) | instid1(VALU_DEP_4)
	v_and_or_b32 v7, 0xffe, v19, v7
	v_med3_i32 v19, v22, 0, 13
	s_delay_alu instid0(VALU_DEP_2) | instskip(NEXT) | instid1(VALU_DEP_1)
	v_or_b32_e32 v22, 0x1000, v7
	v_lshrrev_b32_e32 v23, v19, v22
	s_delay_alu instid0(VALU_DEP_1) | instskip(NEXT) | instid1(VALU_DEP_1)
	v_lshlrev_b32_e32 v19, v19, v23
	v_cmp_ne_u32_e32 vcc_lo, v19, v22
	v_lshl_or_b32 v22, v20, 12, v7
	v_cndmask_b32_e64 v19, 0, 1, vcc_lo
	v_cmp_gt_i32_e32 vcc_lo, 1, v20
	s_delay_alu instid0(VALU_DEP_2) | instskip(NEXT) | instid1(VALU_DEP_1)
	v_or_b32_e32 v19, v23, v19
	v_cndmask_b32_e32 v19, v22, v19, vcc_lo
	s_delay_alu instid0(VALU_DEP_1) | instskip(NEXT) | instid1(VALU_DEP_1)
	v_dual_lshrrev_b32 v19, 2, v19 :: v_dual_bitop2_b32 v22, 7, v19 bitop3:0x40
	v_cmp_lt_i32_e32 vcc_lo, 5, v22
	v_cndmask_b32_e64 v23, 0, 1, vcc_lo
	v_cmp_eq_u32_e32 vcc_lo, 3, v22
	v_cndmask_b32_e64 v22, 0, 1, vcc_lo
	v_cmp_ne_u32_e32 vcc_lo, 0, v7
	s_delay_alu instid0(VALU_DEP_2) | instskip(SKIP_1) | instid1(VALU_DEP_2)
	v_or_b32_e32 v22, v22, v23
	v_mov_b32_e32 v23, 0x7e00
	v_add_nc_u32_e32 v19, v19, v22
	s_delay_alu instid0(VALU_DEP_2) | instskip(SKIP_1) | instid1(VALU_DEP_3)
	v_cndmask_b32_e32 v7, 0x7c00, v23, vcc_lo
	v_cmp_gt_i32_e32 vcc_lo, 31, v20
	v_cndmask_b32_e32 v19, 0x7c00, v19, vcc_lo
	v_cmp_eq_u32_e32 vcc_lo, 0x40f, v20
	s_delay_alu instid0(VALU_DEP_2) | instskip(NEXT) | instid1(VALU_DEP_1)
	v_dual_cndmask_b32 v7, v19, v7, vcc_lo :: v_dual_lshrrev_b32 v19, 16, v21
	v_and_or_b32 v7, 0x8000, v19, v7
	s_branch .LBB25_1658
.LBB25_1654:
	s_mov_b32 s0, -1
                                        ; implicit-def: $vgpr7
	s_branch .LBB25_1676
.LBB25_1655:
	s_mov_b32 s0, -1
                                        ; implicit-def: $vgpr7
	s_branch .LBB25_1664
.LBB25_1656:
	s_mov_b32 s0, -1
                                        ; implicit-def: $vgpr7
	s_branch .LBB25_1661
.LBB25_1657:
	s_mov_b32 s0, -1
                                        ; implicit-def: $vgpr7
.LBB25_1658:
	s_delay_alu instid0(SALU_CYCLE_1)
	s_and_not1_b32 vcc_lo, exec_lo, s0
	s_cbranch_vccnz .LBB25_1660
; %bb.1659:
	global_load_b32 v7, v[8:9], off
	s_wait_loadcnt 0x0
	v_cvt_f16_f32_e32 v7, v7
.LBB25_1660:
	s_mov_b32 s0, 0
.LBB25_1661:
	s_delay_alu instid0(SALU_CYCLE_1)
	s_and_not1_b32 vcc_lo, exec_lo, s0
	s_cbranch_vccnz .LBB25_1663
; %bb.1662:
	global_load_b32 v7, v[8:9], off
.LBB25_1663:
	s_mov_b32 s0, 0
.LBB25_1664:
	s_delay_alu instid0(SALU_CYCLE_1)
	s_and_not1_b32 vcc_lo, exec_lo, s0
	s_cbranch_vccnz .LBB25_1675
; %bb.1665:
	s_cmp_lt_i32 s11, 6
	s_cbranch_scc1 .LBB25_1668
; %bb.1666:
	s_cmp_gt_i32 s11, 6
	s_cbranch_scc0 .LBB25_1669
; %bb.1667:
	global_load_b64 v[20:21], v[8:9], off
	s_mov_b32 s0, 0
	s_wait_loadcnt 0x0
	v_and_or_b32 v7, 0x1ff, v21, v20
	v_lshrrev_b32_e32 v19, 8, v21
	v_bfe_u32 v20, v21, 20, 11
	s_delay_alu instid0(VALU_DEP_3) | instskip(NEXT) | instid1(VALU_DEP_2)
	v_cmp_ne_u32_e32 vcc_lo, 0, v7
	v_sub_nc_u32_e32 v22, 0x3f1, v20
	v_add_nc_u32_e32 v20, 0xfffffc10, v20
	v_cndmask_b32_e64 v7, 0, 1, vcc_lo
	s_delay_alu instid0(VALU_DEP_1) | instskip(NEXT) | instid1(VALU_DEP_4)
	v_and_or_b32 v7, 0xffe, v19, v7
	v_med3_i32 v19, v22, 0, 13
	s_delay_alu instid0(VALU_DEP_2) | instskip(NEXT) | instid1(VALU_DEP_1)
	v_or_b32_e32 v22, 0x1000, v7
	v_lshrrev_b32_e32 v23, v19, v22
	s_delay_alu instid0(VALU_DEP_1) | instskip(NEXT) | instid1(VALU_DEP_1)
	v_lshlrev_b32_e32 v19, v19, v23
	v_cmp_ne_u32_e32 vcc_lo, v19, v22
	v_lshl_or_b32 v22, v20, 12, v7
	v_cndmask_b32_e64 v19, 0, 1, vcc_lo
	v_cmp_gt_i32_e32 vcc_lo, 1, v20
	s_delay_alu instid0(VALU_DEP_2) | instskip(NEXT) | instid1(VALU_DEP_1)
	v_or_b32_e32 v19, v23, v19
	v_cndmask_b32_e32 v19, v22, v19, vcc_lo
	s_delay_alu instid0(VALU_DEP_1) | instskip(NEXT) | instid1(VALU_DEP_1)
	v_dual_lshrrev_b32 v19, 2, v19 :: v_dual_bitop2_b32 v22, 7, v19 bitop3:0x40
	v_cmp_lt_i32_e32 vcc_lo, 5, v22
	v_cndmask_b32_e64 v23, 0, 1, vcc_lo
	v_cmp_eq_u32_e32 vcc_lo, 3, v22
	v_cndmask_b32_e64 v22, 0, 1, vcc_lo
	v_cmp_ne_u32_e32 vcc_lo, 0, v7
	s_delay_alu instid0(VALU_DEP_2) | instskip(SKIP_1) | instid1(VALU_DEP_2)
	v_or_b32_e32 v22, v22, v23
	v_mov_b32_e32 v23, 0x7e00
	v_add_nc_u32_e32 v19, v19, v22
	s_delay_alu instid0(VALU_DEP_2) | instskip(SKIP_1) | instid1(VALU_DEP_3)
	v_cndmask_b32_e32 v7, 0x7c00, v23, vcc_lo
	v_cmp_gt_i32_e32 vcc_lo, 31, v20
	v_cndmask_b32_e32 v19, 0x7c00, v19, vcc_lo
	v_cmp_eq_u32_e32 vcc_lo, 0x40f, v20
	s_delay_alu instid0(VALU_DEP_2) | instskip(NEXT) | instid1(VALU_DEP_1)
	v_dual_cndmask_b32 v7, v19, v7, vcc_lo :: v_dual_lshrrev_b32 v19, 16, v21
	v_and_or_b32 v7, 0x8000, v19, v7
	s_branch .LBB25_1670
.LBB25_1668:
	s_mov_b32 s0, -1
                                        ; implicit-def: $vgpr7
	s_branch .LBB25_1673
.LBB25_1669:
	s_mov_b32 s0, -1
                                        ; implicit-def: $vgpr7
.LBB25_1670:
	s_delay_alu instid0(SALU_CYCLE_1)
	s_and_not1_b32 vcc_lo, exec_lo, s0
	s_cbranch_vccnz .LBB25_1672
; %bb.1671:
	s_wait_loadcnt 0x0
	global_load_b32 v7, v[8:9], off
	s_wait_loadcnt 0x0
	v_cvt_f16_f32_e32 v7, v7
.LBB25_1672:
	s_mov_b32 s0, 0
.LBB25_1673:
	s_delay_alu instid0(SALU_CYCLE_1)
	s_and_not1_b32 vcc_lo, exec_lo, s0
	s_cbranch_vccnz .LBB25_1675
; %bb.1674:
	s_wait_loadcnt 0x0
	global_load_u16 v7, v[8:9], off
.LBB25_1675:
	s_mov_b32 s0, 0
.LBB25_1676:
	s_delay_alu instid0(SALU_CYCLE_1)
	s_and_not1_b32 vcc_lo, exec_lo, s0
	s_cbranch_vccnz .LBB25_1696
; %bb.1677:
	s_cmp_lt_i32 s11, 2
	s_cbranch_scc1 .LBB25_1681
; %bb.1678:
	s_cmp_lt_i32 s11, 3
	s_cbranch_scc1 .LBB25_1682
; %bb.1679:
	s_cmp_gt_i32 s11, 3
	s_cbranch_scc0 .LBB25_1683
; %bb.1680:
	global_load_b64 v[20:21], v[8:9], off
	s_mov_b32 s0, 0
	s_wait_loadcnt 0x0
	v_xor_b32_e32 v7, v20, v21
	v_cls_i32_e32 v19, v21
	s_delay_alu instid0(VALU_DEP_2) | instskip(NEXT) | instid1(VALU_DEP_1)
	v_ashrrev_i32_e32 v7, 31, v7
	v_add_nc_u32_e32 v7, 32, v7
	s_delay_alu instid0(VALU_DEP_1) | instskip(NEXT) | instid1(VALU_DEP_1)
	v_add_min_u32_e64 v7, v19, -1, v7
	v_lshlrev_b64_e32 v[20:21], v7, v[20:21]
	v_sub_nc_u32_e32 v7, 32, v7
	s_delay_alu instid0(VALU_DEP_2) | instskip(NEXT) | instid1(VALU_DEP_1)
	v_min_u32_e32 v19, 1, v20
	v_or_b32_e32 v19, v21, v19
	s_delay_alu instid0(VALU_DEP_1) | instskip(NEXT) | instid1(VALU_DEP_1)
	v_cvt_f32_i32_e32 v19, v19
	v_ldexp_f32 v7, v19, v7
	s_delay_alu instid0(VALU_DEP_1)
	v_cvt_f16_f32_e32 v7, v7
	s_branch .LBB25_1684
.LBB25_1681:
	s_mov_b32 s0, -1
                                        ; implicit-def: $vgpr7
	s_branch .LBB25_1690
.LBB25_1682:
	s_mov_b32 s0, -1
                                        ; implicit-def: $vgpr7
	s_branch .LBB25_1687
.LBB25_1683:
	s_mov_b32 s0, -1
                                        ; implicit-def: $vgpr7
.LBB25_1684:
	s_delay_alu instid0(SALU_CYCLE_1)
	s_and_not1_b32 vcc_lo, exec_lo, s0
	s_cbranch_vccnz .LBB25_1686
; %bb.1685:
	s_wait_loadcnt 0x0
	global_load_b32 v7, v[8:9], off
	s_wait_loadcnt 0x0
	v_cvt_f32_i32_e32 v7, v7
	s_delay_alu instid0(VALU_DEP_1)
	v_cvt_f16_f32_e32 v7, v7
.LBB25_1686:
	s_mov_b32 s0, 0
.LBB25_1687:
	s_delay_alu instid0(SALU_CYCLE_1)
	s_and_not1_b32 vcc_lo, exec_lo, s0
	s_cbranch_vccnz .LBB25_1689
; %bb.1688:
	s_wait_loadcnt 0x0
	global_load_u16 v7, v[8:9], off
	s_wait_loadcnt 0x0
	v_cvt_f16_i16_e32 v7, v7
.LBB25_1689:
	s_mov_b32 s0, 0
.LBB25_1690:
	s_delay_alu instid0(SALU_CYCLE_1)
	s_and_not1_b32 vcc_lo, exec_lo, s0
	s_cbranch_vccnz .LBB25_1696
; %bb.1691:
	s_cmp_gt_i32 s11, 0
	s_mov_b32 s0, 0
	s_cbranch_scc0 .LBB25_1693
; %bb.1692:
	s_wait_loadcnt 0x0
	global_load_i8 v7, v[8:9], off
	s_wait_loadcnt 0x0
	v_cvt_f16_i16_e32 v7, v7
	s_branch .LBB25_1694
.LBB25_1693:
	s_mov_b32 s0, -1
                                        ; implicit-def: $vgpr7
.LBB25_1694:
	s_delay_alu instid0(SALU_CYCLE_1)
	s_and_not1_b32 vcc_lo, exec_lo, s0
	s_cbranch_vccnz .LBB25_1696
; %bb.1695:
	s_wait_loadcnt 0x0
	global_load_u8 v7, v[8:9], off
	s_wait_loadcnt 0x0
	v_cvt_f16_u16_e32 v7, v7
.LBB25_1696:
	s_mov_b32 s6, -1
.LBB25_1697:
	s_delay_alu instid0(SALU_CYCLE_1)
	s_and_not1_b32 vcc_lo, exec_lo, s6
	s_cbranch_vccnz .LBB25_2132
; %bb.1698:
	s_wait_loadcnt 0x0
	v_cvt_f32_f16_e32 v8, v7
                                        ; implicit-def: $vgpr20
                                        ; implicit-def: $vgpr19
	s_mov_b32 s1, exec_lo
	s_delay_alu instid0(VALU_DEP_1)
	v_and_b32_e32 v9, 0x7fffffff, v8
	v_cmpx_ngt_f32_e64 0x48000000, |v8|
	s_xor_b32 s6, exec_lo, s1
	s_cbranch_execz .LBB25_1700
; %bb.1699:
	s_mov_b32 s0, 0x7fffff
	v_mov_b32_e32 v21, 0
	v_and_or_b32 v20, v9, s0, 0x800000
	s_mov_b64 s[0:1], 0xfe5163ab
	v_lshrrev_b32_e32 v7, 23, v9
	s_delay_alu instid0(VALU_DEP_2) | instskip(NEXT) | instid1(VALU_DEP_1)
	v_mul_u64_e32 v[22:23], s[0:1], v[20:21]
	v_dual_mov_b32 v24, v23 :: v_dual_mov_b32 v25, v21
	v_dual_mov_b32 v27, v21 :: v_dual_mov_b32 v29, v21
	;; [unrolled: 1-line block ×3, first 2 shown]
	s_delay_alu instid0(VALU_DEP_3) | instskip(NEXT) | instid1(VALU_DEP_1)
	v_mad_nc_u64_u32 v[24:25], 0x3c439041, v20, v[24:25]
	v_mov_b32_e32 v26, v25
	s_delay_alu instid0(VALU_DEP_1) | instskip(NEXT) | instid1(VALU_DEP_1)
	v_mad_nc_u64_u32 v[26:27], 0xdb629599, v20, v[26:27]
	v_mov_b32_e32 v28, v27
	s_delay_alu instid0(VALU_DEP_1) | instskip(NEXT) | instid1(VALU_DEP_1)
	;; [unrolled: 3-line block ×3, first 2 shown]
	v_mad_nc_u64_u32 v[30:31], 0xfc2757d1, v20, v[30:31]
	v_dual_mov_b32 v33, v21 :: v_dual_mov_b32 v32, v31
	s_delay_alu instid0(VALU_DEP_1) | instskip(NEXT) | instid1(VALU_DEP_1)
	v_mad_nc_u64_u32 v[32:33], 0x4e441529, v20, v[32:33]
	v_dual_mov_b32 v34, v33 :: v_dual_add_nc_u32 v7, 0xffffff88, v7
	s_delay_alu instid0(VALU_DEP_1) | instskip(NEXT) | instid1(VALU_DEP_2)
	v_cmp_lt_u32_e32 vcc_lo, 63, v7
	v_mad_nc_u64_u32 v[20:21], 0xa2f9836e, v20, v[34:35]
	v_cndmask_b32_e64 v19, 0, 0xffffffc0, vcc_lo
	v_dual_cndmask_b32 v23, v32, v28 :: v_dual_cndmask_b32 v22, v26, v22
	s_delay_alu instid0(VALU_DEP_2) | instskip(NEXT) | instid1(VALU_DEP_1)
	v_add_nc_u32_e32 v7, v19, v7
	v_cmp_lt_u32_e64 s0, 31, v7
	v_dual_cndmask_b32 v20, v20, v30 :: v_dual_cndmask_b32 v21, v21, v32
	s_delay_alu instid0(VALU_DEP_2) | instskip(NEXT) | instid1(VALU_DEP_1)
	v_cndmask_b32_e64 v19, 0, 0xffffffe0, s0
	v_add_nc_u32_e32 v7, v19, v7
	s_delay_alu instid0(VALU_DEP_1) | instskip(NEXT) | instid1(VALU_DEP_1)
	v_cmp_lt_u32_e64 s1, 31, v7
	v_cndmask_b32_e64 v19, 0, 0xffffffe0, s1
	s_delay_alu instid0(VALU_DEP_1) | instskip(SKIP_2) | instid1(VALU_DEP_3)
	v_dual_cndmask_b32 v25, v30, v26, vcc_lo :: v_dual_add_nc_u32 v7, v19, v7
	v_cndmask_b32_e32 v19, v28, v24, vcc_lo
	v_dual_cndmask_b32 v24, v20, v23, s0 :: v_dual_cndmask_b32 v20, v21, v20, s0
	v_dual_cndmask_b32 v21, v23, v25, s0 :: v_dual_sub_nc_u32 v23, 32, v7
	s_delay_alu instid0(VALU_DEP_3) | instskip(SKIP_1) | instid1(VALU_DEP_4)
	v_cndmask_b32_e64 v25, v25, v19, s0
	v_cmp_eq_u32_e32 vcc_lo, 0, v7
	v_cndmask_b32_e64 v20, v20, v24, s1
	s_delay_alu instid0(VALU_DEP_4) | instskip(NEXT) | instid1(VALU_DEP_4)
	v_cndmask_b32_e64 v24, v24, v21, s1
	v_cndmask_b32_e64 v21, v21, v25, s1
	s_delay_alu instid0(VALU_DEP_2) | instskip(NEXT) | instid1(VALU_DEP_2)
	v_alignbit_b32 v27, v20, v24, v23
	v_alignbit_b32 v26, v24, v21, v23
	v_cndmask_b32_e64 v19, v19, v22, s0
	s_delay_alu instid0(VALU_DEP_3) | instskip(NEXT) | instid1(VALU_DEP_2)
	v_cndmask_b32_e32 v7, v27, v20, vcc_lo
	v_dual_cndmask_b32 v20, v26, v24, vcc_lo :: v_dual_cndmask_b32 v19, v25, v19, s1
	s_delay_alu instid0(VALU_DEP_2) | instskip(NEXT) | instid1(VALU_DEP_2)
	v_bfe_u32 v22, v7, 29, 1
	v_alignbit_b32 v24, v7, v20, 30
	s_delay_alu instid0(VALU_DEP_3) | instskip(NEXT) | instid1(VALU_DEP_1)
	v_alignbit_b32 v23, v21, v19, v23
	v_dual_sub_nc_u32 v25, 0, v22 :: v_dual_cndmask_b32 v21, v23, v21, vcc_lo
	s_delay_alu instid0(VALU_DEP_1) | instskip(NEXT) | instid1(VALU_DEP_2)
	v_xor_b32_e32 v24, v24, v25
	v_alignbit_b32 v20, v20, v21, 30
	v_alignbit_b32 v19, v21, v19, 30
	s_delay_alu instid0(VALU_DEP_3) | instskip(NEXT) | instid1(VALU_DEP_3)
	v_clz_i32_u32_e32 v23, v24
	v_xor_b32_e32 v20, v20, v25
	s_delay_alu instid0(VALU_DEP_3) | instskip(NEXT) | instid1(VALU_DEP_3)
	v_xor_b32_e32 v19, v19, v25
	v_min_u32_e32 v23, 32, v23
	v_lshrrev_b32_e32 v25, 29, v7
	s_delay_alu instid0(VALU_DEP_2) | instskip(NEXT) | instid1(VALU_DEP_1)
	v_dual_sub_nc_u32 v21, 31, v23 :: v_dual_lshlrev_b32 v26, 23, v23
	v_alignbit_b32 v24, v24, v20, v21
	v_alignbit_b32 v19, v20, v19, v21
	s_delay_alu instid0(VALU_DEP_4) | instskip(NEXT) | instid1(VALU_DEP_2)
	v_lshlrev_b32_e32 v20, 31, v25
	v_alignbit_b32 v21, v24, v19, 9
	s_delay_alu instid0(VALU_DEP_2) | instskip(SKIP_2) | instid1(VALU_DEP_4)
	v_or_b32_e32 v25, 0.5, v20
	v_lshrrev_b32_e32 v24, 9, v24
	v_or_b32_e32 v20, 0x33000000, v20
	v_clz_i32_u32_e32 v27, v21
	s_delay_alu instid0(VALU_DEP_4) | instskip(NEXT) | instid1(VALU_DEP_2)
	v_sub_nc_u32_e32 v25, v25, v26
	v_min_u32_e32 v26, 32, v27
	s_delay_alu instid0(VALU_DEP_2) | instskip(NEXT) | instid1(VALU_DEP_2)
	v_or_b32_e32 v24, v24, v25
	v_not_b32_e32 v25, v26
	v_add_lshl_u32 v23, v26, v23, 23
	s_delay_alu instid0(VALU_DEP_2) | instskip(NEXT) | instid1(VALU_DEP_2)
	v_alignbit_b32 v19, v21, v19, v25
	v_sub_nc_u32_e32 v20, v20, v23
	s_delay_alu instid0(VALU_DEP_2) | instskip(SKIP_2) | instid1(VALU_DEP_3)
	v_lshrrev_b32_e32 v19, 9, v19
	v_mul_f32_e32 v27, 0x3fc90fda, v24
	v_lshrrev_b32_e32 v7, 30, v7
	v_or_b32_e32 v19, v20, v19
	s_delay_alu instid0(VALU_DEP_3) | instskip(NEXT) | instid1(VALU_DEP_1)
	v_fma_f32 v21, 0x3fc90fda, v24, -v27
	v_dual_fmamk_f32 v21, v24, 0x33a22168, v21 :: v_dual_add_nc_u32 v20, v22, v7
	s_delay_alu instid0(VALU_DEP_1) | instskip(NEXT) | instid1(VALU_DEP_1)
	v_fmac_f32_e32 v21, 0x3fc90fda, v19
	v_add_f32_e32 v19, v27, v21
.LBB25_1700:
	s_and_not1_saveexec_b32 s0, s6
; %bb.1701:
	v_mul_f32_e64 v7, 0x3f22f983, |v8|
	s_delay_alu instid0(VALU_DEP_1) | instskip(NEXT) | instid1(VALU_DEP_1)
	v_rndne_f32_e32 v7, v7
	v_fma_f32 v19, 0xbfc90fda, v7, |v8|
	v_cvt_i32_f32_e32 v20, v7
	s_delay_alu instid0(VALU_DEP_2) | instskip(NEXT) | instid1(VALU_DEP_1)
	v_fmamk_f32 v19, v7, 0xb3a22168, v19
	v_fmamk_f32 v19, v7, 0xa7c234c4, v19
; %bb.1702:
	s_or_b32 exec_lo, exec_lo, s0
	v_dual_mov_b32 v7, 0 :: v_dual_mul_f32 v22, v5, v5
	s_mov_b32 s0, 0xb94c1982
	v_xor_b32_e32 v3, v3, v1
	s_mov_b32 s6, 0
	global_load_u8 v21, v7, s[2:3] offset:345
	v_fmaak_f32 v23, s0, v22, 0x3c0881c4
	s_mov_b32 s0, 0x37d75334
	s_wait_xcnt 0x0
	v_add_nc_u64_e32 v[6:7], s[4:5], v[6:7]
	s_delay_alu instid0(VALU_DEP_2) | instskip(SKIP_2) | instid1(VALU_DEP_1)
	v_fmaak_f32 v23, v22, v23, 0xbe2aaa9d
	v_fmaak_f32 v24, s0, v22, 0xbab64f3b
	s_mov_b32 s0, -1
	v_dual_mul_f32 v23, v22, v23 :: v_dual_fmaak_f32 v24, v22, v24, 0x3d2aabf7
	s_delay_alu instid0(VALU_DEP_1) | instskip(SKIP_1) | instid1(VALU_DEP_2)
	v_dual_fmac_f32 v5, v5, v23 :: v_dual_bitop2_b32 v23, 1, v14 bitop3:0x40
	v_lshlrev_b32_e32 v14, 30, v14
	v_cmp_eq_u32_e32 vcc_lo, 0, v23
	s_delay_alu instid0(VALU_DEP_4) | instskip(NEXT) | instid1(VALU_DEP_3)
	v_fmaak_f32 v24, v22, v24, 0xbf000004
	v_and_b32_e32 v14, 0x80000000, v14
	s_delay_alu instid0(VALU_DEP_2) | instskip(NEXT) | instid1(VALU_DEP_1)
	v_fma_f32 v22, v22, v24, 1.0
	v_cndmask_b32_e32 v5, v22, v5, vcc_lo
	v_cmp_class_f32_e64 vcc_lo, v1, 0x1f8
	s_delay_alu instid0(VALU_DEP_2) | instskip(NEXT) | instid1(VALU_DEP_1)
	v_xor3_b32 v3, v3, v14, v5
	v_cndmask_b32_e32 v1, 0x7fc00000, v3, vcc_lo
	s_delay_alu instid0(VALU_DEP_1) | instskip(SKIP_3) | instid1(VALU_DEP_2)
	v_cvt_f16_f32_e32 v1, v1
	s_wait_loadcnt 0x0
	v_and_b32_e32 v5, 0xffff, v21
	v_readfirstlane_b32 s1, v21
	v_cmp_gt_i32_e32 vcc_lo, 11, v5
	s_cbranch_vccnz .LBB25_1781
; %bb.1703:
	s_and_b32 s2, 0xffff, s1
	s_mov_b32 s7, -1
	s_mov_b32 s3, 0
	s_cmp_gt_i32 s2, 25
	s_mov_b32 s0, 0
	s_cbranch_scc0 .LBB25_1736
; %bb.1704:
	s_cmp_gt_i32 s2, 28
	s_cbranch_scc0 .LBB25_1719
; %bb.1705:
	s_cmp_gt_i32 s2, 43
	;; [unrolled: 3-line block ×3, first 2 shown]
	s_cbranch_scc0 .LBB25_1709
; %bb.1707:
	s_mov_b32 s0, -1
	s_mov_b32 s7, 0
	s_cmp_eq_u32 s2, 46
	s_cbranch_scc0 .LBB25_1709
; %bb.1708:
	v_cvt_f32_f16_e32 v3, v1
	v_cmp_o_f16_e32 vcc_lo, v1, v1
	s_mov_b32 s0, 0
	s_mov_b32 s6, -1
	s_delay_alu instid0(VALU_DEP_2) | instskip(NEXT) | instid1(VALU_DEP_1)
	v_bfe_u32 v5, v3, 16, 1
	v_add3_u32 v3, v3, v5, 0x7fff
	s_delay_alu instid0(VALU_DEP_1) | instskip(NEXT) | instid1(VALU_DEP_1)
	v_lshrrev_b32_e32 v3, 16, v3
	v_cndmask_b32_e32 v3, 0x7fc0, v3, vcc_lo
	global_store_b32 v[6:7], v3, off
.LBB25_1709:
	s_and_b32 vcc_lo, exec_lo, s7
	s_cbranch_vccz .LBB25_1714
; %bb.1710:
	s_cmp_eq_u32 s2, 44
	s_mov_b32 s0, -1
	s_cbranch_scc0 .LBB25_1714
; %bb.1711:
	s_wait_xcnt 0x0
	v_cvt_f32_f16_e32 v3, v1
	v_mov_b32_e32 v5, 0xff
	s_mov_b32 s6, exec_lo
	s_delay_alu instid0(VALU_DEP_2) | instskip(NEXT) | instid1(VALU_DEP_1)
	v_bfe_u32 v14, v3, 23, 8
	v_cmpx_ne_u32_e32 0xff, v14
	s_cbranch_execz .LBB25_1713
; %bb.1712:
	v_and_b32_e32 v5, 0x400000, v3
	v_and_or_b32 v14, 0x3fffff, v3, v14
	v_lshrrev_b32_e32 v3, 23, v3
	s_delay_alu instid0(VALU_DEP_3) | instskip(NEXT) | instid1(VALU_DEP_3)
	v_cmp_ne_u32_e32 vcc_lo, 0, v5
	v_cmp_ne_u32_e64 s0, 0, v14
	s_and_b32 s0, vcc_lo, s0
	s_delay_alu instid0(SALU_CYCLE_1) | instskip(NEXT) | instid1(VALU_DEP_1)
	v_cndmask_b32_e64 v5, 0, 1, s0
	v_add_nc_u32_e32 v5, v3, v5
.LBB25_1713:
	s_or_b32 exec_lo, exec_lo, s6
	s_mov_b32 s0, 0
	s_mov_b32 s6, -1
	global_store_b8 v[6:7], v5, off
.LBB25_1714:
	s_mov_b32 s7, 0
.LBB25_1715:
	s_delay_alu instid0(SALU_CYCLE_1)
	s_and_b32 vcc_lo, exec_lo, s7
	s_cbranch_vccz .LBB25_1718
; %bb.1716:
	s_cmp_eq_u32 s2, 29
	s_mov_b32 s0, -1
	s_cbranch_scc0 .LBB25_1718
; %bb.1717:
	s_wait_xcnt 0x0
	v_cvt_f32_f16_e32 v3, v1
	v_mov_b32_e32 v23, 0
	s_mov_b32 s0, 0
	s_mov_b32 s6, -1
	s_delay_alu instid0(VALU_DEP_2)
	v_cvt_u32_f32_e32 v22, v3
	global_store_b64 v[6:7], v[22:23], off
.LBB25_1718:
	s_mov_b32 s7, 0
.LBB25_1719:
	s_delay_alu instid0(SALU_CYCLE_1)
	s_and_b32 vcc_lo, exec_lo, s7
	s_cbranch_vccz .LBB25_1735
; %bb.1720:
	s_cmp_lt_i32 s2, 27
	s_mov_b32 s6, -1
	s_cbranch_scc1 .LBB25_1726
; %bb.1721:
	s_cmp_gt_i32 s2, 27
	s_cbranch_scc0 .LBB25_1723
; %bb.1722:
	s_wait_xcnt 0x0
	v_cvt_f32_f16_e32 v3, v1
	s_mov_b32 s6, 0
	s_delay_alu instid0(VALU_DEP_1)
	v_cvt_u32_f32_e32 v3, v3
	global_store_b32 v[6:7], v3, off
.LBB25_1723:
	s_and_not1_b32 vcc_lo, exec_lo, s6
	s_cbranch_vccnz .LBB25_1725
; %bb.1724:
	s_wait_xcnt 0x0
	v_cvt_u16_f16_e32 v3, v1
	global_store_b16 v[6:7], v3, off
.LBB25_1725:
	s_mov_b32 s6, 0
.LBB25_1726:
	s_delay_alu instid0(SALU_CYCLE_1)
	s_and_not1_b32 vcc_lo, exec_lo, s6
	s_cbranch_vccnz .LBB25_1734
; %bb.1727:
	s_wait_xcnt 0x0
	v_cvt_f32_f16_e32 v3, v1
	v_mov_b32_e32 v14, 0x80
	s_mov_b32 s6, exec_lo
	s_delay_alu instid0(VALU_DEP_2) | instskip(NEXT) | instid1(VALU_DEP_1)
	v_and_b32_e32 v5, 0x7fffffff, v3
	v_cmpx_gt_u32_e32 0x43800000, v5
	s_cbranch_execz .LBB25_1733
; %bb.1728:
	v_cmp_lt_u32_e32 vcc_lo, 0x3bffffff, v5
	s_mov_b32 s7, 0
                                        ; implicit-def: $vgpr5
	s_and_saveexec_b32 s11, vcc_lo
	s_delay_alu instid0(SALU_CYCLE_1)
	s_xor_b32 s11, exec_lo, s11
	s_cbranch_execz .LBB25_2178
; %bb.1729:
	v_bfe_u32 v5, v3, 20, 1
	s_mov_b32 s7, exec_lo
	s_delay_alu instid0(VALU_DEP_1) | instskip(NEXT) | instid1(VALU_DEP_1)
	v_add3_u32 v5, v3, v5, 0x487ffff
	v_lshrrev_b32_e32 v5, 20, v5
	s_and_not1_saveexec_b32 s11, s11
	s_cbranch_execnz .LBB25_2179
.LBB25_1730:
	s_or_b32 exec_lo, exec_lo, s11
	v_mov_b32_e32 v14, 0
	s_and_saveexec_b32 s11, s7
.LBB25_1731:
	v_lshrrev_b32_e32 v3, 24, v3
	s_delay_alu instid0(VALU_DEP_1)
	v_and_or_b32 v14, 0x80, v3, v5
.LBB25_1732:
	s_or_b32 exec_lo, exec_lo, s11
.LBB25_1733:
	s_delay_alu instid0(SALU_CYCLE_1)
	s_or_b32 exec_lo, exec_lo, s6
	global_store_b8 v[6:7], v14, off
.LBB25_1734:
	s_mov_b32 s6, -1
.LBB25_1735:
	s_mov_b32 s7, 0
.LBB25_1736:
	s_delay_alu instid0(SALU_CYCLE_1)
	s_and_b32 vcc_lo, exec_lo, s7
	s_cbranch_vccz .LBB25_1776
; %bb.1737:
	s_cmp_gt_i32 s2, 22
	s_mov_b32 s3, -1
	s_cbranch_scc0 .LBB25_1769
; %bb.1738:
	s_cmp_lt_i32 s2, 24
	s_cbranch_scc1 .LBB25_1758
; %bb.1739:
	s_cmp_gt_i32 s2, 24
	s_cbranch_scc0 .LBB25_1747
; %bb.1740:
	s_wait_xcnt 0x0
	v_cvt_f32_f16_e32 v3, v1
	v_mov_b32_e32 v14, 0x80
	s_mov_b32 s3, exec_lo
	s_delay_alu instid0(VALU_DEP_2) | instskip(NEXT) | instid1(VALU_DEP_1)
	v_and_b32_e32 v5, 0x7fffffff, v3
	v_cmpx_gt_u32_e32 0x47800000, v5
	s_cbranch_execz .LBB25_1746
; %bb.1741:
	v_cmp_lt_u32_e32 vcc_lo, 0x37ffffff, v5
	s_mov_b32 s6, 0
                                        ; implicit-def: $vgpr5
	s_and_saveexec_b32 s7, vcc_lo
	s_delay_alu instid0(SALU_CYCLE_1)
	s_xor_b32 s7, exec_lo, s7
	s_cbranch_execz .LBB25_2181
; %bb.1742:
	v_bfe_u32 v5, v3, 21, 1
	s_mov_b32 s6, exec_lo
	s_delay_alu instid0(VALU_DEP_1) | instskip(NEXT) | instid1(VALU_DEP_1)
	v_add3_u32 v5, v3, v5, 0x88fffff
	v_lshrrev_b32_e32 v5, 21, v5
	s_and_not1_saveexec_b32 s7, s7
	s_cbranch_execnz .LBB25_2182
.LBB25_1743:
	s_or_b32 exec_lo, exec_lo, s7
	v_mov_b32_e32 v14, 0
	s_and_saveexec_b32 s7, s6
.LBB25_1744:
	v_lshrrev_b32_e32 v3, 24, v3
	s_delay_alu instid0(VALU_DEP_1)
	v_and_or_b32 v14, 0x80, v3, v5
.LBB25_1745:
	s_or_b32 exec_lo, exec_lo, s7
.LBB25_1746:
	s_delay_alu instid0(SALU_CYCLE_1)
	s_or_b32 exec_lo, exec_lo, s3
	s_mov_b32 s3, 0
	global_store_b8 v[6:7], v14, off
.LBB25_1747:
	s_and_b32 vcc_lo, exec_lo, s3
	s_cbranch_vccz .LBB25_1757
; %bb.1748:
	s_wait_xcnt 0x0
	v_cvt_f32_f16_e32 v3, v1
	s_mov_b32 s3, exec_lo
                                        ; implicit-def: $vgpr5
	s_delay_alu instid0(VALU_DEP_1) | instskip(NEXT) | instid1(VALU_DEP_1)
	v_and_b32_e32 v14, 0x7fffffff, v3
	v_cmpx_gt_u32_e32 0x43f00000, v14
	s_xor_b32 s3, exec_lo, s3
	s_cbranch_execz .LBB25_1754
; %bb.1749:
	s_mov_b32 s6, exec_lo
                                        ; implicit-def: $vgpr5
	v_cmpx_lt_u32_e32 0x3c7fffff, v14
	s_xor_b32 s6, exec_lo, s6
; %bb.1750:
	v_bfe_u32 v5, v3, 20, 1
	s_delay_alu instid0(VALU_DEP_1) | instskip(NEXT) | instid1(VALU_DEP_1)
	v_add3_u32 v5, v3, v5, 0x407ffff
	v_and_b32_e32 v14, 0xff00000, v5
	v_lshrrev_b32_e32 v5, 20, v5
	s_delay_alu instid0(VALU_DEP_2) | instskip(NEXT) | instid1(VALU_DEP_2)
	v_cmp_ne_u32_e32 vcc_lo, 0x7f00000, v14
	v_cndmask_b32_e32 v5, 0x7e, v5, vcc_lo
; %bb.1751:
	s_and_not1_saveexec_b32 s6, s6
; %bb.1752:
	v_add_f32_e64 v5, 0x46800000, |v3|
; %bb.1753:
	s_or_b32 exec_lo, exec_lo, s6
                                        ; implicit-def: $vgpr14
.LBB25_1754:
	s_and_not1_saveexec_b32 s3, s3
; %bb.1755:
	v_mov_b32_e32 v5, 0x7f
	v_cmp_lt_u32_e32 vcc_lo, 0x7f800000, v14
	s_delay_alu instid0(VALU_DEP_2)
	v_cndmask_b32_e32 v5, 0x7e, v5, vcc_lo
; %bb.1756:
	s_or_b32 exec_lo, exec_lo, s3
	v_lshrrev_b32_e32 v3, 24, v3
	s_delay_alu instid0(VALU_DEP_1)
	v_and_or_b32 v3, 0x80, v3, v5
	global_store_b8 v[6:7], v3, off
.LBB25_1757:
	s_mov_b32 s3, 0
.LBB25_1758:
	s_delay_alu instid0(SALU_CYCLE_1)
	s_and_not1_b32 vcc_lo, exec_lo, s3
	s_cbranch_vccnz .LBB25_1768
; %bb.1759:
	s_wait_xcnt 0x0
	v_cvt_f32_f16_e32 v3, v1
	s_mov_b32 s3, exec_lo
                                        ; implicit-def: $vgpr5
	s_delay_alu instid0(VALU_DEP_1) | instskip(NEXT) | instid1(VALU_DEP_1)
	v_and_b32_e32 v14, 0x7fffffff, v3
	v_cmpx_gt_u32_e32 0x47800000, v14
	s_xor_b32 s3, exec_lo, s3
	s_cbranch_execz .LBB25_1765
; %bb.1760:
	s_mov_b32 s6, exec_lo
                                        ; implicit-def: $vgpr5
	v_cmpx_lt_u32_e32 0x387fffff, v14
	s_xor_b32 s6, exec_lo, s6
; %bb.1761:
	v_bfe_u32 v5, v3, 21, 1
	s_delay_alu instid0(VALU_DEP_1) | instskip(NEXT) | instid1(VALU_DEP_1)
	v_add3_u32 v5, v3, v5, 0x80fffff
	v_lshrrev_b32_e32 v5, 21, v5
; %bb.1762:
	s_and_not1_saveexec_b32 s6, s6
; %bb.1763:
	v_add_f32_e64 v5, 0x43000000, |v3|
; %bb.1764:
	s_or_b32 exec_lo, exec_lo, s6
                                        ; implicit-def: $vgpr14
.LBB25_1765:
	s_and_not1_saveexec_b32 s3, s3
; %bb.1766:
	v_mov_b32_e32 v5, 0x7f
	v_cmp_lt_u32_e32 vcc_lo, 0x7f800000, v14
	s_delay_alu instid0(VALU_DEP_2)
	v_cndmask_b32_e32 v5, 0x7c, v5, vcc_lo
; %bb.1767:
	s_or_b32 exec_lo, exec_lo, s3
	v_lshrrev_b32_e32 v3, 24, v3
	s_delay_alu instid0(VALU_DEP_1)
	v_and_or_b32 v3, 0x80, v3, v5
	global_store_b8 v[6:7], v3, off
.LBB25_1768:
	s_mov_b32 s3, 0
	s_mov_b32 s6, -1
.LBB25_1769:
	s_and_not1_b32 vcc_lo, exec_lo, s3
	s_mov_b32 s3, 0
	s_cbranch_vccnz .LBB25_1776
; %bb.1770:
	s_cmp_gt_i32 s2, 14
	s_mov_b32 s3, -1
	s_cbranch_scc0 .LBB25_1774
; %bb.1771:
	s_cmp_eq_u32 s2, 15
	s_mov_b32 s0, -1
	s_cbranch_scc0 .LBB25_1773
; %bb.1772:
	s_wait_xcnt 0x0
	v_cvt_f32_f16_e32 v3, v1
	v_cmp_o_f16_e32 vcc_lo, v1, v1
	s_mov_b32 s0, 0
	s_mov_b32 s6, -1
	s_delay_alu instid0(VALU_DEP_2) | instskip(NEXT) | instid1(VALU_DEP_1)
	v_bfe_u32 v5, v3, 16, 1
	v_add3_u32 v3, v3, v5, 0x7fff
	s_delay_alu instid0(VALU_DEP_1) | instskip(NEXT) | instid1(VALU_DEP_1)
	v_lshrrev_b32_e32 v3, 16, v3
	v_cndmask_b32_e32 v3, 0x7fc0, v3, vcc_lo
	global_store_b16 v[6:7], v3, off
.LBB25_1773:
	s_mov_b32 s3, 0
.LBB25_1774:
	s_delay_alu instid0(SALU_CYCLE_1)
	s_and_b32 vcc_lo, exec_lo, s3
	s_mov_b32 s3, 0
	s_cbranch_vccz .LBB25_1776
; %bb.1775:
	s_cmp_lg_u32 s2, 11
	s_mov_b32 s3, -1
	s_cselect_b32 s0, -1, 0
.LBB25_1776:
	s_delay_alu instid0(SALU_CYCLE_1)
	s_and_b32 vcc_lo, exec_lo, s0
	s_cbranch_vccnz .LBB25_2180
; %bb.1777:
	s_and_not1_b32 vcc_lo, exec_lo, s3
	s_cbranch_vccnz .LBB25_1779
.LBB25_1778:
	v_cmp_neq_f16_e32 vcc_lo, 0, v1
	s_mov_b32 s6, -1
	s_wait_xcnt 0x0
	v_cndmask_b32_e64 v3, 0, 1, vcc_lo
	global_store_b8 v[6:7], v3, off
.LBB25_1779:
.LBB25_1780:
	s_and_not1_b32 vcc_lo, exec_lo, s6
	s_cbranch_vccz .LBB25_1820
	s_branch .LBB25_2132
.LBB25_1781:
	s_and_b32 vcc_lo, exec_lo, s0
	s_cbranch_vccz .LBB25_1780
; %bb.1782:
	s_and_b32 s0, 0xffff, s1
	s_mov_b32 s2, -1
	s_cmp_lt_i32 s0, 5
	s_cbranch_scc1 .LBB25_1803
; %bb.1783:
	s_cmp_lt_i32 s0, 8
	s_cbranch_scc1 .LBB25_1793
; %bb.1784:
	;; [unrolled: 3-line block ×3, first 2 shown]
	s_cmp_gt_i32 s0, 9
	s_cbranch_scc0 .LBB25_1787
; %bb.1786:
	s_wait_xcnt 0x0
	v_cvt_f32_f16_e32 v3, v1
	v_mov_b32_e32 v24, 0
	s_mov_b32 s2, 0
	s_delay_alu instid0(VALU_DEP_2) | instskip(NEXT) | instid1(VALU_DEP_2)
	v_cvt_f64_f32_e32 v[22:23], v3
	v_mov_b32_e32 v25, v24
	global_store_b128 v[6:7], v[22:25], off
.LBB25_1787:
	s_and_not1_b32 vcc_lo, exec_lo, s2
	s_cbranch_vccnz .LBB25_1789
; %bb.1788:
	s_wait_xcnt 0x0
	v_cvt_f32_f16_e32 v22, v1
	v_mov_b32_e32 v23, 0
	global_store_b64 v[6:7], v[22:23], off
.LBB25_1789:
	s_mov_b32 s2, 0
.LBB25_1790:
	s_delay_alu instid0(SALU_CYCLE_1)
	s_and_not1_b32 vcc_lo, exec_lo, s2
	s_cbranch_vccnz .LBB25_1792
; %bb.1791:
	s_wait_xcnt 0x0
	v_and_b32_e32 v3, 0xffff, v1
	global_store_b32 v[6:7], v3, off
.LBB25_1792:
	s_mov_b32 s2, 0
.LBB25_1793:
	s_delay_alu instid0(SALU_CYCLE_1)
	s_and_not1_b32 vcc_lo, exec_lo, s2
	s_cbranch_vccnz .LBB25_1802
; %bb.1794:
	s_cmp_lt_i32 s0, 6
	s_mov_b32 s2, -1
	s_cbranch_scc1 .LBB25_1800
; %bb.1795:
	s_cmp_gt_i32 s0, 6
	s_cbranch_scc0 .LBB25_1797
; %bb.1796:
	s_wait_xcnt 0x0
	v_cvt_f32_f16_e32 v3, v1
	s_mov_b32 s2, 0
	s_delay_alu instid0(VALU_DEP_1)
	v_cvt_f64_f32_e32 v[22:23], v3
	global_store_b64 v[6:7], v[22:23], off
.LBB25_1797:
	s_and_not1_b32 vcc_lo, exec_lo, s2
	s_cbranch_vccnz .LBB25_1799
; %bb.1798:
	s_wait_xcnt 0x0
	v_cvt_f32_f16_e32 v3, v1
	global_store_b32 v[6:7], v3, off
.LBB25_1799:
	s_mov_b32 s2, 0
.LBB25_1800:
	s_delay_alu instid0(SALU_CYCLE_1)
	s_and_not1_b32 vcc_lo, exec_lo, s2
	s_cbranch_vccnz .LBB25_1802
; %bb.1801:
	global_store_b16 v[6:7], v1, off
.LBB25_1802:
	s_mov_b32 s2, 0
.LBB25_1803:
	s_delay_alu instid0(SALU_CYCLE_1)
	s_and_not1_b32 vcc_lo, exec_lo, s2
	s_cbranch_vccnz .LBB25_1819
; %bb.1804:
	s_cmp_lt_i32 s0, 2
	s_mov_b32 s2, -1
	s_cbranch_scc1 .LBB25_1814
; %bb.1805:
	s_cmp_lt_i32 s0, 3
	s_cbranch_scc1 .LBB25_1811
; %bb.1806:
	s_cmp_gt_i32 s0, 3
	s_cbranch_scc0 .LBB25_1808
; %bb.1807:
	s_wait_xcnt 0x0
	v_cvt_f32_f16_e32 v3, v1
	s_mov_b32 s2, 0
	s_delay_alu instid0(VALU_DEP_1) | instskip(NEXT) | instid1(VALU_DEP_1)
	v_cvt_i32_f32_e32 v22, v3
	v_ashrrev_i32_e32 v23, 31, v22
	global_store_b64 v[6:7], v[22:23], off
.LBB25_1808:
	s_and_not1_b32 vcc_lo, exec_lo, s2
	s_cbranch_vccnz .LBB25_1810
; %bb.1809:
	s_wait_xcnt 0x0
	v_cvt_f32_f16_e32 v3, v1
	s_delay_alu instid0(VALU_DEP_1)
	v_cvt_i32_f32_e32 v3, v3
	global_store_b32 v[6:7], v3, off
.LBB25_1810:
	s_mov_b32 s2, 0
.LBB25_1811:
	s_delay_alu instid0(SALU_CYCLE_1)
	s_and_not1_b32 vcc_lo, exec_lo, s2
	s_cbranch_vccnz .LBB25_1813
; %bb.1812:
	s_wait_xcnt 0x0
	v_cvt_i16_f16_e32 v3, v1
	global_store_b16 v[6:7], v3, off
.LBB25_1813:
	s_mov_b32 s2, 0
.LBB25_1814:
	s_delay_alu instid0(SALU_CYCLE_1)
	s_and_not1_b32 vcc_lo, exec_lo, s2
	s_cbranch_vccnz .LBB25_1819
; %bb.1815:
	s_cmp_gt_i32 s0, 0
	s_mov_b32 s0, -1
	s_cbranch_scc0 .LBB25_1817
; %bb.1816:
	s_wait_xcnt 0x0
	v_cvt_i16_f16_e32 v3, v1
	s_mov_b32 s0, 0
	global_store_b8 v[6:7], v3, off
.LBB25_1817:
	s_and_not1_b32 vcc_lo, exec_lo, s0
	s_cbranch_vccnz .LBB25_1819
; %bb.1818:
	s_wait_xcnt 0x0
	v_cvt_f32_f16_e32 v1, v1
	s_delay_alu instid0(VALU_DEP_1)
	v_cvt_i32_f32_e32 v1, v1
	global_store_b8 v[6:7], v1, off
.LBB25_1819:
.LBB25_1820:
	s_wait_xcnt 0x0
	v_dual_mul_f32 v1, v15, v15 :: v_dual_bitop2_b32 v6, 1, v16 bitop3:0x40
	s_mov_b32 s0, 0xb94c1982
	s_mov_b32 s2, 0x37d75334
	;; [unrolled: 1-line block ×3, first 2 shown]
	s_delay_alu instid0(VALU_DEP_1)
	v_fmaak_f32 v3, s0, v1, 0x3c0881c4
	v_fmaak_f32 v5, s2, v1, 0xbab64f3b
	v_cmp_eq_u32_e32 vcc_lo, 0, v6
	s_and_b32 s2, 0xffff, s1
	s_mov_b32 s0, -1
	v_fmaak_f32 v3, v1, v3, 0xbe2aaa9d
	v_fmaak_f32 v5, v1, v5, 0x3d2aabf7
	s_cmp_lt_i32 s2, 11
	s_delay_alu instid0(VALU_DEP_2) | instskip(NEXT) | instid1(VALU_DEP_2)
	v_dual_lshlrev_b32 v7, 30, v16 :: v_dual_mul_f32 v3, v1, v3
	v_fmaak_f32 v5, v1, v5, 0xbf000004
	s_delay_alu instid0(VALU_DEP_2) | instskip(NEXT) | instid1(VALU_DEP_2)
	v_dual_fmac_f32 v15, v15, v3 :: v_dual_bitop2_b32 v3, v13, v12 bitop3:0x14
	v_fma_f32 v1, v1, v5, 1.0
	s_delay_alu instid0(VALU_DEP_4) | instskip(NEXT) | instid1(VALU_DEP_2)
	v_and_b32_e32 v5, 0x80000000, v7
	v_cndmask_b32_e32 v1, v1, v15, vcc_lo
	v_cmp_class_f32_e64 vcc_lo, v12, 0x1f8
	s_delay_alu instid0(VALU_DEP_2) | instskip(SKIP_1) | instid1(VALU_DEP_2)
	v_xor3_b32 v1, v3, v5, v1
	v_mov_b32_e32 v5, 0
	v_cndmask_b32_e32 v1, 0x7fc00000, v1, vcc_lo
	s_delay_alu instid0(VALU_DEP_2) | instskip(NEXT) | instid1(VALU_DEP_2)
	v_add_nc_u64_e32 v[4:5], s[4:5], v[4:5]
	v_cvt_f16_f32_e32 v1, v1
	s_cbranch_scc1 .LBB25_1899
; %bb.1821:
	s_mov_b32 s7, -1
	s_mov_b32 s3, 0
	s_cmp_gt_i32 s2, 25
	s_mov_b32 s0, 0
	s_cbranch_scc0 .LBB25_1854
; %bb.1822:
	s_cmp_gt_i32 s2, 28
	s_cbranch_scc0 .LBB25_1837
; %bb.1823:
	s_cmp_gt_i32 s2, 43
	;; [unrolled: 3-line block ×3, first 2 shown]
	s_cbranch_scc0 .LBB25_1827
; %bb.1825:
	s_mov_b32 s0, -1
	s_mov_b32 s7, 0
	s_cmp_eq_u32 s2, 46
	s_cbranch_scc0 .LBB25_1827
; %bb.1826:
	v_cvt_f32_f16_e32 v3, v1
	v_cmp_o_f16_e32 vcc_lo, v1, v1
	s_mov_b32 s0, 0
	s_mov_b32 s6, -1
	s_delay_alu instid0(VALU_DEP_2) | instskip(NEXT) | instid1(VALU_DEP_1)
	v_bfe_u32 v6, v3, 16, 1
	v_add3_u32 v3, v3, v6, 0x7fff
	s_delay_alu instid0(VALU_DEP_1) | instskip(NEXT) | instid1(VALU_DEP_1)
	v_lshrrev_b32_e32 v3, 16, v3
	v_cndmask_b32_e32 v3, 0x7fc0, v3, vcc_lo
	global_store_b32 v[4:5], v3, off
.LBB25_1827:
	s_and_b32 vcc_lo, exec_lo, s7
	s_cbranch_vccz .LBB25_1832
; %bb.1828:
	s_cmp_eq_u32 s2, 44
	s_mov_b32 s0, -1
	s_cbranch_scc0 .LBB25_1832
; %bb.1829:
	s_wait_xcnt 0x0
	v_cvt_f32_f16_e32 v3, v1
	v_mov_b32_e32 v6, 0xff
	s_mov_b32 s6, exec_lo
	s_delay_alu instid0(VALU_DEP_2) | instskip(NEXT) | instid1(VALU_DEP_1)
	v_bfe_u32 v7, v3, 23, 8
	v_cmpx_ne_u32_e32 0xff, v7
	s_cbranch_execz .LBB25_1831
; %bb.1830:
	v_and_b32_e32 v6, 0x400000, v3
	v_and_or_b32 v7, 0x3fffff, v3, v7
	v_lshrrev_b32_e32 v3, 23, v3
	s_delay_alu instid0(VALU_DEP_3) | instskip(NEXT) | instid1(VALU_DEP_3)
	v_cmp_ne_u32_e32 vcc_lo, 0, v6
	v_cmp_ne_u32_e64 s0, 0, v7
	s_and_b32 s0, vcc_lo, s0
	s_delay_alu instid0(SALU_CYCLE_1) | instskip(NEXT) | instid1(VALU_DEP_1)
	v_cndmask_b32_e64 v6, 0, 1, s0
	v_add_nc_u32_e32 v6, v3, v6
.LBB25_1831:
	s_or_b32 exec_lo, exec_lo, s6
	s_mov_b32 s0, 0
	s_mov_b32 s6, -1
	global_store_b8 v[4:5], v6, off
.LBB25_1832:
	s_mov_b32 s7, 0
.LBB25_1833:
	s_delay_alu instid0(SALU_CYCLE_1)
	s_and_b32 vcc_lo, exec_lo, s7
	s_cbranch_vccz .LBB25_1836
; %bb.1834:
	s_cmp_eq_u32 s2, 29
	s_mov_b32 s0, -1
	s_cbranch_scc0 .LBB25_1836
; %bb.1835:
	s_wait_xcnt 0x0
	v_cvt_f32_f16_e32 v3, v1
	v_mov_b32_e32 v7, 0
	s_mov_b32 s0, 0
	s_mov_b32 s6, -1
	s_delay_alu instid0(VALU_DEP_2)
	v_cvt_u32_f32_e32 v6, v3
	global_store_b64 v[4:5], v[6:7], off
.LBB25_1836:
	s_mov_b32 s7, 0
.LBB25_1837:
	s_delay_alu instid0(SALU_CYCLE_1)
	s_and_b32 vcc_lo, exec_lo, s7
	s_cbranch_vccz .LBB25_1853
; %bb.1838:
	s_cmp_lt_i32 s2, 27
	s_mov_b32 s6, -1
	s_cbranch_scc1 .LBB25_1844
; %bb.1839:
	s_cmp_gt_i32 s2, 27
	s_cbranch_scc0 .LBB25_1841
; %bb.1840:
	s_wait_xcnt 0x0
	v_cvt_f32_f16_e32 v3, v1
	s_mov_b32 s6, 0
	s_delay_alu instid0(VALU_DEP_1)
	v_cvt_u32_f32_e32 v3, v3
	global_store_b32 v[4:5], v3, off
.LBB25_1841:
	s_and_not1_b32 vcc_lo, exec_lo, s6
	s_cbranch_vccnz .LBB25_1843
; %bb.1842:
	s_wait_xcnt 0x0
	v_cvt_u16_f16_e32 v3, v1
	global_store_b16 v[4:5], v3, off
.LBB25_1843:
	s_mov_b32 s6, 0
.LBB25_1844:
	s_delay_alu instid0(SALU_CYCLE_1)
	s_and_not1_b32 vcc_lo, exec_lo, s6
	s_cbranch_vccnz .LBB25_1852
; %bb.1845:
	s_wait_xcnt 0x0
	v_cvt_f32_f16_e32 v3, v1
	v_mov_b32_e32 v7, 0x80
	s_mov_b32 s6, exec_lo
	s_delay_alu instid0(VALU_DEP_2) | instskip(NEXT) | instid1(VALU_DEP_1)
	v_and_b32_e32 v6, 0x7fffffff, v3
	v_cmpx_gt_u32_e32 0x43800000, v6
	s_cbranch_execz .LBB25_1851
; %bb.1846:
	v_cmp_lt_u32_e32 vcc_lo, 0x3bffffff, v6
	s_mov_b32 s7, 0
                                        ; implicit-def: $vgpr6
	s_and_saveexec_b32 s11, vcc_lo
	s_delay_alu instid0(SALU_CYCLE_1)
	s_xor_b32 s11, exec_lo, s11
	s_cbranch_execz .LBB25_2183
; %bb.1847:
	v_bfe_u32 v6, v3, 20, 1
	s_mov_b32 s7, exec_lo
	s_delay_alu instid0(VALU_DEP_1) | instskip(NEXT) | instid1(VALU_DEP_1)
	v_add3_u32 v6, v3, v6, 0x487ffff
	v_lshrrev_b32_e32 v6, 20, v6
	s_and_not1_saveexec_b32 s11, s11
	s_cbranch_execnz .LBB25_2184
.LBB25_1848:
	s_or_b32 exec_lo, exec_lo, s11
	v_mov_b32_e32 v7, 0
	s_and_saveexec_b32 s11, s7
.LBB25_1849:
	v_lshrrev_b32_e32 v3, 24, v3
	s_delay_alu instid0(VALU_DEP_1)
	v_and_or_b32 v7, 0x80, v3, v6
.LBB25_1850:
	s_or_b32 exec_lo, exec_lo, s11
.LBB25_1851:
	s_delay_alu instid0(SALU_CYCLE_1)
	s_or_b32 exec_lo, exec_lo, s6
	global_store_b8 v[4:5], v7, off
.LBB25_1852:
	s_mov_b32 s6, -1
.LBB25_1853:
	s_mov_b32 s7, 0
.LBB25_1854:
	s_delay_alu instid0(SALU_CYCLE_1)
	s_and_b32 vcc_lo, exec_lo, s7
	s_cbranch_vccz .LBB25_1894
; %bb.1855:
	s_cmp_gt_i32 s2, 22
	s_mov_b32 s3, -1
	s_cbranch_scc0 .LBB25_1887
; %bb.1856:
	s_cmp_lt_i32 s2, 24
	s_cbranch_scc1 .LBB25_1876
; %bb.1857:
	s_cmp_gt_i32 s2, 24
	s_cbranch_scc0 .LBB25_1865
; %bb.1858:
	s_wait_xcnt 0x0
	v_cvt_f32_f16_e32 v3, v1
	v_mov_b32_e32 v7, 0x80
	s_mov_b32 s3, exec_lo
	s_delay_alu instid0(VALU_DEP_2) | instskip(NEXT) | instid1(VALU_DEP_1)
	v_and_b32_e32 v6, 0x7fffffff, v3
	v_cmpx_gt_u32_e32 0x47800000, v6
	s_cbranch_execz .LBB25_1864
; %bb.1859:
	v_cmp_lt_u32_e32 vcc_lo, 0x37ffffff, v6
	s_mov_b32 s6, 0
                                        ; implicit-def: $vgpr6
	s_and_saveexec_b32 s7, vcc_lo
	s_delay_alu instid0(SALU_CYCLE_1)
	s_xor_b32 s7, exec_lo, s7
	s_cbranch_execz .LBB25_2186
; %bb.1860:
	v_bfe_u32 v6, v3, 21, 1
	s_mov_b32 s6, exec_lo
	s_delay_alu instid0(VALU_DEP_1) | instskip(NEXT) | instid1(VALU_DEP_1)
	v_add3_u32 v6, v3, v6, 0x88fffff
	v_lshrrev_b32_e32 v6, 21, v6
	s_and_not1_saveexec_b32 s7, s7
	s_cbranch_execnz .LBB25_2187
.LBB25_1861:
	s_or_b32 exec_lo, exec_lo, s7
	v_mov_b32_e32 v7, 0
	s_and_saveexec_b32 s7, s6
.LBB25_1862:
	v_lshrrev_b32_e32 v3, 24, v3
	s_delay_alu instid0(VALU_DEP_1)
	v_and_or_b32 v7, 0x80, v3, v6
.LBB25_1863:
	s_or_b32 exec_lo, exec_lo, s7
.LBB25_1864:
	s_delay_alu instid0(SALU_CYCLE_1)
	s_or_b32 exec_lo, exec_lo, s3
	s_mov_b32 s3, 0
	global_store_b8 v[4:5], v7, off
.LBB25_1865:
	s_and_b32 vcc_lo, exec_lo, s3
	s_cbranch_vccz .LBB25_1875
; %bb.1866:
	s_wait_xcnt 0x0
	v_cvt_f32_f16_e32 v3, v1
	s_mov_b32 s3, exec_lo
                                        ; implicit-def: $vgpr6
	s_delay_alu instid0(VALU_DEP_1) | instskip(NEXT) | instid1(VALU_DEP_1)
	v_and_b32_e32 v7, 0x7fffffff, v3
	v_cmpx_gt_u32_e32 0x43f00000, v7
	s_xor_b32 s3, exec_lo, s3
	s_cbranch_execz .LBB25_1872
; %bb.1867:
	s_mov_b32 s6, exec_lo
                                        ; implicit-def: $vgpr6
	v_cmpx_lt_u32_e32 0x3c7fffff, v7
	s_xor_b32 s6, exec_lo, s6
; %bb.1868:
	v_bfe_u32 v6, v3, 20, 1
	s_delay_alu instid0(VALU_DEP_1) | instskip(NEXT) | instid1(VALU_DEP_1)
	v_add3_u32 v6, v3, v6, 0x407ffff
	v_and_b32_e32 v7, 0xff00000, v6
	v_lshrrev_b32_e32 v6, 20, v6
	s_delay_alu instid0(VALU_DEP_2) | instskip(NEXT) | instid1(VALU_DEP_2)
	v_cmp_ne_u32_e32 vcc_lo, 0x7f00000, v7
	v_cndmask_b32_e32 v6, 0x7e, v6, vcc_lo
; %bb.1869:
	s_and_not1_saveexec_b32 s6, s6
; %bb.1870:
	v_add_f32_e64 v6, 0x46800000, |v3|
; %bb.1871:
	s_or_b32 exec_lo, exec_lo, s6
                                        ; implicit-def: $vgpr7
.LBB25_1872:
	s_and_not1_saveexec_b32 s3, s3
; %bb.1873:
	v_mov_b32_e32 v6, 0x7f
	v_cmp_lt_u32_e32 vcc_lo, 0x7f800000, v7
	s_delay_alu instid0(VALU_DEP_2)
	v_cndmask_b32_e32 v6, 0x7e, v6, vcc_lo
; %bb.1874:
	s_or_b32 exec_lo, exec_lo, s3
	v_lshrrev_b32_e32 v3, 24, v3
	s_delay_alu instid0(VALU_DEP_1)
	v_and_or_b32 v3, 0x80, v3, v6
	global_store_b8 v[4:5], v3, off
.LBB25_1875:
	s_mov_b32 s3, 0
.LBB25_1876:
	s_delay_alu instid0(SALU_CYCLE_1)
	s_and_not1_b32 vcc_lo, exec_lo, s3
	s_cbranch_vccnz .LBB25_1886
; %bb.1877:
	s_wait_xcnt 0x0
	v_cvt_f32_f16_e32 v3, v1
	s_mov_b32 s3, exec_lo
                                        ; implicit-def: $vgpr6
	s_delay_alu instid0(VALU_DEP_1) | instskip(NEXT) | instid1(VALU_DEP_1)
	v_and_b32_e32 v7, 0x7fffffff, v3
	v_cmpx_gt_u32_e32 0x47800000, v7
	s_xor_b32 s3, exec_lo, s3
	s_cbranch_execz .LBB25_1883
; %bb.1878:
	s_mov_b32 s6, exec_lo
                                        ; implicit-def: $vgpr6
	v_cmpx_lt_u32_e32 0x387fffff, v7
	s_xor_b32 s6, exec_lo, s6
; %bb.1879:
	v_bfe_u32 v6, v3, 21, 1
	s_delay_alu instid0(VALU_DEP_1) | instskip(NEXT) | instid1(VALU_DEP_1)
	v_add3_u32 v6, v3, v6, 0x80fffff
	v_lshrrev_b32_e32 v6, 21, v6
; %bb.1880:
	s_and_not1_saveexec_b32 s6, s6
; %bb.1881:
	v_add_f32_e64 v6, 0x43000000, |v3|
; %bb.1882:
	s_or_b32 exec_lo, exec_lo, s6
                                        ; implicit-def: $vgpr7
.LBB25_1883:
	s_and_not1_saveexec_b32 s3, s3
; %bb.1884:
	v_mov_b32_e32 v6, 0x7f
	v_cmp_lt_u32_e32 vcc_lo, 0x7f800000, v7
	s_delay_alu instid0(VALU_DEP_2)
	v_cndmask_b32_e32 v6, 0x7c, v6, vcc_lo
; %bb.1885:
	s_or_b32 exec_lo, exec_lo, s3
	v_lshrrev_b32_e32 v3, 24, v3
	s_delay_alu instid0(VALU_DEP_1)
	v_and_or_b32 v3, 0x80, v3, v6
	global_store_b8 v[4:5], v3, off
.LBB25_1886:
	s_mov_b32 s3, 0
	s_mov_b32 s6, -1
.LBB25_1887:
	s_and_not1_b32 vcc_lo, exec_lo, s3
	s_mov_b32 s3, 0
	s_cbranch_vccnz .LBB25_1894
; %bb.1888:
	s_cmp_gt_i32 s2, 14
	s_mov_b32 s3, -1
	s_cbranch_scc0 .LBB25_1892
; %bb.1889:
	s_cmp_eq_u32 s2, 15
	s_mov_b32 s0, -1
	s_cbranch_scc0 .LBB25_1891
; %bb.1890:
	s_wait_xcnt 0x0
	v_cvt_f32_f16_e32 v3, v1
	v_cmp_o_f16_e32 vcc_lo, v1, v1
	s_mov_b32 s0, 0
	s_mov_b32 s6, -1
	s_delay_alu instid0(VALU_DEP_2) | instskip(NEXT) | instid1(VALU_DEP_1)
	v_bfe_u32 v6, v3, 16, 1
	v_add3_u32 v3, v3, v6, 0x7fff
	s_delay_alu instid0(VALU_DEP_1) | instskip(NEXT) | instid1(VALU_DEP_1)
	v_lshrrev_b32_e32 v3, 16, v3
	v_cndmask_b32_e32 v3, 0x7fc0, v3, vcc_lo
	global_store_b16 v[4:5], v3, off
.LBB25_1891:
	s_mov_b32 s3, 0
.LBB25_1892:
	s_delay_alu instid0(SALU_CYCLE_1)
	s_and_b32 vcc_lo, exec_lo, s3
	s_mov_b32 s3, 0
	s_cbranch_vccz .LBB25_1894
; %bb.1893:
	s_cmp_lg_u32 s2, 11
	s_mov_b32 s3, -1
	s_cselect_b32 s0, -1, 0
.LBB25_1894:
	s_delay_alu instid0(SALU_CYCLE_1)
	s_and_b32 vcc_lo, exec_lo, s0
	s_cbranch_vccnz .LBB25_2185
; %bb.1895:
	s_and_not1_b32 vcc_lo, exec_lo, s3
	s_cbranch_vccnz .LBB25_1897
.LBB25_1896:
	v_cmp_neq_f16_e32 vcc_lo, 0, v1
	s_mov_b32 s6, -1
	s_wait_xcnt 0x0
	v_cndmask_b32_e64 v3, 0, 1, vcc_lo
	global_store_b8 v[4:5], v3, off
.LBB25_1897:
.LBB25_1898:
	s_and_not1_b32 vcc_lo, exec_lo, s6
	s_cbranch_vccz .LBB25_1938
	s_branch .LBB25_2132
.LBB25_1899:
	s_and_b32 vcc_lo, exec_lo, s0
	s_cbranch_vccz .LBB25_1898
; %bb.1900:
	s_cmp_lt_i32 s2, 5
	s_mov_b32 s0, -1
	s_cbranch_scc1 .LBB25_1921
; %bb.1901:
	s_cmp_lt_i32 s2, 8
	s_cbranch_scc1 .LBB25_1911
; %bb.1902:
	s_cmp_lt_i32 s2, 9
	s_cbranch_scc1 .LBB25_1908
; %bb.1903:
	s_cmp_gt_i32 s2, 9
	s_cbranch_scc0 .LBB25_1905
; %bb.1904:
	s_wait_xcnt 0x0
	v_cvt_f32_f16_e32 v3, v1
	v_mov_b32_e32 v14, 0
	s_mov_b32 s0, 0
	s_delay_alu instid0(VALU_DEP_2) | instskip(NEXT) | instid1(VALU_DEP_2)
	v_cvt_f64_f32_e32 v[12:13], v3
	v_mov_b32_e32 v15, v14
	global_store_b128 v[4:5], v[12:15], off
.LBB25_1905:
	s_and_not1_b32 vcc_lo, exec_lo, s0
	s_cbranch_vccnz .LBB25_1907
; %bb.1906:
	s_wait_xcnt 0x0
	v_cvt_f32_f16_e32 v6, v1
	v_mov_b32_e32 v7, 0
	global_store_b64 v[4:5], v[6:7], off
.LBB25_1907:
	s_mov_b32 s0, 0
.LBB25_1908:
	s_delay_alu instid0(SALU_CYCLE_1)
	s_and_not1_b32 vcc_lo, exec_lo, s0
	s_cbranch_vccnz .LBB25_1910
; %bb.1909:
	s_wait_xcnt 0x0
	v_and_b32_e32 v3, 0xffff, v1
	global_store_b32 v[4:5], v3, off
.LBB25_1910:
	s_mov_b32 s0, 0
.LBB25_1911:
	s_delay_alu instid0(SALU_CYCLE_1)
	s_and_not1_b32 vcc_lo, exec_lo, s0
	s_cbranch_vccnz .LBB25_1920
; %bb.1912:
	s_cmp_lt_i32 s2, 6
	s_mov_b32 s0, -1
	s_cbranch_scc1 .LBB25_1918
; %bb.1913:
	s_cmp_gt_i32 s2, 6
	s_cbranch_scc0 .LBB25_1915
; %bb.1914:
	s_wait_xcnt 0x0
	v_cvt_f32_f16_e32 v3, v1
	s_mov_b32 s0, 0
	s_delay_alu instid0(VALU_DEP_1)
	v_cvt_f64_f32_e32 v[6:7], v3
	global_store_b64 v[4:5], v[6:7], off
.LBB25_1915:
	s_and_not1_b32 vcc_lo, exec_lo, s0
	s_cbranch_vccnz .LBB25_1917
; %bb.1916:
	s_wait_xcnt 0x0
	v_cvt_f32_f16_e32 v3, v1
	global_store_b32 v[4:5], v3, off
.LBB25_1917:
	s_mov_b32 s0, 0
.LBB25_1918:
	s_delay_alu instid0(SALU_CYCLE_1)
	s_and_not1_b32 vcc_lo, exec_lo, s0
	s_cbranch_vccnz .LBB25_1920
; %bb.1919:
	global_store_b16 v[4:5], v1, off
.LBB25_1920:
	s_mov_b32 s0, 0
.LBB25_1921:
	s_delay_alu instid0(SALU_CYCLE_1)
	s_and_not1_b32 vcc_lo, exec_lo, s0
	s_cbranch_vccnz .LBB25_1937
; %bb.1922:
	s_cmp_lt_i32 s2, 2
	s_mov_b32 s0, -1
	s_cbranch_scc1 .LBB25_1932
; %bb.1923:
	s_cmp_lt_i32 s2, 3
	s_cbranch_scc1 .LBB25_1929
; %bb.1924:
	s_cmp_gt_i32 s2, 3
	s_cbranch_scc0 .LBB25_1926
; %bb.1925:
	s_wait_xcnt 0x0
	v_cvt_f32_f16_e32 v3, v1
	s_mov_b32 s0, 0
	s_delay_alu instid0(VALU_DEP_1) | instskip(NEXT) | instid1(VALU_DEP_1)
	v_cvt_i32_f32_e32 v6, v3
	v_ashrrev_i32_e32 v7, 31, v6
	global_store_b64 v[4:5], v[6:7], off
.LBB25_1926:
	s_and_not1_b32 vcc_lo, exec_lo, s0
	s_cbranch_vccnz .LBB25_1928
; %bb.1927:
	s_wait_xcnt 0x0
	v_cvt_f32_f16_e32 v3, v1
	s_delay_alu instid0(VALU_DEP_1)
	v_cvt_i32_f32_e32 v3, v3
	global_store_b32 v[4:5], v3, off
.LBB25_1928:
	s_mov_b32 s0, 0
.LBB25_1929:
	s_delay_alu instid0(SALU_CYCLE_1)
	s_and_not1_b32 vcc_lo, exec_lo, s0
	s_cbranch_vccnz .LBB25_1931
; %bb.1930:
	s_wait_xcnt 0x0
	v_cvt_i16_f16_e32 v3, v1
	global_store_b16 v[4:5], v3, off
.LBB25_1931:
	s_mov_b32 s0, 0
.LBB25_1932:
	s_delay_alu instid0(SALU_CYCLE_1)
	s_and_not1_b32 vcc_lo, exec_lo, s0
	s_cbranch_vccnz .LBB25_1937
; %bb.1933:
	s_cmp_gt_i32 s2, 0
	s_mov_b32 s0, -1
	s_cbranch_scc0 .LBB25_1935
; %bb.1934:
	s_wait_xcnt 0x0
	v_cvt_i16_f16_e32 v3, v1
	s_mov_b32 s0, 0
	global_store_b8 v[4:5], v3, off
.LBB25_1935:
	s_and_not1_b32 vcc_lo, exec_lo, s0
	s_cbranch_vccnz .LBB25_1937
; %bb.1936:
	s_wait_xcnt 0x0
	v_cvt_f32_f16_e32 v1, v1
	s_delay_alu instid0(VALU_DEP_1)
	v_cvt_i32_f32_e32 v1, v1
	global_store_b8 v[4:5], v1, off
.LBB25_1937:
.LBB25_1938:
	s_wait_xcnt 0x0
	v_dual_mul_f32 v1, v17, v17 :: v_dual_bitop2_b32 v5, 1, v18 bitop3:0x40
	s_mov_b32 s0, 0xb94c1982
	s_mov_b32 s3, 0x37d75334
	;; [unrolled: 1-line block ×3, first 2 shown]
	s_delay_alu instid0(VALU_DEP_1) | instskip(SKIP_3) | instid1(VALU_DEP_2)
	v_dual_fmaak_f32 v3, s0, v1, 0x3c0881c4 :: v_dual_lshlrev_b32 v6, 30, v18
	v_cmp_eq_u32_e32 vcc_lo, 0, v5
	s_cmp_lt_i32 s2, 11
	s_mov_b32 s0, -1
	v_fmaak_f32 v3, v1, v3, 0xbe2aaa9d
	s_delay_alu instid0(VALU_DEP_1) | instskip(NEXT) | instid1(VALU_DEP_1)
	v_dual_fmaak_f32 v4, s3, v1, 0xbab64f3b :: v_dual_mul_f32 v3, v1, v3
	v_fmac_f32_e32 v17, v17, v3
	s_delay_alu instid0(VALU_DEP_2) | instskip(SKIP_1) | instid1(VALU_DEP_2)
	v_fmaak_f32 v4, v1, v4, 0x3d2aabf7
	v_and_b32_e32 v3, 0x80000000, v6
	v_fmaak_f32 v4, v1, v4, 0xbf000004
	s_delay_alu instid0(VALU_DEP_1) | instskip(NEXT) | instid1(VALU_DEP_1)
	v_fma_f32 v1, v1, v4, 1.0
	v_dual_cndmask_b32 v1, v1, v17, vcc_lo :: v_dual_bitop2_b32 v4, v11, v10 bitop3:0x14
	v_cmp_class_f32_e64 vcc_lo, v10, 0x1f8
	s_delay_alu instid0(VALU_DEP_2) | instskip(SKIP_1) | instid1(VALU_DEP_2)
	v_xor3_b32 v1, v4, v3, v1
	v_mov_b32_e32 v3, 0
	v_cndmask_b32_e32 v1, 0x7fc00000, v1, vcc_lo
	s_delay_alu instid0(VALU_DEP_2) | instskip(NEXT) | instid1(VALU_DEP_2)
	v_add_nc_u64_e32 v[2:3], s[4:5], v[2:3]
	v_cvt_f16_f32_e32 v1, v1
	s_cbranch_scc1 .LBB25_2093
; %bb.1939:
	s_mov_b32 s7, -1
	s_mov_b32 s3, 0
	s_cmp_gt_i32 s2, 25
	s_mov_b32 s0, 0
	s_cbranch_scc0 .LBB25_1972
; %bb.1940:
	s_cmp_gt_i32 s2, 28
	s_cbranch_scc0 .LBB25_1955
; %bb.1941:
	s_cmp_gt_i32 s2, 43
	;; [unrolled: 3-line block ×3, first 2 shown]
	s_cbranch_scc0 .LBB25_1945
; %bb.1943:
	s_mov_b32 s0, -1
	s_mov_b32 s7, 0
	s_cmp_eq_u32 s2, 46
	s_cbranch_scc0 .LBB25_1945
; %bb.1944:
	v_cvt_f32_f16_e32 v4, v1
	v_cmp_o_f16_e32 vcc_lo, v1, v1
	s_mov_b32 s0, 0
	s_mov_b32 s6, -1
	s_delay_alu instid0(VALU_DEP_2) | instskip(NEXT) | instid1(VALU_DEP_1)
	v_bfe_u32 v5, v4, 16, 1
	v_add3_u32 v4, v4, v5, 0x7fff
	s_delay_alu instid0(VALU_DEP_1) | instskip(NEXT) | instid1(VALU_DEP_1)
	v_lshrrev_b32_e32 v4, 16, v4
	v_cndmask_b32_e32 v4, 0x7fc0, v4, vcc_lo
	global_store_b32 v[2:3], v4, off
.LBB25_1945:
	s_and_b32 vcc_lo, exec_lo, s7
	s_cbranch_vccz .LBB25_1950
; %bb.1946:
	s_cmp_eq_u32 s2, 44
	s_mov_b32 s0, -1
	s_cbranch_scc0 .LBB25_1950
; %bb.1947:
	s_wait_xcnt 0x0
	v_cvt_f32_f16_e32 v4, v1
	v_mov_b32_e32 v5, 0xff
	s_mov_b32 s6, exec_lo
	s_delay_alu instid0(VALU_DEP_2) | instskip(NEXT) | instid1(VALU_DEP_1)
	v_bfe_u32 v6, v4, 23, 8
	v_cmpx_ne_u32_e32 0xff, v6
	s_cbranch_execz .LBB25_1949
; %bb.1948:
	v_and_b32_e32 v5, 0x400000, v4
	v_and_or_b32 v6, 0x3fffff, v4, v6
	v_lshrrev_b32_e32 v4, 23, v4
	s_delay_alu instid0(VALU_DEP_3) | instskip(NEXT) | instid1(VALU_DEP_3)
	v_cmp_ne_u32_e32 vcc_lo, 0, v5
	v_cmp_ne_u32_e64 s0, 0, v6
	s_and_b32 s0, vcc_lo, s0
	s_delay_alu instid0(SALU_CYCLE_1) | instskip(NEXT) | instid1(VALU_DEP_1)
	v_cndmask_b32_e64 v5, 0, 1, s0
	v_add_nc_u32_e32 v5, v4, v5
.LBB25_1949:
	s_or_b32 exec_lo, exec_lo, s6
	s_mov_b32 s0, 0
	s_mov_b32 s6, -1
	global_store_b8 v[2:3], v5, off
.LBB25_1950:
	s_mov_b32 s7, 0
.LBB25_1951:
	s_delay_alu instid0(SALU_CYCLE_1)
	s_and_b32 vcc_lo, exec_lo, s7
	s_cbranch_vccz .LBB25_1954
; %bb.1952:
	s_cmp_eq_u32 s2, 29
	s_mov_b32 s0, -1
	s_cbranch_scc0 .LBB25_1954
; %bb.1953:
	s_wait_xcnt 0x0
	v_cvt_f32_f16_e32 v4, v1
	v_mov_b32_e32 v5, 0
	s_mov_b32 s0, 0
	s_mov_b32 s6, -1
	s_delay_alu instid0(VALU_DEP_2)
	v_cvt_u32_f32_e32 v4, v4
	global_store_b64 v[2:3], v[4:5], off
.LBB25_1954:
	s_mov_b32 s7, 0
.LBB25_1955:
	s_delay_alu instid0(SALU_CYCLE_1)
	s_and_b32 vcc_lo, exec_lo, s7
	s_cbranch_vccz .LBB25_1971
; %bb.1956:
	s_cmp_lt_i32 s2, 27
	s_mov_b32 s6, -1
	s_cbranch_scc1 .LBB25_1962
; %bb.1957:
	s_cmp_gt_i32 s2, 27
	s_cbranch_scc0 .LBB25_1959
; %bb.1958:
	s_wait_xcnt 0x0
	v_cvt_f32_f16_e32 v4, v1
	s_mov_b32 s6, 0
	s_delay_alu instid0(VALU_DEP_1)
	v_cvt_u32_f32_e32 v4, v4
	global_store_b32 v[2:3], v4, off
.LBB25_1959:
	s_and_not1_b32 vcc_lo, exec_lo, s6
	s_cbranch_vccnz .LBB25_1961
; %bb.1960:
	s_wait_xcnt 0x0
	v_cvt_u16_f16_e32 v4, v1
	global_store_b16 v[2:3], v4, off
.LBB25_1961:
	s_mov_b32 s6, 0
.LBB25_1962:
	s_delay_alu instid0(SALU_CYCLE_1)
	s_and_not1_b32 vcc_lo, exec_lo, s6
	s_cbranch_vccnz .LBB25_1970
; %bb.1963:
	s_wait_xcnt 0x0
	v_cvt_f32_f16_e32 v4, v1
	v_mov_b32_e32 v6, 0x80
	s_mov_b32 s6, exec_lo
	s_delay_alu instid0(VALU_DEP_2) | instskip(NEXT) | instid1(VALU_DEP_1)
	v_and_b32_e32 v5, 0x7fffffff, v4
	v_cmpx_gt_u32_e32 0x43800000, v5
	s_cbranch_execz .LBB25_1969
; %bb.1964:
	v_cmp_lt_u32_e32 vcc_lo, 0x3bffffff, v5
	s_mov_b32 s7, 0
                                        ; implicit-def: $vgpr5
	s_and_saveexec_b32 s11, vcc_lo
	s_delay_alu instid0(SALU_CYCLE_1)
	s_xor_b32 s11, exec_lo, s11
	s_cbranch_execz .LBB25_2188
; %bb.1965:
	v_bfe_u32 v5, v4, 20, 1
	s_mov_b32 s7, exec_lo
	s_delay_alu instid0(VALU_DEP_1) | instskip(NEXT) | instid1(VALU_DEP_1)
	v_add3_u32 v5, v4, v5, 0x487ffff
	v_lshrrev_b32_e32 v5, 20, v5
	s_and_not1_saveexec_b32 s11, s11
	s_cbranch_execnz .LBB25_2189
.LBB25_1966:
	s_or_b32 exec_lo, exec_lo, s11
	v_mov_b32_e32 v6, 0
	s_and_saveexec_b32 s11, s7
.LBB25_1967:
	v_lshrrev_b32_e32 v4, 24, v4
	s_delay_alu instid0(VALU_DEP_1)
	v_and_or_b32 v6, 0x80, v4, v5
.LBB25_1968:
	s_or_b32 exec_lo, exec_lo, s11
.LBB25_1969:
	s_delay_alu instid0(SALU_CYCLE_1)
	s_or_b32 exec_lo, exec_lo, s6
	global_store_b8 v[2:3], v6, off
.LBB25_1970:
	s_mov_b32 s6, -1
.LBB25_1971:
	s_mov_b32 s7, 0
.LBB25_1972:
	s_delay_alu instid0(SALU_CYCLE_1)
	s_and_b32 vcc_lo, exec_lo, s7
	s_cbranch_vccz .LBB25_2012
; %bb.1973:
	s_cmp_gt_i32 s2, 22
	s_mov_b32 s3, -1
	s_cbranch_scc0 .LBB25_2005
; %bb.1974:
	s_cmp_lt_i32 s2, 24
	s_cbranch_scc1 .LBB25_1994
; %bb.1975:
	s_cmp_gt_i32 s2, 24
	s_cbranch_scc0 .LBB25_1983
; %bb.1976:
	s_wait_xcnt 0x0
	v_cvt_f32_f16_e32 v4, v1
	v_mov_b32_e32 v6, 0x80
	s_mov_b32 s3, exec_lo
	s_delay_alu instid0(VALU_DEP_2) | instskip(NEXT) | instid1(VALU_DEP_1)
	v_and_b32_e32 v5, 0x7fffffff, v4
	v_cmpx_gt_u32_e32 0x47800000, v5
	s_cbranch_execz .LBB25_1982
; %bb.1977:
	v_cmp_lt_u32_e32 vcc_lo, 0x37ffffff, v5
	s_mov_b32 s6, 0
                                        ; implicit-def: $vgpr5
	s_and_saveexec_b32 s7, vcc_lo
	s_delay_alu instid0(SALU_CYCLE_1)
	s_xor_b32 s7, exec_lo, s7
	s_cbranch_execz .LBB25_2191
; %bb.1978:
	v_bfe_u32 v5, v4, 21, 1
	s_mov_b32 s6, exec_lo
	s_delay_alu instid0(VALU_DEP_1) | instskip(NEXT) | instid1(VALU_DEP_1)
	v_add3_u32 v5, v4, v5, 0x88fffff
	v_lshrrev_b32_e32 v5, 21, v5
	s_and_not1_saveexec_b32 s7, s7
	s_cbranch_execnz .LBB25_2192
.LBB25_1979:
	s_or_b32 exec_lo, exec_lo, s7
	v_mov_b32_e32 v6, 0
	s_and_saveexec_b32 s7, s6
.LBB25_1980:
	v_lshrrev_b32_e32 v4, 24, v4
	s_delay_alu instid0(VALU_DEP_1)
	v_and_or_b32 v6, 0x80, v4, v5
.LBB25_1981:
	s_or_b32 exec_lo, exec_lo, s7
.LBB25_1982:
	s_delay_alu instid0(SALU_CYCLE_1)
	s_or_b32 exec_lo, exec_lo, s3
	s_mov_b32 s3, 0
	global_store_b8 v[2:3], v6, off
.LBB25_1983:
	s_and_b32 vcc_lo, exec_lo, s3
	s_cbranch_vccz .LBB25_1993
; %bb.1984:
	s_wait_xcnt 0x0
	v_cvt_f32_f16_e32 v4, v1
	s_mov_b32 s3, exec_lo
                                        ; implicit-def: $vgpr5
	s_delay_alu instid0(VALU_DEP_1) | instskip(NEXT) | instid1(VALU_DEP_1)
	v_and_b32_e32 v6, 0x7fffffff, v4
	v_cmpx_gt_u32_e32 0x43f00000, v6
	s_xor_b32 s3, exec_lo, s3
	s_cbranch_execz .LBB25_1990
; %bb.1985:
	s_mov_b32 s6, exec_lo
                                        ; implicit-def: $vgpr5
	v_cmpx_lt_u32_e32 0x3c7fffff, v6
	s_xor_b32 s6, exec_lo, s6
; %bb.1986:
	v_bfe_u32 v5, v4, 20, 1
	s_delay_alu instid0(VALU_DEP_1) | instskip(NEXT) | instid1(VALU_DEP_1)
	v_add3_u32 v5, v4, v5, 0x407ffff
	v_and_b32_e32 v6, 0xff00000, v5
	v_lshrrev_b32_e32 v5, 20, v5
	s_delay_alu instid0(VALU_DEP_2) | instskip(NEXT) | instid1(VALU_DEP_2)
	v_cmp_ne_u32_e32 vcc_lo, 0x7f00000, v6
	v_cndmask_b32_e32 v5, 0x7e, v5, vcc_lo
; %bb.1987:
	s_and_not1_saveexec_b32 s6, s6
; %bb.1988:
	v_add_f32_e64 v5, 0x46800000, |v4|
; %bb.1989:
	s_or_b32 exec_lo, exec_lo, s6
                                        ; implicit-def: $vgpr6
.LBB25_1990:
	s_and_not1_saveexec_b32 s3, s3
; %bb.1991:
	v_mov_b32_e32 v5, 0x7f
	v_cmp_lt_u32_e32 vcc_lo, 0x7f800000, v6
	s_delay_alu instid0(VALU_DEP_2)
	v_cndmask_b32_e32 v5, 0x7e, v5, vcc_lo
; %bb.1992:
	s_or_b32 exec_lo, exec_lo, s3
	v_lshrrev_b32_e32 v4, 24, v4
	s_delay_alu instid0(VALU_DEP_1)
	v_and_or_b32 v4, 0x80, v4, v5
	global_store_b8 v[2:3], v4, off
.LBB25_1993:
	s_mov_b32 s3, 0
.LBB25_1994:
	s_delay_alu instid0(SALU_CYCLE_1)
	s_and_not1_b32 vcc_lo, exec_lo, s3
	s_cbranch_vccnz .LBB25_2004
; %bb.1995:
	s_wait_xcnt 0x0
	v_cvt_f32_f16_e32 v4, v1
	s_mov_b32 s3, exec_lo
                                        ; implicit-def: $vgpr5
	s_delay_alu instid0(VALU_DEP_1) | instskip(NEXT) | instid1(VALU_DEP_1)
	v_and_b32_e32 v6, 0x7fffffff, v4
	v_cmpx_gt_u32_e32 0x47800000, v6
	s_xor_b32 s3, exec_lo, s3
	s_cbranch_execz .LBB25_2001
; %bb.1996:
	s_mov_b32 s6, exec_lo
                                        ; implicit-def: $vgpr5
	v_cmpx_lt_u32_e32 0x387fffff, v6
	s_xor_b32 s6, exec_lo, s6
; %bb.1997:
	v_bfe_u32 v5, v4, 21, 1
	s_delay_alu instid0(VALU_DEP_1) | instskip(NEXT) | instid1(VALU_DEP_1)
	v_add3_u32 v5, v4, v5, 0x80fffff
	v_lshrrev_b32_e32 v5, 21, v5
; %bb.1998:
	s_and_not1_saveexec_b32 s6, s6
; %bb.1999:
	v_add_f32_e64 v5, 0x43000000, |v4|
; %bb.2000:
	s_or_b32 exec_lo, exec_lo, s6
                                        ; implicit-def: $vgpr6
.LBB25_2001:
	s_and_not1_saveexec_b32 s3, s3
; %bb.2002:
	v_mov_b32_e32 v5, 0x7f
	v_cmp_lt_u32_e32 vcc_lo, 0x7f800000, v6
	s_delay_alu instid0(VALU_DEP_2)
	v_cndmask_b32_e32 v5, 0x7c, v5, vcc_lo
; %bb.2003:
	s_or_b32 exec_lo, exec_lo, s3
	v_lshrrev_b32_e32 v4, 24, v4
	s_delay_alu instid0(VALU_DEP_1)
	v_and_or_b32 v4, 0x80, v4, v5
	global_store_b8 v[2:3], v4, off
.LBB25_2004:
	s_mov_b32 s3, 0
	s_mov_b32 s6, -1
.LBB25_2005:
	s_and_not1_b32 vcc_lo, exec_lo, s3
	s_mov_b32 s3, 0
	s_cbranch_vccnz .LBB25_2012
; %bb.2006:
	s_cmp_gt_i32 s2, 14
	s_mov_b32 s3, -1
	s_cbranch_scc0 .LBB25_2010
; %bb.2007:
	s_cmp_eq_u32 s2, 15
	s_mov_b32 s0, -1
	s_cbranch_scc0 .LBB25_2009
; %bb.2008:
	s_wait_xcnt 0x0
	v_cvt_f32_f16_e32 v4, v1
	v_cmp_o_f16_e32 vcc_lo, v1, v1
	s_mov_b32 s0, 0
	s_mov_b32 s6, -1
	s_delay_alu instid0(VALU_DEP_2) | instskip(NEXT) | instid1(VALU_DEP_1)
	v_bfe_u32 v5, v4, 16, 1
	v_add3_u32 v4, v4, v5, 0x7fff
	s_delay_alu instid0(VALU_DEP_1) | instskip(NEXT) | instid1(VALU_DEP_1)
	v_lshrrev_b32_e32 v4, 16, v4
	v_cndmask_b32_e32 v4, 0x7fc0, v4, vcc_lo
	global_store_b16 v[2:3], v4, off
.LBB25_2009:
	s_mov_b32 s3, 0
.LBB25_2010:
	s_delay_alu instid0(SALU_CYCLE_1)
	s_and_b32 vcc_lo, exec_lo, s3
	s_mov_b32 s3, 0
	s_cbranch_vccz .LBB25_2012
; %bb.2011:
	s_cmp_lg_u32 s2, 11
	s_mov_b32 s3, -1
	s_cselect_b32 s0, -1, 0
.LBB25_2012:
	s_delay_alu instid0(SALU_CYCLE_1)
	s_and_b32 vcc_lo, exec_lo, s0
	s_cbranch_vccnz .LBB25_2190
; %bb.2013:
	s_and_not1_b32 vcc_lo, exec_lo, s3
	s_cbranch_vccnz .LBB25_2015
.LBB25_2014:
	v_cmp_neq_f16_e32 vcc_lo, 0, v1
	s_mov_b32 s6, -1
	s_wait_xcnt 0x0
	v_cndmask_b32_e64 v4, 0, 1, vcc_lo
	global_store_b8 v[2:3], v4, off
.LBB25_2015:
.LBB25_2016:
	s_and_not1_b32 vcc_lo, exec_lo, s6
	s_cbranch_vccnz .LBB25_2132
.LBB25_2017:
	s_wait_xcnt 0x0
	v_dual_mul_f32 v1, v19, v19 :: v_dual_bitop2_b32 v4, 1, v20 bitop3:0x40
	s_mov_b32 s0, 0xb94c1982
	s_mov_b32 s3, 0x37d75334
	s_cmp_lt_i32 s2, 11
	s_delay_alu instid0(VALU_DEP_1) | instskip(SKIP_2) | instid1(VALU_DEP_2)
	v_dual_fmaak_f32 v2, s0, v1, 0x3c0881c4 :: v_dual_lshlrev_b32 v5, 30, v20
	v_cmp_eq_u32_e32 vcc_lo, 0, v4
	s_mov_b32 s0, -1
	v_fmaak_f32 v2, v1, v2, 0xbe2aaa9d
	v_fmaak_f32 v3, s3, v1, 0xbab64f3b
	s_mov_b32 s3, 0
	s_delay_alu instid0(VALU_DEP_1) | instskip(NEXT) | instid1(VALU_DEP_1)
	v_dual_mul_f32 v2, v1, v2 :: v_dual_fmaak_f32 v3, v1, v3, 0x3d2aabf7
	v_fmac_f32_e32 v19, v19, v2
	s_delay_alu instid0(VALU_DEP_2) | instskip(SKIP_1) | instid1(VALU_DEP_2)
	v_fmaak_f32 v3, v1, v3, 0xbf000004
	v_and_b32_e32 v2, 0x80000000, v5
	v_fma_f32 v1, v1, v3, 1.0
	v_xor_b32_e32 v3, v9, v8
	s_delay_alu instid0(VALU_DEP_2) | instskip(SKIP_1) | instid1(VALU_DEP_2)
	v_cndmask_b32_e32 v1, v1, v19, vcc_lo
	v_cmp_class_f32_e64 vcc_lo, v8, 0x1f8
	v_xor3_b32 v2, v3, v2, v1
	s_delay_alu instid0(VALU_DEP_1) | instskip(NEXT) | instid1(VALU_DEP_1)
	v_dual_mov_b32 v1, 0 :: v_dual_cndmask_b32 v4, 0x7fc00000, v2
	v_add_nc_u64_e32 v[2:3], s[4:5], v[0:1]
	s_delay_alu instid0(VALU_DEP_2)
	v_cvt_f16_f32_e32 v1, v4
	s_cbranch_scc1 .LBB25_2133
; %bb.2018:
	s_mov_b32 s4, -1
	s_cmp_gt_i32 s2, 25
	s_mov_b32 s0, 0
	s_cbranch_scc0 .LBB25_2051
; %bb.2019:
	s_cmp_gt_i32 s2, 28
	s_cbranch_scc0 .LBB25_2035
; %bb.2020:
	s_cmp_gt_i32 s2, 43
	;; [unrolled: 3-line block ×3, first 2 shown]
	s_cbranch_scc0 .LBB25_2025
; %bb.2022:
	s_cmp_eq_u32 s2, 46
	s_mov_b32 s0, -1
	s_cbranch_scc0 .LBB25_2024
; %bb.2023:
	v_cvt_f32_f16_e32 v0, v1
	v_cmp_o_f16_e32 vcc_lo, v1, v1
	s_mov_b32 s0, 0
	s_delay_alu instid0(VALU_DEP_2) | instskip(NEXT) | instid1(VALU_DEP_1)
	v_bfe_u32 v4, v0, 16, 1
	v_add3_u32 v0, v0, v4, 0x7fff
	s_delay_alu instid0(VALU_DEP_1) | instskip(NEXT) | instid1(VALU_DEP_1)
	v_lshrrev_b32_e32 v0, 16, v0
	v_cndmask_b32_e32 v0, 0x7fc0, v0, vcc_lo
	global_store_b32 v[2:3], v0, off
.LBB25_2024:
	s_mov_b32 s4, 0
.LBB25_2025:
	s_delay_alu instid0(SALU_CYCLE_1)
	s_and_b32 vcc_lo, exec_lo, s4
	s_cbranch_vccz .LBB25_2030
; %bb.2026:
	s_cmp_eq_u32 s2, 44
	s_mov_b32 s0, -1
	s_cbranch_scc0 .LBB25_2030
; %bb.2027:
	s_wait_xcnt 0x0
	v_cvt_f32_f16_e32 v0, v1
	v_mov_b32_e32 v4, 0xff
	s_mov_b32 s4, exec_lo
	s_delay_alu instid0(VALU_DEP_2) | instskip(NEXT) | instid1(VALU_DEP_1)
	v_bfe_u32 v5, v0, 23, 8
	v_cmpx_ne_u32_e32 0xff, v5
	s_cbranch_execz .LBB25_2029
; %bb.2028:
	v_and_b32_e32 v4, 0x400000, v0
	v_and_or_b32 v5, 0x3fffff, v0, v5
	v_lshrrev_b32_e32 v0, 23, v0
	s_delay_alu instid0(VALU_DEP_3) | instskip(NEXT) | instid1(VALU_DEP_3)
	v_cmp_ne_u32_e32 vcc_lo, 0, v4
	v_cmp_ne_u32_e64 s0, 0, v5
	s_and_b32 s0, vcc_lo, s0
	s_delay_alu instid0(SALU_CYCLE_1) | instskip(NEXT) | instid1(VALU_DEP_1)
	v_cndmask_b32_e64 v4, 0, 1, s0
	v_add_nc_u32_e32 v4, v0, v4
.LBB25_2029:
	s_or_b32 exec_lo, exec_lo, s4
	s_mov_b32 s0, 0
	global_store_b8 v[2:3], v4, off
.LBB25_2030:
	s_mov_b32 s4, 0
.LBB25_2031:
	s_delay_alu instid0(SALU_CYCLE_1)
	s_and_b32 vcc_lo, exec_lo, s4
	s_cbranch_vccz .LBB25_2034
; %bb.2032:
	s_cmp_eq_u32 s2, 29
	s_mov_b32 s0, -1
	s_cbranch_scc0 .LBB25_2034
; %bb.2033:
	s_wait_xcnt 0x0
	v_cvt_f32_f16_e32 v0, v1
	v_mov_b32_e32 v5, 0
	s_mov_b32 s0, 0
	s_delay_alu instid0(VALU_DEP_2)
	v_cvt_u32_f32_e32 v4, v0
	global_store_b64 v[2:3], v[4:5], off
.LBB25_2034:
	s_mov_b32 s4, 0
.LBB25_2035:
	s_delay_alu instid0(SALU_CYCLE_1)
	s_and_b32 vcc_lo, exec_lo, s4
	s_cbranch_vccz .LBB25_2050
; %bb.2036:
	s_cmp_lt_i32 s2, 27
	s_mov_b32 s4, -1
	s_cbranch_scc1 .LBB25_2042
; %bb.2037:
	s_cmp_gt_i32 s2, 27
	s_cbranch_scc0 .LBB25_2039
; %bb.2038:
	s_wait_xcnt 0x0
	v_cvt_f32_f16_e32 v0, v1
	s_mov_b32 s4, 0
	s_delay_alu instid0(VALU_DEP_1)
	v_cvt_u32_f32_e32 v0, v0
	global_store_b32 v[2:3], v0, off
.LBB25_2039:
	s_and_not1_b32 vcc_lo, exec_lo, s4
	s_cbranch_vccnz .LBB25_2041
; %bb.2040:
	s_wait_xcnt 0x0
	v_cvt_u16_f16_e32 v0, v1
	global_store_b16 v[2:3], v0, off
.LBB25_2041:
	s_mov_b32 s4, 0
.LBB25_2042:
	s_delay_alu instid0(SALU_CYCLE_1)
	s_and_not1_b32 vcc_lo, exec_lo, s4
	s_cbranch_vccnz .LBB25_2050
; %bb.2043:
	s_wait_xcnt 0x0
	v_cvt_f32_f16_e32 v0, v1
	v_mov_b32_e32 v5, 0x80
	s_mov_b32 s4, exec_lo
	s_delay_alu instid0(VALU_DEP_2) | instskip(NEXT) | instid1(VALU_DEP_1)
	v_and_b32_e32 v4, 0x7fffffff, v0
	v_cmpx_gt_u32_e32 0x43800000, v4
	s_cbranch_execz .LBB25_2049
; %bb.2044:
	v_cmp_lt_u32_e32 vcc_lo, 0x3bffffff, v4
	s_mov_b32 s5, 0
                                        ; implicit-def: $vgpr4
	s_and_saveexec_b32 s6, vcc_lo
	s_delay_alu instid0(SALU_CYCLE_1)
	s_xor_b32 s6, exec_lo, s6
	s_cbranch_execz .LBB25_2193
; %bb.2045:
	v_bfe_u32 v4, v0, 20, 1
	s_mov_b32 s5, exec_lo
	s_delay_alu instid0(VALU_DEP_1) | instskip(NEXT) | instid1(VALU_DEP_1)
	v_add3_u32 v4, v0, v4, 0x487ffff
	v_lshrrev_b32_e32 v4, 20, v4
	s_and_not1_saveexec_b32 s6, s6
	s_cbranch_execnz .LBB25_2194
.LBB25_2046:
	s_or_b32 exec_lo, exec_lo, s6
	v_mov_b32_e32 v5, 0
	s_and_saveexec_b32 s6, s5
.LBB25_2047:
	v_lshrrev_b32_e32 v0, 24, v0
	s_delay_alu instid0(VALU_DEP_1)
	v_and_or_b32 v5, 0x80, v0, v4
.LBB25_2048:
	s_or_b32 exec_lo, exec_lo, s6
.LBB25_2049:
	s_delay_alu instid0(SALU_CYCLE_1)
	s_or_b32 exec_lo, exec_lo, s4
	global_store_b8 v[2:3], v5, off
.LBB25_2050:
	s_mov_b32 s4, 0
.LBB25_2051:
	s_delay_alu instid0(SALU_CYCLE_1)
	s_and_b32 vcc_lo, exec_lo, s4
	s_cbranch_vccz .LBB25_2091
; %bb.2052:
	s_cmp_gt_i32 s2, 22
	s_mov_b32 s3, -1
	s_cbranch_scc0 .LBB25_2084
; %bb.2053:
	s_cmp_lt_i32 s2, 24
	s_cbranch_scc1 .LBB25_2073
; %bb.2054:
	s_cmp_gt_i32 s2, 24
	s_cbranch_scc0 .LBB25_2062
; %bb.2055:
	s_wait_xcnt 0x0
	v_cvt_f32_f16_e32 v0, v1
	v_mov_b32_e32 v5, 0x80
	s_mov_b32 s3, exec_lo
	s_delay_alu instid0(VALU_DEP_2) | instskip(NEXT) | instid1(VALU_DEP_1)
	v_and_b32_e32 v4, 0x7fffffff, v0
	v_cmpx_gt_u32_e32 0x47800000, v4
	s_cbranch_execz .LBB25_2061
; %bb.2056:
	v_cmp_lt_u32_e32 vcc_lo, 0x37ffffff, v4
	s_mov_b32 s4, 0
                                        ; implicit-def: $vgpr4
	s_and_saveexec_b32 s5, vcc_lo
	s_delay_alu instid0(SALU_CYCLE_1)
	s_xor_b32 s5, exec_lo, s5
	s_cbranch_execz .LBB25_2196
; %bb.2057:
	v_bfe_u32 v4, v0, 21, 1
	s_mov_b32 s4, exec_lo
	s_delay_alu instid0(VALU_DEP_1) | instskip(NEXT) | instid1(VALU_DEP_1)
	v_add3_u32 v4, v0, v4, 0x88fffff
	v_lshrrev_b32_e32 v4, 21, v4
	s_and_not1_saveexec_b32 s5, s5
	s_cbranch_execnz .LBB25_2197
.LBB25_2058:
	s_or_b32 exec_lo, exec_lo, s5
	v_mov_b32_e32 v5, 0
	s_and_saveexec_b32 s5, s4
.LBB25_2059:
	v_lshrrev_b32_e32 v0, 24, v0
	s_delay_alu instid0(VALU_DEP_1)
	v_and_or_b32 v5, 0x80, v0, v4
.LBB25_2060:
	s_or_b32 exec_lo, exec_lo, s5
.LBB25_2061:
	s_delay_alu instid0(SALU_CYCLE_1)
	s_or_b32 exec_lo, exec_lo, s3
	s_mov_b32 s3, 0
	global_store_b8 v[2:3], v5, off
.LBB25_2062:
	s_and_b32 vcc_lo, exec_lo, s3
	s_cbranch_vccz .LBB25_2072
; %bb.2063:
	s_wait_xcnt 0x0
	v_cvt_f32_f16_e32 v0, v1
	s_mov_b32 s3, exec_lo
                                        ; implicit-def: $vgpr4
	s_delay_alu instid0(VALU_DEP_1) | instskip(NEXT) | instid1(VALU_DEP_1)
	v_and_b32_e32 v5, 0x7fffffff, v0
	v_cmpx_gt_u32_e32 0x43f00000, v5
	s_xor_b32 s3, exec_lo, s3
	s_cbranch_execz .LBB25_2069
; %bb.2064:
	s_mov_b32 s4, exec_lo
                                        ; implicit-def: $vgpr4
	v_cmpx_lt_u32_e32 0x3c7fffff, v5
	s_xor_b32 s4, exec_lo, s4
; %bb.2065:
	v_bfe_u32 v4, v0, 20, 1
	s_delay_alu instid0(VALU_DEP_1) | instskip(NEXT) | instid1(VALU_DEP_1)
	v_add3_u32 v4, v0, v4, 0x407ffff
	v_and_b32_e32 v5, 0xff00000, v4
	v_lshrrev_b32_e32 v4, 20, v4
	s_delay_alu instid0(VALU_DEP_2) | instskip(NEXT) | instid1(VALU_DEP_2)
	v_cmp_ne_u32_e32 vcc_lo, 0x7f00000, v5
	v_cndmask_b32_e32 v4, 0x7e, v4, vcc_lo
; %bb.2066:
	s_and_not1_saveexec_b32 s4, s4
; %bb.2067:
	v_add_f32_e64 v4, 0x46800000, |v0|
; %bb.2068:
	s_or_b32 exec_lo, exec_lo, s4
                                        ; implicit-def: $vgpr5
.LBB25_2069:
	s_and_not1_saveexec_b32 s3, s3
; %bb.2070:
	v_mov_b32_e32 v4, 0x7f
	v_cmp_lt_u32_e32 vcc_lo, 0x7f800000, v5
	s_delay_alu instid0(VALU_DEP_2)
	v_cndmask_b32_e32 v4, 0x7e, v4, vcc_lo
; %bb.2071:
	s_or_b32 exec_lo, exec_lo, s3
	v_lshrrev_b32_e32 v0, 24, v0
	s_delay_alu instid0(VALU_DEP_1)
	v_and_or_b32 v0, 0x80, v0, v4
	global_store_b8 v[2:3], v0, off
.LBB25_2072:
	s_mov_b32 s3, 0
.LBB25_2073:
	s_delay_alu instid0(SALU_CYCLE_1)
	s_and_not1_b32 vcc_lo, exec_lo, s3
	s_cbranch_vccnz .LBB25_2083
; %bb.2074:
	s_wait_xcnt 0x0
	v_cvt_f32_f16_e32 v0, v1
	s_mov_b32 s3, exec_lo
                                        ; implicit-def: $vgpr4
	s_delay_alu instid0(VALU_DEP_1) | instskip(NEXT) | instid1(VALU_DEP_1)
	v_and_b32_e32 v5, 0x7fffffff, v0
	v_cmpx_gt_u32_e32 0x47800000, v5
	s_xor_b32 s3, exec_lo, s3
	s_cbranch_execz .LBB25_2080
; %bb.2075:
	s_mov_b32 s4, exec_lo
                                        ; implicit-def: $vgpr4
	v_cmpx_lt_u32_e32 0x387fffff, v5
	s_xor_b32 s4, exec_lo, s4
; %bb.2076:
	v_bfe_u32 v4, v0, 21, 1
	s_delay_alu instid0(VALU_DEP_1) | instskip(NEXT) | instid1(VALU_DEP_1)
	v_add3_u32 v4, v0, v4, 0x80fffff
	v_lshrrev_b32_e32 v4, 21, v4
; %bb.2077:
	s_and_not1_saveexec_b32 s4, s4
; %bb.2078:
	v_add_f32_e64 v4, 0x43000000, |v0|
; %bb.2079:
	s_or_b32 exec_lo, exec_lo, s4
                                        ; implicit-def: $vgpr5
.LBB25_2080:
	s_and_not1_saveexec_b32 s3, s3
; %bb.2081:
	v_mov_b32_e32 v4, 0x7f
	v_cmp_lt_u32_e32 vcc_lo, 0x7f800000, v5
	s_delay_alu instid0(VALU_DEP_2)
	v_cndmask_b32_e32 v4, 0x7c, v4, vcc_lo
; %bb.2082:
	s_or_b32 exec_lo, exec_lo, s3
	v_lshrrev_b32_e32 v0, 24, v0
	s_delay_alu instid0(VALU_DEP_1)
	v_and_or_b32 v0, 0x80, v0, v4
	global_store_b8 v[2:3], v0, off
.LBB25_2083:
	s_mov_b32 s3, 0
.LBB25_2084:
	s_delay_alu instid0(SALU_CYCLE_1)
	s_and_not1_b32 vcc_lo, exec_lo, s3
	s_mov_b32 s3, 0
	s_cbranch_vccnz .LBB25_2091
; %bb.2085:
	s_cmp_gt_i32 s2, 14
	s_mov_b32 s3, -1
	s_cbranch_scc0 .LBB25_2089
; %bb.2086:
	s_cmp_eq_u32 s2, 15
	s_mov_b32 s0, -1
	s_cbranch_scc0 .LBB25_2088
; %bb.2087:
	s_wait_xcnt 0x0
	v_cvt_f32_f16_e32 v0, v1
	v_cmp_o_f16_e32 vcc_lo, v1, v1
	s_mov_b32 s0, 0
	s_delay_alu instid0(VALU_DEP_2) | instskip(NEXT) | instid1(VALU_DEP_1)
	v_bfe_u32 v4, v0, 16, 1
	v_add3_u32 v0, v0, v4, 0x7fff
	s_delay_alu instid0(VALU_DEP_1) | instskip(NEXT) | instid1(VALU_DEP_1)
	v_lshrrev_b32_e32 v0, 16, v0
	v_cndmask_b32_e32 v0, 0x7fc0, v0, vcc_lo
	global_store_b16 v[2:3], v0, off
.LBB25_2088:
	s_mov_b32 s3, 0
.LBB25_2089:
	s_delay_alu instid0(SALU_CYCLE_1)
	s_and_b32 vcc_lo, exec_lo, s3
	s_mov_b32 s3, 0
	s_cbranch_vccz .LBB25_2091
; %bb.2090:
	s_cmp_lg_u32 s2, 11
	s_mov_b32 s3, -1
	s_cselect_b32 s0, -1, 0
.LBB25_2091:
	s_delay_alu instid0(SALU_CYCLE_1)
	s_and_b32 vcc_lo, exec_lo, s0
	s_cbranch_vccnz .LBB25_2195
.LBB25_2092:
	s_mov_b32 s0, 0
	s_branch .LBB25_2133
.LBB25_2093:
	s_and_b32 vcc_lo, exec_lo, s0
	s_cbranch_vccz .LBB25_2016
; %bb.2094:
	s_cmp_lt_i32 s2, 5
	s_mov_b32 s0, -1
	s_cbranch_scc1 .LBB25_2115
; %bb.2095:
	s_cmp_lt_i32 s2, 8
	s_cbranch_scc1 .LBB25_2105
; %bb.2096:
	s_cmp_lt_i32 s2, 9
	s_cbranch_scc1 .LBB25_2102
; %bb.2097:
	s_cmp_gt_i32 s2, 9
	s_cbranch_scc0 .LBB25_2099
; %bb.2098:
	s_wait_xcnt 0x0
	v_cvt_f32_f16_e32 v4, v1
	v_mov_b32_e32 v6, 0
	s_mov_b32 s0, 0
	s_delay_alu instid0(VALU_DEP_2) | instskip(NEXT) | instid1(VALU_DEP_2)
	v_cvt_f64_f32_e32 v[4:5], v4
	v_mov_b32_e32 v7, v6
	global_store_b128 v[2:3], v[4:7], off
.LBB25_2099:
	s_and_not1_b32 vcc_lo, exec_lo, s0
	s_cbranch_vccnz .LBB25_2101
; %bb.2100:
	s_wait_xcnt 0x0
	v_cvt_f32_f16_e32 v4, v1
	v_mov_b32_e32 v5, 0
	global_store_b64 v[2:3], v[4:5], off
.LBB25_2101:
	s_mov_b32 s0, 0
.LBB25_2102:
	s_delay_alu instid0(SALU_CYCLE_1)
	s_and_not1_b32 vcc_lo, exec_lo, s0
	s_cbranch_vccnz .LBB25_2104
; %bb.2103:
	s_wait_xcnt 0x0
	v_and_b32_e32 v4, 0xffff, v1
	global_store_b32 v[2:3], v4, off
.LBB25_2104:
	s_mov_b32 s0, 0
.LBB25_2105:
	s_delay_alu instid0(SALU_CYCLE_1)
	s_and_not1_b32 vcc_lo, exec_lo, s0
	s_cbranch_vccnz .LBB25_2114
; %bb.2106:
	s_cmp_lt_i32 s2, 6
	s_mov_b32 s0, -1
	s_cbranch_scc1 .LBB25_2112
; %bb.2107:
	s_cmp_gt_i32 s2, 6
	s_cbranch_scc0 .LBB25_2109
; %bb.2108:
	s_wait_xcnt 0x0
	v_cvt_f32_f16_e32 v4, v1
	s_mov_b32 s0, 0
	s_delay_alu instid0(VALU_DEP_1)
	v_cvt_f64_f32_e32 v[4:5], v4
	global_store_b64 v[2:3], v[4:5], off
.LBB25_2109:
	s_and_not1_b32 vcc_lo, exec_lo, s0
	s_cbranch_vccnz .LBB25_2111
; %bb.2110:
	s_wait_xcnt 0x0
	v_cvt_f32_f16_e32 v4, v1
	global_store_b32 v[2:3], v4, off
.LBB25_2111:
	s_mov_b32 s0, 0
.LBB25_2112:
	s_delay_alu instid0(SALU_CYCLE_1)
	s_and_not1_b32 vcc_lo, exec_lo, s0
	s_cbranch_vccnz .LBB25_2114
; %bb.2113:
	global_store_b16 v[2:3], v1, off
.LBB25_2114:
	s_mov_b32 s0, 0
.LBB25_2115:
	s_delay_alu instid0(SALU_CYCLE_1)
	s_and_not1_b32 vcc_lo, exec_lo, s0
	s_cbranch_vccnz .LBB25_2131
; %bb.2116:
	s_cmp_lt_i32 s2, 2
	s_mov_b32 s0, -1
	s_cbranch_scc1 .LBB25_2126
; %bb.2117:
	s_cmp_lt_i32 s2, 3
	s_cbranch_scc1 .LBB25_2123
; %bb.2118:
	s_cmp_gt_i32 s2, 3
	s_cbranch_scc0 .LBB25_2120
; %bb.2119:
	s_wait_xcnt 0x0
	v_cvt_f32_f16_e32 v4, v1
	s_mov_b32 s0, 0
	s_delay_alu instid0(VALU_DEP_1) | instskip(NEXT) | instid1(VALU_DEP_1)
	v_cvt_i32_f32_e32 v4, v4
	v_ashrrev_i32_e32 v5, 31, v4
	global_store_b64 v[2:3], v[4:5], off
.LBB25_2120:
	s_and_not1_b32 vcc_lo, exec_lo, s0
	s_cbranch_vccnz .LBB25_2122
; %bb.2121:
	s_wait_xcnt 0x0
	v_cvt_f32_f16_e32 v4, v1
	s_delay_alu instid0(VALU_DEP_1)
	v_cvt_i32_f32_e32 v4, v4
	global_store_b32 v[2:3], v4, off
.LBB25_2122:
	s_mov_b32 s0, 0
.LBB25_2123:
	s_delay_alu instid0(SALU_CYCLE_1)
	s_and_not1_b32 vcc_lo, exec_lo, s0
	s_cbranch_vccnz .LBB25_2125
; %bb.2124:
	s_wait_xcnt 0x0
	v_cvt_i16_f16_e32 v4, v1
	global_store_b16 v[2:3], v4, off
.LBB25_2125:
	s_mov_b32 s0, 0
.LBB25_2126:
	s_delay_alu instid0(SALU_CYCLE_1)
	s_and_not1_b32 vcc_lo, exec_lo, s0
	s_cbranch_vccnz .LBB25_2131
; %bb.2127:
	s_cmp_gt_i32 s2, 0
	s_mov_b32 s0, -1
	s_cbranch_scc0 .LBB25_2129
; %bb.2128:
	s_wait_xcnt 0x0
	v_cvt_i16_f16_e32 v4, v1
	s_mov_b32 s0, 0
	global_store_b8 v[2:3], v4, off
.LBB25_2129:
	s_and_not1_b32 vcc_lo, exec_lo, s0
	s_cbranch_vccnz .LBB25_2131
; %bb.2130:
	s_wait_xcnt 0x0
	v_cvt_f32_f16_e32 v1, v1
	s_delay_alu instid0(VALU_DEP_1)
	v_cvt_i32_f32_e32 v1, v1
	global_store_b8 v[2:3], v1, off
.LBB25_2131:
	s_branch .LBB25_2017
.LBB25_2132:
	s_mov_b32 s0, 0
	s_mov_b32 s3, 0
                                        ; implicit-def: $vgpr2_vgpr3
                                        ; implicit-def: $sgpr1
                                        ; implicit-def: $vgpr1
.LBB25_2133:
	s_and_not1_b32 s2, s8, exec_lo
	s_and_b32 s4, s10, exec_lo
	s_and_b32 s0, s0, exec_lo
	;; [unrolled: 1-line block ×3, first 2 shown]
	s_or_b32 s8, s2, s4
.LBB25_2134:
	s_wait_xcnt 0x0
	s_or_b32 exec_lo, exec_lo, s9
	s_and_saveexec_b32 s2, s8
	s_cbranch_execz .LBB25_2137
; %bb.2135:
	; divergent unreachable
	s_or_b32 exec_lo, exec_lo, s2
	s_and_saveexec_b32 s2, s30
	s_delay_alu instid0(SALU_CYCLE_1)
	s_xor_b32 s2, exec_lo, s2
	s_cbranch_execnz .LBB25_2138
.LBB25_2136:
	s_or_b32 exec_lo, exec_lo, s2
	s_and_saveexec_b32 s2, s0
	s_cbranch_execnz .LBB25_2139
	s_branch .LBB25_2176
.LBB25_2137:
	s_or_b32 exec_lo, exec_lo, s2
	s_and_saveexec_b32 s2, s30
	s_delay_alu instid0(SALU_CYCLE_1)
	s_xor_b32 s2, exec_lo, s2
	s_cbranch_execz .LBB25_2136
.LBB25_2138:
	s_wait_loadcnt 0x0
	v_cmp_neq_f16_e32 vcc_lo, 0, v1
	v_cndmask_b32_e64 v0, 0, 1, vcc_lo
	global_store_b8 v[2:3], v0, off
	s_wait_xcnt 0x0
	s_or_b32 exec_lo, exec_lo, s2
	s_and_saveexec_b32 s2, s0
	s_cbranch_execz .LBB25_2176
.LBB25_2139:
	s_sext_i32_i16 s2, s1
	s_mov_b32 s0, -1
	s_cmp_lt_i32 s2, 5
	s_cbranch_scc1 .LBB25_2160
; %bb.2140:
	s_cmp_lt_i32 s2, 8
	s_cbranch_scc1 .LBB25_2150
; %bb.2141:
	;; [unrolled: 3-line block ×3, first 2 shown]
	s_cmp_gt_i32 s2, 9
	s_cbranch_scc0 .LBB25_2144
; %bb.2143:
	s_wait_loadcnt 0x0
	v_cvt_f32_f16_e32 v0, v1
	v_mov_b32_e32 v6, 0
	s_mov_b32 s0, 0
	s_delay_alu instid0(VALU_DEP_2) | instskip(NEXT) | instid1(VALU_DEP_2)
	v_cvt_f64_f32_e32 v[4:5], v0
	v_mov_b32_e32 v7, v6
	global_store_b128 v[2:3], v[4:7], off
.LBB25_2144:
	s_and_not1_b32 vcc_lo, exec_lo, s0
	s_cbranch_vccnz .LBB25_2146
; %bb.2145:
	s_wait_loadcnt 0x0
	v_cvt_f32_f16_e32 v4, v1
	v_mov_b32_e32 v5, 0
	global_store_b64 v[2:3], v[4:5], off
.LBB25_2146:
	s_mov_b32 s0, 0
.LBB25_2147:
	s_delay_alu instid0(SALU_CYCLE_1)
	s_and_not1_b32 vcc_lo, exec_lo, s0
	s_cbranch_vccnz .LBB25_2149
; %bb.2148:
	s_wait_loadcnt 0x0
	v_and_b32_e32 v0, 0xffff, v1
	global_store_b32 v[2:3], v0, off
.LBB25_2149:
	s_mov_b32 s0, 0
.LBB25_2150:
	s_delay_alu instid0(SALU_CYCLE_1)
	s_and_not1_b32 vcc_lo, exec_lo, s0
	s_cbranch_vccnz .LBB25_2159
; %bb.2151:
	s_sext_i32_i16 s2, s1
	s_mov_b32 s0, -1
	s_cmp_lt_i32 s2, 6
	s_cbranch_scc1 .LBB25_2157
; %bb.2152:
	s_cmp_gt_i32 s2, 6
	s_cbranch_scc0 .LBB25_2154
; %bb.2153:
	s_wait_loadcnt 0x0
	v_cvt_f32_f16_e32 v0, v1
	s_mov_b32 s0, 0
	s_delay_alu instid0(VALU_DEP_1)
	v_cvt_f64_f32_e32 v[4:5], v0
	global_store_b64 v[2:3], v[4:5], off
.LBB25_2154:
	s_and_not1_b32 vcc_lo, exec_lo, s0
	s_cbranch_vccnz .LBB25_2156
; %bb.2155:
	s_wait_loadcnt 0x0
	v_cvt_f32_f16_e32 v0, v1
	global_store_b32 v[2:3], v0, off
.LBB25_2156:
	s_mov_b32 s0, 0
.LBB25_2157:
	s_delay_alu instid0(SALU_CYCLE_1)
	s_and_not1_b32 vcc_lo, exec_lo, s0
	s_cbranch_vccnz .LBB25_2159
; %bb.2158:
	s_wait_loadcnt 0x0
	global_store_b16 v[2:3], v1, off
.LBB25_2159:
	s_mov_b32 s0, 0
.LBB25_2160:
	s_delay_alu instid0(SALU_CYCLE_1)
	s_and_not1_b32 vcc_lo, exec_lo, s0
	s_cbranch_vccnz .LBB25_2176
; %bb.2161:
	s_sext_i32_i16 s2, s1
	s_mov_b32 s0, -1
	s_cmp_lt_i32 s2, 2
	s_cbranch_scc1 .LBB25_2171
; %bb.2162:
	s_cmp_lt_i32 s2, 3
	s_cbranch_scc1 .LBB25_2168
; %bb.2163:
	s_cmp_gt_i32 s2, 3
	s_cbranch_scc0 .LBB25_2165
; %bb.2164:
	s_wait_loadcnt 0x0
	v_cvt_f32_f16_e32 v0, v1
	s_mov_b32 s0, 0
	s_delay_alu instid0(VALU_DEP_1) | instskip(NEXT) | instid1(VALU_DEP_1)
	v_cvt_i32_f32_e32 v4, v0
	v_ashrrev_i32_e32 v5, 31, v4
	global_store_b64 v[2:3], v[4:5], off
.LBB25_2165:
	s_and_not1_b32 vcc_lo, exec_lo, s0
	s_cbranch_vccnz .LBB25_2167
; %bb.2166:
	s_wait_loadcnt 0x0
	v_cvt_f32_f16_e32 v0, v1
	s_delay_alu instid0(VALU_DEP_1)
	v_cvt_i32_f32_e32 v0, v0
	global_store_b32 v[2:3], v0, off
.LBB25_2167:
	s_mov_b32 s0, 0
.LBB25_2168:
	s_delay_alu instid0(SALU_CYCLE_1)
	s_and_not1_b32 vcc_lo, exec_lo, s0
	s_cbranch_vccnz .LBB25_2170
; %bb.2169:
	s_wait_loadcnt 0x0
	v_cvt_i16_f16_e32 v0, v1
	global_store_b16 v[2:3], v0, off
.LBB25_2170:
	s_mov_b32 s0, 0
.LBB25_2171:
	s_delay_alu instid0(SALU_CYCLE_1)
	s_and_not1_b32 vcc_lo, exec_lo, s0
	s_cbranch_vccnz .LBB25_2176
; %bb.2172:
	s_sext_i32_i16 s0, s1
	s_delay_alu instid0(SALU_CYCLE_1)
	s_cmp_gt_i32 s0, 0
	s_mov_b32 s0, -1
	s_cbranch_scc0 .LBB25_2174
; %bb.2173:
	s_wait_loadcnt 0x0
	v_cvt_i16_f16_e32 v0, v1
	s_mov_b32 s0, 0
	global_store_b8 v[2:3], v0, off
.LBB25_2174:
	s_and_not1_b32 vcc_lo, exec_lo, s0
	s_cbranch_vccnz .LBB25_2176
; %bb.2175:
	s_wait_loadcnt 0x0
	v_cvt_f32_f16_e32 v0, v1
	s_delay_alu instid0(VALU_DEP_1)
	v_cvt_i32_f32_e32 v0, v0
	global_store_b8 v[2:3], v0, off
	s_endpgm
.LBB25_2176:
	s_endpgm
.LBB25_2177:
	s_or_b32 s10, s10, exec_lo
	s_trap 2
	s_cbranch_execz .LBB25_1646
	s_branch .LBB25_1647
.LBB25_2178:
	s_and_not1_saveexec_b32 s11, s11
	s_cbranch_execz .LBB25_1730
.LBB25_2179:
	v_add_f32_e64 v5, 0x46000000, |v3|
	s_and_not1_b32 s7, s7, exec_lo
	s_delay_alu instid0(VALU_DEP_1) | instskip(NEXT) | instid1(VALU_DEP_1)
	v_and_b32_e32 v5, 0xff, v5
	v_cmp_ne_u32_e32 vcc_lo, 0, v5
	s_and_b32 s12, vcc_lo, exec_lo
	s_delay_alu instid0(SALU_CYCLE_1)
	s_or_b32 s7, s7, s12
	s_or_b32 exec_lo, exec_lo, s11
	v_mov_b32_e32 v14, 0
	s_and_saveexec_b32 s11, s7
	s_cbranch_execnz .LBB25_1731
	s_branch .LBB25_1732
.LBB25_2180:
	s_or_b32 s10, s10, exec_lo
	s_trap 2
	s_cbranch_execz .LBB25_1778
	s_branch .LBB25_1779
.LBB25_2181:
	s_and_not1_saveexec_b32 s7, s7
	s_cbranch_execz .LBB25_1743
.LBB25_2182:
	v_add_f32_e64 v5, 0x42800000, |v3|
	s_and_not1_b32 s6, s6, exec_lo
	s_delay_alu instid0(VALU_DEP_1) | instskip(NEXT) | instid1(VALU_DEP_1)
	v_and_b32_e32 v5, 0xff, v5
	v_cmp_ne_u32_e32 vcc_lo, 0, v5
	s_and_b32 s11, vcc_lo, exec_lo
	s_delay_alu instid0(SALU_CYCLE_1)
	s_or_b32 s6, s6, s11
	s_or_b32 exec_lo, exec_lo, s7
	v_mov_b32_e32 v14, 0
	s_and_saveexec_b32 s7, s6
	s_cbranch_execnz .LBB25_1744
	s_branch .LBB25_1745
.LBB25_2183:
	s_and_not1_saveexec_b32 s11, s11
	s_cbranch_execz .LBB25_1848
.LBB25_2184:
	v_add_f32_e64 v6, 0x46000000, |v3|
	s_and_not1_b32 s7, s7, exec_lo
	s_delay_alu instid0(VALU_DEP_1) | instskip(NEXT) | instid1(VALU_DEP_1)
	v_and_b32_e32 v6, 0xff, v6
	v_cmp_ne_u32_e32 vcc_lo, 0, v6
	s_and_b32 s12, vcc_lo, exec_lo
	s_delay_alu instid0(SALU_CYCLE_1)
	s_or_b32 s7, s7, s12
	s_or_b32 exec_lo, exec_lo, s11
	v_mov_b32_e32 v7, 0
	s_and_saveexec_b32 s11, s7
	s_cbranch_execnz .LBB25_1849
	s_branch .LBB25_1850
.LBB25_2185:
	s_or_b32 s10, s10, exec_lo
	s_trap 2
	s_cbranch_execz .LBB25_1896
	s_branch .LBB25_1897
.LBB25_2186:
	s_and_not1_saveexec_b32 s7, s7
	s_cbranch_execz .LBB25_1861
.LBB25_2187:
	v_add_f32_e64 v6, 0x42800000, |v3|
	s_and_not1_b32 s6, s6, exec_lo
	s_delay_alu instid0(VALU_DEP_1) | instskip(NEXT) | instid1(VALU_DEP_1)
	v_and_b32_e32 v6, 0xff, v6
	v_cmp_ne_u32_e32 vcc_lo, 0, v6
	s_and_b32 s11, vcc_lo, exec_lo
	s_delay_alu instid0(SALU_CYCLE_1)
	s_or_b32 s6, s6, s11
	s_or_b32 exec_lo, exec_lo, s7
	v_mov_b32_e32 v7, 0
	s_and_saveexec_b32 s7, s6
	s_cbranch_execnz .LBB25_1862
	s_branch .LBB25_1863
.LBB25_2188:
	s_and_not1_saveexec_b32 s11, s11
	s_cbranch_execz .LBB25_1966
.LBB25_2189:
	v_add_f32_e64 v5, 0x46000000, |v4|
	s_and_not1_b32 s7, s7, exec_lo
	s_delay_alu instid0(VALU_DEP_1) | instskip(NEXT) | instid1(VALU_DEP_1)
	v_and_b32_e32 v5, 0xff, v5
	v_cmp_ne_u32_e32 vcc_lo, 0, v5
	s_and_b32 s12, vcc_lo, exec_lo
	s_delay_alu instid0(SALU_CYCLE_1)
	s_or_b32 s7, s7, s12
	s_or_b32 exec_lo, exec_lo, s11
	v_mov_b32_e32 v6, 0
	s_and_saveexec_b32 s11, s7
	s_cbranch_execnz .LBB25_1967
	s_branch .LBB25_1968
.LBB25_2190:
	s_or_b32 s10, s10, exec_lo
	s_trap 2
	s_cbranch_execz .LBB25_2014
	s_branch .LBB25_2015
.LBB25_2191:
	s_and_not1_saveexec_b32 s7, s7
	s_cbranch_execz .LBB25_1979
.LBB25_2192:
	v_add_f32_e64 v5, 0x42800000, |v4|
	s_and_not1_b32 s6, s6, exec_lo
	s_delay_alu instid0(VALU_DEP_1) | instskip(NEXT) | instid1(VALU_DEP_1)
	v_and_b32_e32 v5, 0xff, v5
	v_cmp_ne_u32_e32 vcc_lo, 0, v5
	s_and_b32 s11, vcc_lo, exec_lo
	s_delay_alu instid0(SALU_CYCLE_1)
	s_or_b32 s6, s6, s11
	s_or_b32 exec_lo, exec_lo, s7
	v_mov_b32_e32 v6, 0
	s_and_saveexec_b32 s7, s6
	s_cbranch_execnz .LBB25_1980
	s_branch .LBB25_1981
.LBB25_2193:
	s_and_not1_saveexec_b32 s6, s6
	s_cbranch_execz .LBB25_2046
.LBB25_2194:
	v_add_f32_e64 v4, 0x46000000, |v0|
	s_and_not1_b32 s5, s5, exec_lo
	s_delay_alu instid0(VALU_DEP_1) | instskip(NEXT) | instid1(VALU_DEP_1)
	v_and_b32_e32 v4, 0xff, v4
	v_cmp_ne_u32_e32 vcc_lo, 0, v4
	s_and_b32 s7, vcc_lo, exec_lo
	s_delay_alu instid0(SALU_CYCLE_1)
	s_or_b32 s5, s5, s7
	s_or_b32 exec_lo, exec_lo, s6
	v_mov_b32_e32 v5, 0
	s_and_saveexec_b32 s6, s5
	s_cbranch_execnz .LBB25_2047
	s_branch .LBB25_2048
.LBB25_2195:
	s_mov_b32 s3, 0
	s_or_b32 s10, s10, exec_lo
	s_trap 2
	s_branch .LBB25_2092
.LBB25_2196:
	s_and_not1_saveexec_b32 s5, s5
	s_cbranch_execz .LBB25_2058
.LBB25_2197:
	v_add_f32_e64 v4, 0x42800000, |v0|
	s_and_not1_b32 s4, s4, exec_lo
	s_delay_alu instid0(VALU_DEP_1) | instskip(NEXT) | instid1(VALU_DEP_1)
	v_and_b32_e32 v4, 0xff, v4
	v_cmp_ne_u32_e32 vcc_lo, 0, v4
	s_and_b32 s6, vcc_lo, exec_lo
	s_delay_alu instid0(SALU_CYCLE_1)
	s_or_b32 s4, s4, s6
	s_or_b32 exec_lo, exec_lo, s5
	v_mov_b32_e32 v5, 0
	s_and_saveexec_b32 s5, s4
	s_cbranch_execnz .LBB25_2059
	s_branch .LBB25_2060
	.section	.rodata,"a",@progbits
	.p2align	6, 0x0
	.amdhsa_kernel _ZN2at6native32elementwise_kernel_manual_unrollILi128ELi4EZNS0_15gpu_kernel_implIZZZNS0_15sin_kernel_cudaERNS_18TensorIteratorBaseEENKUlvE0_clEvENKUlvE1_clEvEUlN3c104HalfEE_EEvS4_RKT_EUlibE0_EEviT1_
		.amdhsa_group_segment_fixed_size 0
		.amdhsa_private_segment_fixed_size 0
		.amdhsa_kernarg_size 360
		.amdhsa_user_sgpr_count 2
		.amdhsa_user_sgpr_dispatch_ptr 0
		.amdhsa_user_sgpr_queue_ptr 0
		.amdhsa_user_sgpr_kernarg_segment_ptr 1
		.amdhsa_user_sgpr_dispatch_id 0
		.amdhsa_user_sgpr_kernarg_preload_length 0
		.amdhsa_user_sgpr_kernarg_preload_offset 0
		.amdhsa_user_sgpr_private_segment_size 0
		.amdhsa_wavefront_size32 1
		.amdhsa_uses_dynamic_stack 0
		.amdhsa_enable_private_segment 0
		.amdhsa_system_sgpr_workgroup_id_x 1
		.amdhsa_system_sgpr_workgroup_id_y 0
		.amdhsa_system_sgpr_workgroup_id_z 0
		.amdhsa_system_sgpr_workgroup_info 0
		.amdhsa_system_vgpr_workitem_id 0
		.amdhsa_next_free_vgpr 36
		.amdhsa_next_free_sgpr 68
		.amdhsa_named_barrier_count 0
		.amdhsa_reserve_vcc 1
		.amdhsa_float_round_mode_32 0
		.amdhsa_float_round_mode_16_64 0
		.amdhsa_float_denorm_mode_32 3
		.amdhsa_float_denorm_mode_16_64 3
		.amdhsa_fp16_overflow 0
		.amdhsa_memory_ordered 1
		.amdhsa_forward_progress 1
		.amdhsa_inst_pref_size 255
		.amdhsa_round_robin_scheduling 0
		.amdhsa_exception_fp_ieee_invalid_op 0
		.amdhsa_exception_fp_denorm_src 0
		.amdhsa_exception_fp_ieee_div_zero 0
		.amdhsa_exception_fp_ieee_overflow 0
		.amdhsa_exception_fp_ieee_underflow 0
		.amdhsa_exception_fp_ieee_inexact 0
		.amdhsa_exception_int_div_zero 0
	.end_amdhsa_kernel
	.section	.text._ZN2at6native32elementwise_kernel_manual_unrollILi128ELi4EZNS0_15gpu_kernel_implIZZZNS0_15sin_kernel_cudaERNS_18TensorIteratorBaseEENKUlvE0_clEvENKUlvE1_clEvEUlN3c104HalfEE_EEvS4_RKT_EUlibE0_EEviT1_,"axG",@progbits,_ZN2at6native32elementwise_kernel_manual_unrollILi128ELi4EZNS0_15gpu_kernel_implIZZZNS0_15sin_kernel_cudaERNS_18TensorIteratorBaseEENKUlvE0_clEvENKUlvE1_clEvEUlN3c104HalfEE_EEvS4_RKT_EUlibE0_EEviT1_,comdat
.Lfunc_end25:
	.size	_ZN2at6native32elementwise_kernel_manual_unrollILi128ELi4EZNS0_15gpu_kernel_implIZZZNS0_15sin_kernel_cudaERNS_18TensorIteratorBaseEENKUlvE0_clEvENKUlvE1_clEvEUlN3c104HalfEE_EEvS4_RKT_EUlibE0_EEviT1_, .Lfunc_end25-_ZN2at6native32elementwise_kernel_manual_unrollILi128ELi4EZNS0_15gpu_kernel_implIZZZNS0_15sin_kernel_cudaERNS_18TensorIteratorBaseEENKUlvE0_clEvENKUlvE1_clEvEUlN3c104HalfEE_EEvS4_RKT_EUlibE0_EEviT1_
                                        ; -- End function
	.set _ZN2at6native32elementwise_kernel_manual_unrollILi128ELi4EZNS0_15gpu_kernel_implIZZZNS0_15sin_kernel_cudaERNS_18TensorIteratorBaseEENKUlvE0_clEvENKUlvE1_clEvEUlN3c104HalfEE_EEvS4_RKT_EUlibE0_EEviT1_.num_vgpr, 36
	.set _ZN2at6native32elementwise_kernel_manual_unrollILi128ELi4EZNS0_15gpu_kernel_implIZZZNS0_15sin_kernel_cudaERNS_18TensorIteratorBaseEENKUlvE0_clEvENKUlvE1_clEvEUlN3c104HalfEE_EEvS4_RKT_EUlibE0_EEviT1_.num_agpr, 0
	.set _ZN2at6native32elementwise_kernel_manual_unrollILi128ELi4EZNS0_15gpu_kernel_implIZZZNS0_15sin_kernel_cudaERNS_18TensorIteratorBaseEENKUlvE0_clEvENKUlvE1_clEvEUlN3c104HalfEE_EEvS4_RKT_EUlibE0_EEviT1_.numbered_sgpr, 68
	.set _ZN2at6native32elementwise_kernel_manual_unrollILi128ELi4EZNS0_15gpu_kernel_implIZZZNS0_15sin_kernel_cudaERNS_18TensorIteratorBaseEENKUlvE0_clEvENKUlvE1_clEvEUlN3c104HalfEE_EEvS4_RKT_EUlibE0_EEviT1_.num_named_barrier, 0
	.set _ZN2at6native32elementwise_kernel_manual_unrollILi128ELi4EZNS0_15gpu_kernel_implIZZZNS0_15sin_kernel_cudaERNS_18TensorIteratorBaseEENKUlvE0_clEvENKUlvE1_clEvEUlN3c104HalfEE_EEvS4_RKT_EUlibE0_EEviT1_.private_seg_size, 0
	.set _ZN2at6native32elementwise_kernel_manual_unrollILi128ELi4EZNS0_15gpu_kernel_implIZZZNS0_15sin_kernel_cudaERNS_18TensorIteratorBaseEENKUlvE0_clEvENKUlvE1_clEvEUlN3c104HalfEE_EEvS4_RKT_EUlibE0_EEviT1_.uses_vcc, 1
	.set _ZN2at6native32elementwise_kernel_manual_unrollILi128ELi4EZNS0_15gpu_kernel_implIZZZNS0_15sin_kernel_cudaERNS_18TensorIteratorBaseEENKUlvE0_clEvENKUlvE1_clEvEUlN3c104HalfEE_EEvS4_RKT_EUlibE0_EEviT1_.uses_flat_scratch, 0
	.set _ZN2at6native32elementwise_kernel_manual_unrollILi128ELi4EZNS0_15gpu_kernel_implIZZZNS0_15sin_kernel_cudaERNS_18TensorIteratorBaseEENKUlvE0_clEvENKUlvE1_clEvEUlN3c104HalfEE_EEvS4_RKT_EUlibE0_EEviT1_.has_dyn_sized_stack, 0
	.set _ZN2at6native32elementwise_kernel_manual_unrollILi128ELi4EZNS0_15gpu_kernel_implIZZZNS0_15sin_kernel_cudaERNS_18TensorIteratorBaseEENKUlvE0_clEvENKUlvE1_clEvEUlN3c104HalfEE_EEvS4_RKT_EUlibE0_EEviT1_.has_recursion, 0
	.set _ZN2at6native32elementwise_kernel_manual_unrollILi128ELi4EZNS0_15gpu_kernel_implIZZZNS0_15sin_kernel_cudaERNS_18TensorIteratorBaseEENKUlvE0_clEvENKUlvE1_clEvEUlN3c104HalfEE_EEvS4_RKT_EUlibE0_EEviT1_.has_indirect_call, 0
	.section	.AMDGPU.csdata,"",@progbits
; Kernel info:
; codeLenInByte = 54996
; TotalNumSgprs: 70
; NumVgprs: 36
; ScratchSize: 0
; MemoryBound: 0
; FloatMode: 240
; IeeeMode: 1
; LDSByteSize: 0 bytes/workgroup (compile time only)
; SGPRBlocks: 0
; VGPRBlocks: 2
; NumSGPRsForWavesPerEU: 70
; NumVGPRsForWavesPerEU: 36
; NamedBarCnt: 0
; Occupancy: 16
; WaveLimiterHint : 1
; COMPUTE_PGM_RSRC2:SCRATCH_EN: 0
; COMPUTE_PGM_RSRC2:USER_SGPR: 2
; COMPUTE_PGM_RSRC2:TRAP_HANDLER: 0
; COMPUTE_PGM_RSRC2:TGID_X_EN: 1
; COMPUTE_PGM_RSRC2:TGID_Y_EN: 0
; COMPUTE_PGM_RSRC2:TGID_Z_EN: 0
; COMPUTE_PGM_RSRC2:TIDIG_COMP_CNT: 0
	.text
	.p2align	2                               ; -- Begin function _ZN2at6native25elementwise_kernel_helperILb0EZZZNS0_15sin_kernel_cudaERNS_18TensorIteratorBaseEENKUlvE0_clEvENKUlvE2_clEvEUlN3c108BFloat16EE_NS0_6memory8policies11unroll_baseILi256ESt5arrayIPcLm2EE23TrivialOffsetCalculatorILi1EjESG_NS9_15LoadWithoutCastENS9_16StoreWithoutCastELi8ELi1EEEEEvT0_T1_
	.type	_ZN2at6native25elementwise_kernel_helperILb0EZZZNS0_15sin_kernel_cudaERNS_18TensorIteratorBaseEENKUlvE0_clEvENKUlvE2_clEvEUlN3c108BFloat16EE_NS0_6memory8policies11unroll_baseILi256ESt5arrayIPcLm2EE23TrivialOffsetCalculatorILi1EjESG_NS9_15LoadWithoutCastENS9_16StoreWithoutCastELi8ELi1EEEEEvT0_T1_,@function
_ZN2at6native25elementwise_kernel_helperILb0EZZZNS0_15sin_kernel_cudaERNS_18TensorIteratorBaseEENKUlvE0_clEvENKUlvE2_clEvEUlN3c108BFloat16EE_NS0_6memory8policies11unroll_baseILi256ESt5arrayIPcLm2EE23TrivialOffsetCalculatorILi1EjESG_NS9_15LoadWithoutCastENS9_16StoreWithoutCastELi8ELi1EEEEEvT0_T1_: ; @_ZN2at6native25elementwise_kernel_helperILb0EZZZNS0_15sin_kernel_cudaERNS_18TensorIteratorBaseEENKUlvE0_clEvENKUlvE2_clEvEUlN3c108BFloat16EE_NS0_6memory8policies11unroll_baseILi256ESt5arrayIPcLm2EE23TrivialOffsetCalculatorILi1EjESG_NS9_15LoadWithoutCastENS9_16StoreWithoutCastELi8ELi1EEEEEvT0_T1_
; %bb.0:
	s_wait_loadcnt_dscnt 0x0
	s_wait_kmcnt 0x0
	s_bfe_u32 s0, ttmp6, 0x4000c
	s_and_b32 s1, ttmp6, 15
	s_add_co_i32 s0, s0, 1
	s_getreg_b32 s2, hwreg(HW_REG_IB_STS2, 6, 4)
	s_mul_i32 s0, ttmp9, s0
	v_and_b32_e32 v5, 0x3ff, v31
	s_add_co_i32 s1, s1, s0
	s_cmp_eq_u32 s2, 0
	v_mov_b32_e32 v15, 0
	s_cselect_b32 s0, ttmp9, s1
	v_cmp_lt_i32_e32 vcc_lo, v5, v4
	s_lshl_b32 s3, s0, 11
	s_delay_alu instid0(SALU_CYCLE_1)
	v_dual_mov_b32 v14, 0 :: v_dual_bitop2_b32 v6, s3, v5 bitop3:0x54
	v_add_nc_u32_e32 v8, 0x100, v5
	v_mov_b32_e32 v16, v5
	s_and_saveexec_b32 s0, vcc_lo
	s_cbranch_execz .LBB26_2
; %bb.1:
	v_dual_mov_b32 v7, 0 :: v_dual_add_nc_u32 v16, 0x100, v5
	s_delay_alu instid0(VALU_DEP_1)
	v_lshl_add_u64 v[10:11], v[6:7], 1, v[2:3]
	flat_load_u16 v7, v[10:11]
	s_wait_loadcnt_dscnt 0x0
	v_lshlrev_b32_e32 v15, 16, v7
.LBB26_2:
	s_wait_xcnt 0x0
	s_or_b32 exec_lo, exec_lo, s0
	v_mov_b32_e32 v12, 0
	s_mov_b32 s1, exec_lo
	v_cmpx_lt_i32_e64 v16, v4
	s_cbranch_execz .LBB26_4
; %bb.3:
	v_dual_mov_b32 v11, 0 :: v_dual_add_nc_u32 v10, s3, v16
	v_add_nc_u32_e32 v16, 0x100, v16
	s_delay_alu instid0(VALU_DEP_2)
	v_lshl_add_u64 v[10:11], v[10:11], 1, v[2:3]
	flat_load_u16 v7, v[10:11]
	s_wait_loadcnt_dscnt 0x0
	v_lshlrev_b32_e32 v12, 16, v7
.LBB26_4:
	s_wait_xcnt 0x0
	s_or_b32 exec_lo, exec_lo, s1
	s_delay_alu instid0(SALU_CYCLE_1)
	s_mov_b32 s1, exec_lo
	v_cmpx_lt_i32_e64 v16, v4
	s_cbranch_execz .LBB26_6
; %bb.5:
	v_dual_mov_b32 v11, 0 :: v_dual_add_nc_u32 v10, s3, v16
	v_add_nc_u32_e32 v16, 0x100, v16
	s_delay_alu instid0(VALU_DEP_2)
	v_lshl_add_u64 v[10:11], v[10:11], 1, v[2:3]
	flat_load_u16 v7, v[10:11]
	s_wait_loadcnt_dscnt 0x0
	v_lshlrev_b32_e32 v14, 16, v7
.LBB26_6:
	s_wait_xcnt 0x0
	s_or_b32 exec_lo, exec_lo, s1
	v_dual_mov_b32 v11, 0 :: v_dual_mov_b32 v13, 0
	s_mov_b32 s1, exec_lo
	v_cmpx_lt_i32_e64 v16, v4
	s_cbranch_execz .LBB26_8
; %bb.7:
	v_dual_mov_b32 v19, 0 :: v_dual_add_nc_u32 v18, s3, v16
	v_add_nc_u32_e32 v16, 0x100, v16
	s_delay_alu instid0(VALU_DEP_2)
	v_lshl_add_u64 v[18:19], v[18:19], 1, v[2:3]
	flat_load_u16 v7, v[18:19]
	s_wait_loadcnt_dscnt 0x0
	v_lshlrev_b32_e32 v13, 16, v7
.LBB26_8:
	s_wait_xcnt 0x0
	s_or_b32 exec_lo, exec_lo, s1
	s_delay_alu instid0(SALU_CYCLE_1)
	s_mov_b32 s1, exec_lo
	v_cmpx_lt_i32_e64 v16, v4
	s_cbranch_execz .LBB26_10
; %bb.9:
	v_dual_mov_b32 v11, 0 :: v_dual_add_nc_u32 v10, s3, v16
	v_add_nc_u32_e32 v16, 0x100, v16
	s_delay_alu instid0(VALU_DEP_2)
	v_lshl_add_u64 v[10:11], v[10:11], 1, v[2:3]
	flat_load_u16 v7, v[10:11]
	s_wait_loadcnt_dscnt 0x0
	v_lshlrev_b32_e32 v11, 16, v7
.LBB26_10:
	s_or_b32 exec_lo, exec_lo, s1
	v_dual_mov_b32 v9, 0 :: v_dual_mov_b32 v10, 0
	s_mov_b32 s1, exec_lo
	v_cmpx_lt_i32_e64 v16, v4
	s_cbranch_execz .LBB26_12
; %bb.11:
	v_dual_mov_b32 v19, 0 :: v_dual_add_nc_u32 v18, s3, v16
	v_add_nc_u32_e32 v16, 0x100, v16
	s_delay_alu instid0(VALU_DEP_2)
	v_lshl_add_u64 v[18:19], v[18:19], 1, v[2:3]
	flat_load_u16 v7, v[18:19]
	s_wait_loadcnt_dscnt 0x0
	v_lshlrev_b32_e32 v10, 16, v7
.LBB26_12:
	s_wait_xcnt 0x0
	s_or_b32 exec_lo, exec_lo, s1
	s_delay_alu instid0(SALU_CYCLE_1)
	s_mov_b32 s1, exec_lo
	v_cmpx_lt_i32_e64 v16, v4
	s_cbranch_execz .LBB26_14
; %bb.13:
	v_dual_mov_b32 v19, 0 :: v_dual_add_nc_u32 v18, s3, v16
	v_add_nc_u32_e32 v16, 0x100, v16
	s_delay_alu instid0(VALU_DEP_2)
	v_lshl_add_u64 v[18:19], v[18:19], 1, v[2:3]
	flat_load_u16 v7, v[18:19]
	s_wait_loadcnt_dscnt 0x0
	v_lshlrev_b32_e32 v9, 16, v7
.LBB26_14:
	s_wait_xcnt 0x0
	s_or_b32 exec_lo, exec_lo, s1
	v_mov_b32_e32 v7, 0
	s_mov_b32 s1, exec_lo
	v_cmpx_lt_i32_e64 v16, v4
	s_cbranch_execz .LBB26_16
; %bb.15:
	v_dual_mov_b32 v17, 0 :: v_dual_add_nc_u32 v16, s3, v16
	s_delay_alu instid0(VALU_DEP_1)
	v_lshl_add_u64 v[2:3], v[16:17], 1, v[2:3]
	flat_load_u16 v2, v[2:3]
	s_wait_loadcnt_dscnt 0x0
	v_lshlrev_b32_e32 v7, 16, v2
	s_wait_xcnt 0x0
	s_or_b32 exec_lo, exec_lo, s1
                                        ; implicit-def: $vgpr2
	s_and_saveexec_b32 s4, vcc_lo
	s_cbranch_execz .LBB26_22
	s_branch .LBB26_17
.LBB26_16:
	s_or_b32 exec_lo, exec_lo, s1
                                        ; implicit-def: $vgpr2
	s_and_saveexec_b32 s4, vcc_lo
	s_cbranch_execz .LBB26_22
.LBB26_17:
	v_and_b32_e32 v2, 0x7fffffff, v15
                                        ; implicit-def: $vgpr16
                                        ; implicit-def: $vgpr3
	s_mov_b32 s1, exec_lo
	v_cmpx_ngt_f32_e64 0x48000000, |v15|
	s_xor_b32 s5, exec_lo, s1
	s_cbranch_execz .LBB26_19
; %bb.18:
	s_mov_b32 s0, 0x7fffff
	v_mov_b32_e32 v17, 0
	v_and_or_b32 v16, v2, s0, 0x800000
	s_mov_b64 s[0:1], 0xfe5163ab
	v_lshrrev_b32_e32 v3, 23, v2
	s_delay_alu instid0(VALU_DEP_2) | instskip(NEXT) | instid1(VALU_DEP_1)
	v_mul_u64_e32 v[18:19], s[0:1], v[16:17]
	v_dual_mov_b32 v20, v19 :: v_dual_mov_b32 v21, v17
	v_dual_mov_b32 v23, v17 :: v_dual_mov_b32 v25, v17
	;; [unrolled: 1-line block ×3, first 2 shown]
	s_delay_alu instid0(VALU_DEP_3) | instskip(NEXT) | instid1(VALU_DEP_1)
	v_mad_nc_u64_u32 v[20:21], 0x3c439041, v16, v[20:21]
	v_mov_b32_e32 v22, v21
	s_delay_alu instid0(VALU_DEP_1) | instskip(NEXT) | instid1(VALU_DEP_1)
	v_mad_nc_u64_u32 v[22:23], 0xdb629599, v16, v[22:23]
	v_mov_b32_e32 v24, v23
	s_delay_alu instid0(VALU_DEP_1) | instskip(NEXT) | instid1(VALU_DEP_1)
	;; [unrolled: 3-line block ×3, first 2 shown]
	v_mad_nc_u64_u32 v[26:27], 0xfc2757d1, v16, v[26:27]
	v_dual_mov_b32 v29, v17 :: v_dual_mov_b32 v28, v27
	s_delay_alu instid0(VALU_DEP_1) | instskip(NEXT) | instid1(VALU_DEP_1)
	v_mad_nc_u64_u32 v[28:29], 0x4e441529, v16, v[28:29]
	v_dual_mov_b32 v30, v29 :: v_dual_add_nc_u32 v3, 0xffffff88, v3
	s_delay_alu instid0(VALU_DEP_1) | instskip(NEXT) | instid1(VALU_DEP_2)
	v_cmp_lt_u32_e64 s0, 63, v3
	v_mad_nc_u64_u32 v[16:17], 0xa2f9836e, v16, v[30:31]
	s_delay_alu instid0(VALU_DEP_2) | instskip(SKIP_1) | instid1(VALU_DEP_2)
	v_cndmask_b32_e64 v19, 0, 0xffffffc0, s0
	v_dual_cndmask_b32 v21, v28, v24, s0 :: v_dual_cndmask_b32 v18, v22, v18, s0
	v_add_nc_u32_e32 v3, v19, v3
	s_delay_alu instid0(VALU_DEP_1) | instskip(SKIP_1) | instid1(VALU_DEP_2)
	v_cmp_lt_u32_e64 s1, 31, v3
	v_dual_cndmask_b32 v16, v16, v26, s0 :: v_dual_cndmask_b32 v17, v17, v28, s0
	v_cndmask_b32_e64 v19, 0, 0xffffffe0, s1
	s_delay_alu instid0(VALU_DEP_1) | instskip(NEXT) | instid1(VALU_DEP_1)
	v_add_nc_u32_e32 v3, v19, v3
	v_cmp_lt_u32_e64 s2, 31, v3
	s_delay_alu instid0(VALU_DEP_1) | instskip(NEXT) | instid1(VALU_DEP_1)
	v_cndmask_b32_e64 v19, 0, 0xffffffe0, s2
	v_dual_cndmask_b32 v23, v26, v22, s0 :: v_dual_add_nc_u32 v3, v19, v3
	v_cndmask_b32_e64 v19, v24, v20, s0
	v_dual_cndmask_b32 v20, v16, v21, s1 :: v_dual_cndmask_b32 v16, v17, v16, s1
	s_delay_alu instid0(VALU_DEP_3) | instskip(NEXT) | instid1(VALU_DEP_4)
	v_cndmask_b32_e64 v17, v21, v23, s1
	v_sub_nc_u32_e32 v21, 32, v3
	s_delay_alu instid0(VALU_DEP_4) | instskip(SKIP_2) | instid1(VALU_DEP_3)
	v_cndmask_b32_e64 v23, v23, v19, s1
	v_cmp_eq_u32_e64 s0, 0, v3
	v_cndmask_b32_e64 v16, v16, v20, s2
	v_dual_cndmask_b32 v20, v20, v17, s2 :: v_dual_cndmask_b32 v17, v17, v23, s2
	s_delay_alu instid0(VALU_DEP_1) | instskip(NEXT) | instid1(VALU_DEP_2)
	v_alignbit_b32 v24, v16, v20, v21
	v_alignbit_b32 v22, v20, v17, v21
	s_delay_alu instid0(VALU_DEP_2) | instskip(NEXT) | instid1(VALU_DEP_1)
	v_dual_cndmask_b32 v3, v24, v16, s0 :: v_dual_cndmask_b32 v16, v19, v18, s1
	v_bfe_u32 v19, v3, 29, 1
	s_delay_alu instid0(VALU_DEP_1) | instskip(NEXT) | instid1(VALU_DEP_1)
	v_dual_cndmask_b32 v18, v22, v20, s0 :: v_dual_sub_nc_u32 v22, 0, v19
	v_alignbit_b32 v20, v3, v18, 30
	s_delay_alu instid0(VALU_DEP_1) | instskip(NEXT) | instid1(VALU_DEP_1)
	v_dual_cndmask_b32 v16, v23, v16, s2 :: v_dual_bitop2_b32 v20, v20, v22 bitop3:0x14
	v_alignbit_b32 v21, v17, v16, v21
	s_delay_alu instid0(VALU_DEP_1) | instskip(NEXT) | instid1(VALU_DEP_3)
	v_cndmask_b32_e64 v17, v21, v17, s0
	v_clz_i32_u32_e32 v21, v20
	s_delay_alu instid0(VALU_DEP_2) | instskip(NEXT) | instid1(VALU_DEP_2)
	v_alignbit_b32 v16, v17, v16, 30
	v_min_u32_e32 v21, 32, v21
	s_delay_alu instid0(VALU_DEP_2) | instskip(SKIP_1) | instid1(VALU_DEP_1)
	v_xor_b32_e32 v16, v16, v22
	v_alignbit_b32 v18, v18, v17, 30
	v_dual_lshlrev_b32 v23, 23, v21 :: v_dual_bitop2_b32 v17, v18, v22 bitop3:0x14
	v_dual_sub_nc_u32 v18, 31, v21 :: v_dual_lshrrev_b32 v22, 29, v3
	s_delay_alu instid0(VALU_DEP_1) | instskip(SKIP_1) | instid1(VALU_DEP_3)
	v_alignbit_b32 v20, v20, v17, v18
	v_alignbit_b32 v16, v17, v16, v18
	v_lshlrev_b32_e32 v17, 31, v22
	s_delay_alu instid0(VALU_DEP_2) | instskip(NEXT) | instid1(VALU_DEP_2)
	v_alignbit_b32 v18, v20, v16, 9
	v_dual_lshrrev_b32 v20, 9, v20 :: v_dual_bitop2_b32 v22, 0.5, v17 bitop3:0x54
	s_delay_alu instid0(VALU_DEP_2) | instskip(NEXT) | instid1(VALU_DEP_2)
	v_clz_i32_u32_e32 v24, v18
	v_sub_nc_u32_e32 v22, v22, v23
	v_or_b32_e32 v17, 0x33000000, v17
	s_delay_alu instid0(VALU_DEP_3) | instskip(NEXT) | instid1(VALU_DEP_1)
	v_min_u32_e32 v23, 32, v24
	v_add_lshl_u32 v21, v23, v21, 23
	s_delay_alu instid0(VALU_DEP_4) | instskip(SKIP_1) | instid1(VALU_DEP_2)
	v_or_b32_e32 v20, v20, v22
	v_not_b32_e32 v22, v23
	v_dual_mul_f32 v24, 0x3fc90fda, v20 :: v_dual_sub_nc_u32 v17, v17, v21
	s_delay_alu instid0(VALU_DEP_2) | instskip(NEXT) | instid1(VALU_DEP_2)
	v_alignbit_b32 v16, v18, v16, v22
	v_fma_f32 v18, 0x3fc90fda, v20, -v24
	s_delay_alu instid0(VALU_DEP_2) | instskip(NEXT) | instid1(VALU_DEP_2)
	v_lshrrev_b32_e32 v16, 9, v16
	v_fmamk_f32 v18, v20, 0x33a22168, v18
	s_delay_alu instid0(VALU_DEP_2) | instskip(NEXT) | instid1(VALU_DEP_1)
	v_or_b32_e32 v16, v17, v16
	v_fmac_f32_e32 v18, 0x3fc90fda, v16
	s_delay_alu instid0(VALU_DEP_1) | instskip(NEXT) | instid1(VALU_DEP_1)
	v_dual_add_f32 v3, v24, v18 :: v_dual_lshrrev_b32 v16, 30, v3
	v_add_nc_u32_e32 v16, v19, v16
.LBB26_19:
	s_and_not1_saveexec_b32 s0, s5
; %bb.20:
	v_mul_f32_e64 v3, 0x3f22f983, |v15|
	s_delay_alu instid0(VALU_DEP_1) | instskip(NEXT) | instid1(VALU_DEP_1)
	v_rndne_f32_e32 v16, v3
	v_fma_f32 v3, 0xbfc90fda, v16, |v15|
	s_delay_alu instid0(VALU_DEP_1) | instskip(NEXT) | instid1(VALU_DEP_1)
	v_fmamk_f32 v3, v16, 0xb3a22168, v3
	v_fmamk_f32 v3, v16, 0xa7c234c4, v3
	v_cvt_i32_f32_e32 v16, v16
; %bb.21:
	s_or_b32 exec_lo, exec_lo, s0
	s_delay_alu instid0(VALU_DEP_1) | instskip(SKIP_3) | instid1(VALU_DEP_2)
	v_dual_mul_f32 v17, v3, v3 :: v_dual_bitop2_b32 v20, 1, v16 bitop3:0x40
	s_mov_b32 s0, 0xb94c1982
	s_mov_b32 s1, 0x37d75334
	v_lshlrev_b32_e32 v16, 30, v16
	v_fmaak_f32 v18, s0, v17, 0x3c0881c4
	v_cmp_eq_u32_e64 s0, 0, v20
	s_delay_alu instid0(VALU_DEP_3) | instskip(NEXT) | instid1(VALU_DEP_3)
	v_bitop3_b32 v2, v2, v16, 0x80000000 bitop3:0x78
	v_fmaak_f32 v18, v17, v18, 0xbe2aaa9d
	s_delay_alu instid0(VALU_DEP_1) | instskip(NEXT) | instid1(VALU_DEP_1)
	v_dual_fmaak_f32 v19, s1, v17, 0xbab64f3b :: v_dual_mul_f32 v18, v17, v18
	v_fmaak_f32 v19, v17, v19, 0x3d2aabf7
	s_delay_alu instid0(VALU_DEP_2) | instskip(NEXT) | instid1(VALU_DEP_2)
	v_fmac_f32_e32 v3, v3, v18
	v_fmaak_f32 v19, v17, v19, 0xbf000004
	s_delay_alu instid0(VALU_DEP_1) | instskip(NEXT) | instid1(VALU_DEP_1)
	v_fma_f32 v17, v17, v19, 1.0
	v_cndmask_b32_e64 v3, v17, v3, s0
	v_cmp_class_f32_e64 s0, v15, 0x1f8
	s_delay_alu instid0(VALU_DEP_2) | instskip(NEXT) | instid1(VALU_DEP_1)
	v_xor3_b32 v2, v2, v3, v15
	v_cndmask_b32_e64 v2, 0x7fc00000, v2, s0
	s_delay_alu instid0(VALU_DEP_1) | instskip(SKIP_1) | instid1(VALU_DEP_2)
	v_bfe_u32 v3, v2, 16, 1
	v_cmp_o_f32_e64 s0, v2, v2
	v_add3_u32 v3, v2, v3, 0x7fff
	s_delay_alu instid0(VALU_DEP_1) | instskip(NEXT) | instid1(VALU_DEP_1)
	v_lshrrev_b32_e32 v3, 16, v3
	v_cndmask_b32_e64 v2, 0x7fc0, v3, s0
.LBB26_22:
	s_or_b32 exec_lo, exec_lo, s4
	s_delay_alu instid0(SALU_CYCLE_1)
	s_mov_b32 s4, exec_lo
                                        ; implicit-def: $vgpr3
	v_cmpx_lt_i32_e64 v8, v4
	s_cbranch_execz .LBB26_28
; %bb.23:
	v_and_b32_e32 v3, 0x7fffffff, v12
                                        ; implicit-def: $vgpr16
                                        ; implicit-def: $vgpr15
	s_mov_b32 s1, exec_lo
	v_cmpx_ngt_f32_e64 0x48000000, |v12|
	s_xor_b32 s5, exec_lo, s1
	s_cbranch_execz .LBB26_25
; %bb.24:
	s_mov_b32 s0, 0x7fffff
	v_mov_b32_e32 v17, 0
	v_and_or_b32 v16, v3, s0, 0x800000
	s_mov_b64 s[0:1], 0xfe5163ab
	v_lshrrev_b32_e32 v15, 23, v3
	s_delay_alu instid0(VALU_DEP_2) | instskip(NEXT) | instid1(VALU_DEP_1)
	v_mul_u64_e32 v[18:19], s[0:1], v[16:17]
	v_dual_mov_b32 v20, v19 :: v_dual_mov_b32 v21, v17
	v_dual_mov_b32 v23, v17 :: v_dual_mov_b32 v25, v17
	;; [unrolled: 1-line block ×3, first 2 shown]
	s_delay_alu instid0(VALU_DEP_3) | instskip(NEXT) | instid1(VALU_DEP_1)
	v_mad_nc_u64_u32 v[20:21], 0x3c439041, v16, v[20:21]
	v_mov_b32_e32 v22, v21
	s_delay_alu instid0(VALU_DEP_1) | instskip(NEXT) | instid1(VALU_DEP_1)
	v_mad_nc_u64_u32 v[22:23], 0xdb629599, v16, v[22:23]
	v_mov_b32_e32 v24, v23
	s_delay_alu instid0(VALU_DEP_1) | instskip(NEXT) | instid1(VALU_DEP_1)
	;; [unrolled: 3-line block ×3, first 2 shown]
	v_mad_nc_u64_u32 v[26:27], 0xfc2757d1, v16, v[26:27]
	v_dual_mov_b32 v29, v17 :: v_dual_mov_b32 v28, v27
	s_delay_alu instid0(VALU_DEP_1) | instskip(NEXT) | instid1(VALU_DEP_1)
	v_mad_nc_u64_u32 v[28:29], 0x4e441529, v16, v[28:29]
	v_dual_mov_b32 v30, v29 :: v_dual_add_nc_u32 v15, 0xffffff88, v15
	s_delay_alu instid0(VALU_DEP_1) | instskip(NEXT) | instid1(VALU_DEP_2)
	v_cmp_lt_u32_e64 s0, 63, v15
	v_mad_nc_u64_u32 v[16:17], 0xa2f9836e, v16, v[30:31]
	s_delay_alu instid0(VALU_DEP_2) | instskip(SKIP_1) | instid1(VALU_DEP_2)
	v_cndmask_b32_e64 v19, 0, 0xffffffc0, s0
	v_dual_cndmask_b32 v21, v28, v24, s0 :: v_dual_cndmask_b32 v18, v22, v18, s0
	v_add_nc_u32_e32 v15, v19, v15
	s_delay_alu instid0(VALU_DEP_1) | instskip(SKIP_1) | instid1(VALU_DEP_2)
	v_cmp_lt_u32_e64 s1, 31, v15
	v_dual_cndmask_b32 v16, v16, v26, s0 :: v_dual_cndmask_b32 v17, v17, v28, s0
	v_cndmask_b32_e64 v19, 0, 0xffffffe0, s1
	s_delay_alu instid0(VALU_DEP_1) | instskip(NEXT) | instid1(VALU_DEP_1)
	v_add_nc_u32_e32 v15, v19, v15
	v_cmp_lt_u32_e64 s2, 31, v15
	s_delay_alu instid0(VALU_DEP_1) | instskip(NEXT) | instid1(VALU_DEP_1)
	v_cndmask_b32_e64 v19, 0, 0xffffffe0, s2
	v_dual_cndmask_b32 v23, v26, v22, s0 :: v_dual_add_nc_u32 v15, v19, v15
	v_cndmask_b32_e64 v19, v24, v20, s0
	v_dual_cndmask_b32 v20, v16, v21, s1 :: v_dual_cndmask_b32 v16, v17, v16, s1
	s_delay_alu instid0(VALU_DEP_3) | instskip(NEXT) | instid1(VALU_DEP_4)
	v_cndmask_b32_e64 v17, v21, v23, s1
	v_sub_nc_u32_e32 v21, 32, v15
	s_delay_alu instid0(VALU_DEP_4) | instskip(SKIP_2) | instid1(VALU_DEP_3)
	v_cndmask_b32_e64 v23, v23, v19, s1
	v_cmp_eq_u32_e64 s0, 0, v15
	v_cndmask_b32_e64 v16, v16, v20, s2
	v_dual_cndmask_b32 v20, v20, v17, s2 :: v_dual_cndmask_b32 v17, v17, v23, s2
	s_delay_alu instid0(VALU_DEP_1) | instskip(NEXT) | instid1(VALU_DEP_2)
	v_alignbit_b32 v24, v16, v20, v21
	v_alignbit_b32 v22, v20, v17, v21
	s_delay_alu instid0(VALU_DEP_2) | instskip(NEXT) | instid1(VALU_DEP_1)
	v_dual_cndmask_b32 v15, v24, v16, s0 :: v_dual_cndmask_b32 v16, v19, v18, s1
	v_bfe_u32 v19, v15, 29, 1
	s_delay_alu instid0(VALU_DEP_1) | instskip(NEXT) | instid1(VALU_DEP_1)
	v_dual_cndmask_b32 v18, v22, v20, s0 :: v_dual_sub_nc_u32 v22, 0, v19
	v_alignbit_b32 v20, v15, v18, 30
	s_delay_alu instid0(VALU_DEP_1) | instskip(NEXT) | instid1(VALU_DEP_1)
	v_dual_cndmask_b32 v16, v23, v16, s2 :: v_dual_bitop2_b32 v20, v20, v22 bitop3:0x14
	v_alignbit_b32 v21, v17, v16, v21
	s_delay_alu instid0(VALU_DEP_1) | instskip(NEXT) | instid1(VALU_DEP_3)
	v_cndmask_b32_e64 v17, v21, v17, s0
	v_clz_i32_u32_e32 v21, v20
	s_delay_alu instid0(VALU_DEP_2) | instskip(NEXT) | instid1(VALU_DEP_2)
	v_alignbit_b32 v16, v17, v16, 30
	v_min_u32_e32 v21, 32, v21
	s_delay_alu instid0(VALU_DEP_2) | instskip(SKIP_1) | instid1(VALU_DEP_1)
	v_xor_b32_e32 v16, v16, v22
	v_alignbit_b32 v18, v18, v17, 30
	v_dual_lshlrev_b32 v23, 23, v21 :: v_dual_bitop2_b32 v17, v18, v22 bitop3:0x14
	v_dual_sub_nc_u32 v18, 31, v21 :: v_dual_lshrrev_b32 v22, 29, v15
	s_delay_alu instid0(VALU_DEP_1) | instskip(SKIP_1) | instid1(VALU_DEP_3)
	v_alignbit_b32 v20, v20, v17, v18
	v_alignbit_b32 v16, v17, v16, v18
	v_lshlrev_b32_e32 v17, 31, v22
	s_delay_alu instid0(VALU_DEP_2) | instskip(NEXT) | instid1(VALU_DEP_2)
	v_alignbit_b32 v18, v20, v16, 9
	v_dual_lshrrev_b32 v20, 9, v20 :: v_dual_bitop2_b32 v22, 0.5, v17 bitop3:0x54
	s_delay_alu instid0(VALU_DEP_2) | instskip(NEXT) | instid1(VALU_DEP_2)
	v_clz_i32_u32_e32 v24, v18
	v_sub_nc_u32_e32 v22, v22, v23
	v_or_b32_e32 v17, 0x33000000, v17
	s_delay_alu instid0(VALU_DEP_3) | instskip(NEXT) | instid1(VALU_DEP_1)
	v_min_u32_e32 v23, 32, v24
	v_add_lshl_u32 v21, v23, v21, 23
	s_delay_alu instid0(VALU_DEP_4) | instskip(SKIP_1) | instid1(VALU_DEP_2)
	v_or_b32_e32 v20, v20, v22
	v_not_b32_e32 v22, v23
	v_dual_mul_f32 v24, 0x3fc90fda, v20 :: v_dual_sub_nc_u32 v17, v17, v21
	s_delay_alu instid0(VALU_DEP_2) | instskip(NEXT) | instid1(VALU_DEP_2)
	v_alignbit_b32 v16, v18, v16, v22
	v_fma_f32 v18, 0x3fc90fda, v20, -v24
	s_delay_alu instid0(VALU_DEP_2) | instskip(NEXT) | instid1(VALU_DEP_2)
	v_lshrrev_b32_e32 v16, 9, v16
	v_fmamk_f32 v18, v20, 0x33a22168, v18
	s_delay_alu instid0(VALU_DEP_2) | instskip(NEXT) | instid1(VALU_DEP_1)
	v_or_b32_e32 v16, v17, v16
	v_fmac_f32_e32 v18, 0x3fc90fda, v16
	s_delay_alu instid0(VALU_DEP_1) | instskip(NEXT) | instid1(VALU_DEP_1)
	v_dual_add_f32 v15, v24, v18 :: v_dual_lshrrev_b32 v16, 30, v15
	v_add_nc_u32_e32 v16, v19, v16
.LBB26_25:
	s_and_not1_saveexec_b32 s0, s5
; %bb.26:
	v_mul_f32_e64 v15, 0x3f22f983, |v12|
	s_delay_alu instid0(VALU_DEP_1) | instskip(NEXT) | instid1(VALU_DEP_1)
	v_rndne_f32_e32 v16, v15
	v_fma_f32 v15, 0xbfc90fda, v16, |v12|
	s_delay_alu instid0(VALU_DEP_1) | instskip(NEXT) | instid1(VALU_DEP_1)
	v_fmamk_f32 v15, v16, 0xb3a22168, v15
	v_fmamk_f32 v15, v16, 0xa7c234c4, v15
	v_cvt_i32_f32_e32 v16, v16
; %bb.27:
	s_or_b32 exec_lo, exec_lo, s0
	s_delay_alu instid0(VALU_DEP_1) | instskip(SKIP_3) | instid1(VALU_DEP_2)
	v_dual_mul_f32 v17, v15, v15 :: v_dual_bitop2_b32 v20, 1, v16 bitop3:0x40
	s_mov_b32 s0, 0xb94c1982
	s_mov_b32 s1, 0x37d75334
	v_lshlrev_b32_e32 v16, 30, v16
	v_fmaak_f32 v18, s0, v17, 0x3c0881c4
	v_cmp_eq_u32_e64 s0, 0, v20
	s_delay_alu instid0(VALU_DEP_3) | instskip(NEXT) | instid1(VALU_DEP_3)
	v_bitop3_b32 v3, v3, v16, 0x80000000 bitop3:0x78
	v_fmaak_f32 v18, v17, v18, 0xbe2aaa9d
	s_delay_alu instid0(VALU_DEP_1) | instskip(NEXT) | instid1(VALU_DEP_1)
	v_dual_fmaak_f32 v19, s1, v17, 0xbab64f3b :: v_dual_mul_f32 v18, v17, v18
	v_fmaak_f32 v19, v17, v19, 0x3d2aabf7
	s_delay_alu instid0(VALU_DEP_2) | instskip(NEXT) | instid1(VALU_DEP_2)
	v_fmac_f32_e32 v15, v15, v18
	v_fmaak_f32 v19, v17, v19, 0xbf000004
	s_delay_alu instid0(VALU_DEP_1) | instskip(NEXT) | instid1(VALU_DEP_1)
	v_fma_f32 v17, v17, v19, 1.0
	v_cndmask_b32_e64 v15, v17, v15, s0
	v_cmp_class_f32_e64 s0, v12, 0x1f8
	s_delay_alu instid0(VALU_DEP_2) | instskip(NEXT) | instid1(VALU_DEP_1)
	v_xor3_b32 v3, v3, v15, v12
	v_cndmask_b32_e64 v3, 0x7fc00000, v3, s0
	s_delay_alu instid0(VALU_DEP_1) | instskip(SKIP_1) | instid1(VALU_DEP_2)
	v_bfe_u32 v12, v3, 16, 1
	v_cmp_o_f32_e64 s0, v3, v3
	v_add3_u32 v12, v3, v12, 0x7fff
	s_delay_alu instid0(VALU_DEP_1) | instskip(NEXT) | instid1(VALU_DEP_1)
	v_lshrrev_b32_e32 v12, 16, v12
	v_cndmask_b32_e64 v3, 0x7fc0, v12, s0
.LBB26_28:
	s_or_b32 exec_lo, exec_lo, s4
	v_add_nc_u32_e32 v12, 0x200, v5
	s_delay_alu instid0(VALU_DEP_1)
	v_cmp_lt_i32_e64 s0, v12, v4
                                        ; implicit-def: $vgpr12
	s_and_saveexec_b32 s4, s0
	s_cbranch_execz .LBB26_34
; %bb.29:
	v_and_b32_e32 v12, 0x7fffffff, v14
                                        ; implicit-def: $vgpr16
                                        ; implicit-def: $vgpr15
	s_mov_b32 s1, exec_lo
	v_cmpx_ngt_f32_e64 0x48000000, |v14|
	s_xor_b32 s5, exec_lo, s1
	s_cbranch_execz .LBB26_31
; %bb.30:
	s_mov_b32 s0, 0x7fffff
	v_mov_b32_e32 v17, 0
	v_and_or_b32 v16, v12, s0, 0x800000
	s_mov_b64 s[0:1], 0xfe5163ab
	v_lshrrev_b32_e32 v15, 23, v12
	s_delay_alu instid0(VALU_DEP_2) | instskip(NEXT) | instid1(VALU_DEP_1)
	v_mul_u64_e32 v[18:19], s[0:1], v[16:17]
	v_dual_mov_b32 v20, v19 :: v_dual_mov_b32 v21, v17
	v_dual_mov_b32 v23, v17 :: v_dual_mov_b32 v25, v17
	;; [unrolled: 1-line block ×3, first 2 shown]
	s_delay_alu instid0(VALU_DEP_3) | instskip(NEXT) | instid1(VALU_DEP_1)
	v_mad_nc_u64_u32 v[20:21], 0x3c439041, v16, v[20:21]
	v_mov_b32_e32 v22, v21
	s_delay_alu instid0(VALU_DEP_1) | instskip(NEXT) | instid1(VALU_DEP_1)
	v_mad_nc_u64_u32 v[22:23], 0xdb629599, v16, v[22:23]
	v_mov_b32_e32 v24, v23
	s_delay_alu instid0(VALU_DEP_1) | instskip(NEXT) | instid1(VALU_DEP_1)
	v_mad_nc_u64_u32 v[24:25], 0xf534ddc0, v16, v[24:25]
	v_mov_b32_e32 v26, v25
	s_delay_alu instid0(VALU_DEP_1) | instskip(NEXT) | instid1(VALU_DEP_1)
	v_mad_nc_u64_u32 v[26:27], 0xfc2757d1, v16, v[26:27]
	v_dual_mov_b32 v29, v17 :: v_dual_mov_b32 v28, v27
	s_delay_alu instid0(VALU_DEP_1) | instskip(NEXT) | instid1(VALU_DEP_1)
	v_mad_nc_u64_u32 v[28:29], 0x4e441529, v16, v[28:29]
	v_dual_mov_b32 v30, v29 :: v_dual_add_nc_u32 v15, 0xffffff88, v15
	s_delay_alu instid0(VALU_DEP_1) | instskip(NEXT) | instid1(VALU_DEP_2)
	v_cmp_lt_u32_e64 s0, 63, v15
	v_mad_nc_u64_u32 v[16:17], 0xa2f9836e, v16, v[30:31]
	s_delay_alu instid0(VALU_DEP_2) | instskip(SKIP_1) | instid1(VALU_DEP_2)
	v_cndmask_b32_e64 v19, 0, 0xffffffc0, s0
	v_dual_cndmask_b32 v21, v28, v24, s0 :: v_dual_cndmask_b32 v18, v22, v18, s0
	v_add_nc_u32_e32 v15, v19, v15
	s_delay_alu instid0(VALU_DEP_1) | instskip(SKIP_1) | instid1(VALU_DEP_2)
	v_cmp_lt_u32_e64 s1, 31, v15
	v_dual_cndmask_b32 v16, v16, v26, s0 :: v_dual_cndmask_b32 v17, v17, v28, s0
	v_cndmask_b32_e64 v19, 0, 0xffffffe0, s1
	s_delay_alu instid0(VALU_DEP_1) | instskip(NEXT) | instid1(VALU_DEP_1)
	v_add_nc_u32_e32 v15, v19, v15
	v_cmp_lt_u32_e64 s2, 31, v15
	s_delay_alu instid0(VALU_DEP_1) | instskip(NEXT) | instid1(VALU_DEP_1)
	v_cndmask_b32_e64 v19, 0, 0xffffffe0, s2
	v_dual_cndmask_b32 v23, v26, v22, s0 :: v_dual_add_nc_u32 v15, v19, v15
	v_cndmask_b32_e64 v19, v24, v20, s0
	v_dual_cndmask_b32 v20, v16, v21, s1 :: v_dual_cndmask_b32 v16, v17, v16, s1
	s_delay_alu instid0(VALU_DEP_3) | instskip(NEXT) | instid1(VALU_DEP_4)
	v_cndmask_b32_e64 v17, v21, v23, s1
	v_sub_nc_u32_e32 v21, 32, v15
	s_delay_alu instid0(VALU_DEP_4) | instskip(SKIP_2) | instid1(VALU_DEP_3)
	v_cndmask_b32_e64 v23, v23, v19, s1
	v_cmp_eq_u32_e64 s0, 0, v15
	v_cndmask_b32_e64 v16, v16, v20, s2
	v_dual_cndmask_b32 v20, v20, v17, s2 :: v_dual_cndmask_b32 v17, v17, v23, s2
	s_delay_alu instid0(VALU_DEP_1) | instskip(NEXT) | instid1(VALU_DEP_2)
	v_alignbit_b32 v24, v16, v20, v21
	v_alignbit_b32 v22, v20, v17, v21
	s_delay_alu instid0(VALU_DEP_2) | instskip(NEXT) | instid1(VALU_DEP_1)
	v_dual_cndmask_b32 v15, v24, v16, s0 :: v_dual_cndmask_b32 v16, v19, v18, s1
	v_bfe_u32 v19, v15, 29, 1
	s_delay_alu instid0(VALU_DEP_1) | instskip(NEXT) | instid1(VALU_DEP_1)
	v_dual_cndmask_b32 v18, v22, v20, s0 :: v_dual_sub_nc_u32 v22, 0, v19
	v_alignbit_b32 v20, v15, v18, 30
	s_delay_alu instid0(VALU_DEP_1) | instskip(NEXT) | instid1(VALU_DEP_1)
	v_dual_cndmask_b32 v16, v23, v16, s2 :: v_dual_bitop2_b32 v20, v20, v22 bitop3:0x14
	v_alignbit_b32 v21, v17, v16, v21
	s_delay_alu instid0(VALU_DEP_1) | instskip(NEXT) | instid1(VALU_DEP_3)
	v_cndmask_b32_e64 v17, v21, v17, s0
	v_clz_i32_u32_e32 v21, v20
	s_delay_alu instid0(VALU_DEP_2) | instskip(NEXT) | instid1(VALU_DEP_2)
	v_alignbit_b32 v16, v17, v16, 30
	v_min_u32_e32 v21, 32, v21
	s_delay_alu instid0(VALU_DEP_2) | instskip(SKIP_1) | instid1(VALU_DEP_1)
	v_xor_b32_e32 v16, v16, v22
	v_alignbit_b32 v18, v18, v17, 30
	v_dual_lshlrev_b32 v23, 23, v21 :: v_dual_bitop2_b32 v17, v18, v22 bitop3:0x14
	v_dual_sub_nc_u32 v18, 31, v21 :: v_dual_lshrrev_b32 v22, 29, v15
	s_delay_alu instid0(VALU_DEP_1) | instskip(SKIP_1) | instid1(VALU_DEP_3)
	v_alignbit_b32 v20, v20, v17, v18
	v_alignbit_b32 v16, v17, v16, v18
	v_lshlrev_b32_e32 v17, 31, v22
	s_delay_alu instid0(VALU_DEP_2) | instskip(NEXT) | instid1(VALU_DEP_2)
	v_alignbit_b32 v18, v20, v16, 9
	v_dual_lshrrev_b32 v20, 9, v20 :: v_dual_bitop2_b32 v22, 0.5, v17 bitop3:0x54
	s_delay_alu instid0(VALU_DEP_2) | instskip(NEXT) | instid1(VALU_DEP_2)
	v_clz_i32_u32_e32 v24, v18
	v_sub_nc_u32_e32 v22, v22, v23
	v_or_b32_e32 v17, 0x33000000, v17
	s_delay_alu instid0(VALU_DEP_3) | instskip(NEXT) | instid1(VALU_DEP_1)
	v_min_u32_e32 v23, 32, v24
	v_add_lshl_u32 v21, v23, v21, 23
	s_delay_alu instid0(VALU_DEP_4) | instskip(SKIP_1) | instid1(VALU_DEP_2)
	v_or_b32_e32 v20, v20, v22
	v_not_b32_e32 v22, v23
	v_dual_mul_f32 v24, 0x3fc90fda, v20 :: v_dual_sub_nc_u32 v17, v17, v21
	s_delay_alu instid0(VALU_DEP_2) | instskip(NEXT) | instid1(VALU_DEP_2)
	v_alignbit_b32 v16, v18, v16, v22
	v_fma_f32 v18, 0x3fc90fda, v20, -v24
	s_delay_alu instid0(VALU_DEP_2) | instskip(NEXT) | instid1(VALU_DEP_2)
	v_lshrrev_b32_e32 v16, 9, v16
	v_fmamk_f32 v18, v20, 0x33a22168, v18
	s_delay_alu instid0(VALU_DEP_2) | instskip(NEXT) | instid1(VALU_DEP_1)
	v_or_b32_e32 v16, v17, v16
	v_fmac_f32_e32 v18, 0x3fc90fda, v16
	s_delay_alu instid0(VALU_DEP_1) | instskip(NEXT) | instid1(VALU_DEP_1)
	v_dual_add_f32 v15, v24, v18 :: v_dual_lshrrev_b32 v16, 30, v15
	v_add_nc_u32_e32 v16, v19, v16
.LBB26_31:
	s_and_not1_saveexec_b32 s0, s5
; %bb.32:
	v_mul_f32_e64 v15, 0x3f22f983, |v14|
	s_delay_alu instid0(VALU_DEP_1) | instskip(NEXT) | instid1(VALU_DEP_1)
	v_rndne_f32_e32 v16, v15
	v_fma_f32 v15, 0xbfc90fda, v16, |v14|
	s_delay_alu instid0(VALU_DEP_1) | instskip(NEXT) | instid1(VALU_DEP_1)
	v_fmamk_f32 v15, v16, 0xb3a22168, v15
	v_fmamk_f32 v15, v16, 0xa7c234c4, v15
	v_cvt_i32_f32_e32 v16, v16
; %bb.33:
	s_or_b32 exec_lo, exec_lo, s0
	s_delay_alu instid0(VALU_DEP_1) | instskip(SKIP_3) | instid1(VALU_DEP_2)
	v_dual_mul_f32 v17, v15, v15 :: v_dual_bitop2_b32 v20, 1, v16 bitop3:0x40
	s_mov_b32 s0, 0xb94c1982
	s_mov_b32 s1, 0x37d75334
	v_lshlrev_b32_e32 v16, 30, v16
	v_fmaak_f32 v18, s0, v17, 0x3c0881c4
	v_cmp_eq_u32_e64 s0, 0, v20
	s_delay_alu instid0(VALU_DEP_3) | instskip(NEXT) | instid1(VALU_DEP_3)
	v_bitop3_b32 v12, v12, v16, 0x80000000 bitop3:0x78
	v_fmaak_f32 v18, v17, v18, 0xbe2aaa9d
	s_delay_alu instid0(VALU_DEP_1) | instskip(NEXT) | instid1(VALU_DEP_1)
	v_dual_fmaak_f32 v19, s1, v17, 0xbab64f3b :: v_dual_mul_f32 v18, v17, v18
	v_fmaak_f32 v19, v17, v19, 0x3d2aabf7
	s_delay_alu instid0(VALU_DEP_2) | instskip(NEXT) | instid1(VALU_DEP_2)
	v_fmac_f32_e32 v15, v15, v18
	v_fmaak_f32 v19, v17, v19, 0xbf000004
	s_delay_alu instid0(VALU_DEP_1) | instskip(NEXT) | instid1(VALU_DEP_1)
	v_fma_f32 v17, v17, v19, 1.0
	v_cndmask_b32_e64 v15, v17, v15, s0
	v_cmp_class_f32_e64 s0, v14, 0x1f8
	s_delay_alu instid0(VALU_DEP_2) | instskip(NEXT) | instid1(VALU_DEP_1)
	v_xor3_b32 v12, v12, v15, v14
	v_cndmask_b32_e64 v12, 0x7fc00000, v12, s0
	s_delay_alu instid0(VALU_DEP_1) | instskip(SKIP_1) | instid1(VALU_DEP_2)
	v_bfe_u32 v14, v12, 16, 1
	v_cmp_o_f32_e64 s0, v12, v12
	v_add3_u32 v14, v12, v14, 0x7fff
	s_delay_alu instid0(VALU_DEP_1) | instskip(NEXT) | instid1(VALU_DEP_1)
	v_lshrrev_b32_e32 v14, 16, v14
	v_cndmask_b32_e64 v12, 0x7fc0, v14, s0
.LBB26_34:
	s_or_b32 exec_lo, exec_lo, s4
	v_add_nc_u32_e32 v14, 0x300, v5
	s_delay_alu instid0(VALU_DEP_1)
	v_cmp_lt_i32_e64 s0, v14, v4
                                        ; implicit-def: $vgpr14
	s_and_saveexec_b32 s4, s0
	s_cbranch_execz .LBB26_40
; %bb.35:
	v_and_b32_e32 v14, 0x7fffffff, v13
                                        ; implicit-def: $vgpr16
                                        ; implicit-def: $vgpr15
	s_mov_b32 s1, exec_lo
	v_cmpx_ngt_f32_e64 0x48000000, |v13|
	s_xor_b32 s5, exec_lo, s1
	s_cbranch_execz .LBB26_37
; %bb.36:
	s_mov_b32 s0, 0x7fffff
	v_mov_b32_e32 v17, 0
	v_and_or_b32 v16, v14, s0, 0x800000
	s_mov_b64 s[0:1], 0xfe5163ab
	v_lshrrev_b32_e32 v15, 23, v14
	s_delay_alu instid0(VALU_DEP_2) | instskip(NEXT) | instid1(VALU_DEP_1)
	v_mul_u64_e32 v[18:19], s[0:1], v[16:17]
	v_dual_mov_b32 v20, v19 :: v_dual_mov_b32 v21, v17
	v_dual_mov_b32 v23, v17 :: v_dual_mov_b32 v25, v17
	;; [unrolled: 1-line block ×3, first 2 shown]
	s_delay_alu instid0(VALU_DEP_3) | instskip(NEXT) | instid1(VALU_DEP_1)
	v_mad_nc_u64_u32 v[20:21], 0x3c439041, v16, v[20:21]
	v_mov_b32_e32 v22, v21
	s_delay_alu instid0(VALU_DEP_1) | instskip(NEXT) | instid1(VALU_DEP_1)
	v_mad_nc_u64_u32 v[22:23], 0xdb629599, v16, v[22:23]
	v_mov_b32_e32 v24, v23
	s_delay_alu instid0(VALU_DEP_1) | instskip(NEXT) | instid1(VALU_DEP_1)
	;; [unrolled: 3-line block ×3, first 2 shown]
	v_mad_nc_u64_u32 v[26:27], 0xfc2757d1, v16, v[26:27]
	v_dual_mov_b32 v29, v17 :: v_dual_mov_b32 v28, v27
	s_delay_alu instid0(VALU_DEP_1) | instskip(NEXT) | instid1(VALU_DEP_1)
	v_mad_nc_u64_u32 v[28:29], 0x4e441529, v16, v[28:29]
	v_dual_mov_b32 v30, v29 :: v_dual_add_nc_u32 v15, 0xffffff88, v15
	s_delay_alu instid0(VALU_DEP_1) | instskip(NEXT) | instid1(VALU_DEP_2)
	v_cmp_lt_u32_e64 s0, 63, v15
	v_mad_nc_u64_u32 v[16:17], 0xa2f9836e, v16, v[30:31]
	s_delay_alu instid0(VALU_DEP_2) | instskip(SKIP_1) | instid1(VALU_DEP_2)
	v_cndmask_b32_e64 v19, 0, 0xffffffc0, s0
	v_dual_cndmask_b32 v21, v28, v24, s0 :: v_dual_cndmask_b32 v18, v22, v18, s0
	v_add_nc_u32_e32 v15, v19, v15
	s_delay_alu instid0(VALU_DEP_1) | instskip(SKIP_1) | instid1(VALU_DEP_2)
	v_cmp_lt_u32_e64 s1, 31, v15
	v_dual_cndmask_b32 v16, v16, v26, s0 :: v_dual_cndmask_b32 v17, v17, v28, s0
	v_cndmask_b32_e64 v19, 0, 0xffffffe0, s1
	s_delay_alu instid0(VALU_DEP_1) | instskip(NEXT) | instid1(VALU_DEP_1)
	v_add_nc_u32_e32 v15, v19, v15
	v_cmp_lt_u32_e64 s2, 31, v15
	s_delay_alu instid0(VALU_DEP_1) | instskip(NEXT) | instid1(VALU_DEP_1)
	v_cndmask_b32_e64 v19, 0, 0xffffffe0, s2
	v_dual_cndmask_b32 v23, v26, v22, s0 :: v_dual_add_nc_u32 v15, v19, v15
	v_cndmask_b32_e64 v19, v24, v20, s0
	v_dual_cndmask_b32 v20, v16, v21, s1 :: v_dual_cndmask_b32 v16, v17, v16, s1
	s_delay_alu instid0(VALU_DEP_3) | instskip(NEXT) | instid1(VALU_DEP_4)
	v_cndmask_b32_e64 v17, v21, v23, s1
	v_sub_nc_u32_e32 v21, 32, v15
	s_delay_alu instid0(VALU_DEP_4) | instskip(SKIP_2) | instid1(VALU_DEP_3)
	v_cndmask_b32_e64 v23, v23, v19, s1
	v_cmp_eq_u32_e64 s0, 0, v15
	v_cndmask_b32_e64 v16, v16, v20, s2
	v_dual_cndmask_b32 v20, v20, v17, s2 :: v_dual_cndmask_b32 v17, v17, v23, s2
	s_delay_alu instid0(VALU_DEP_1) | instskip(NEXT) | instid1(VALU_DEP_2)
	v_alignbit_b32 v24, v16, v20, v21
	v_alignbit_b32 v22, v20, v17, v21
	s_delay_alu instid0(VALU_DEP_2) | instskip(NEXT) | instid1(VALU_DEP_1)
	v_dual_cndmask_b32 v15, v24, v16, s0 :: v_dual_cndmask_b32 v16, v19, v18, s1
	v_bfe_u32 v19, v15, 29, 1
	s_delay_alu instid0(VALU_DEP_1) | instskip(NEXT) | instid1(VALU_DEP_1)
	v_dual_cndmask_b32 v18, v22, v20, s0 :: v_dual_sub_nc_u32 v22, 0, v19
	v_alignbit_b32 v20, v15, v18, 30
	s_delay_alu instid0(VALU_DEP_1) | instskip(NEXT) | instid1(VALU_DEP_1)
	v_dual_cndmask_b32 v16, v23, v16, s2 :: v_dual_bitop2_b32 v20, v20, v22 bitop3:0x14
	v_alignbit_b32 v21, v17, v16, v21
	s_delay_alu instid0(VALU_DEP_1) | instskip(NEXT) | instid1(VALU_DEP_3)
	v_cndmask_b32_e64 v17, v21, v17, s0
	v_clz_i32_u32_e32 v21, v20
	s_delay_alu instid0(VALU_DEP_2) | instskip(NEXT) | instid1(VALU_DEP_2)
	v_alignbit_b32 v16, v17, v16, 30
	v_min_u32_e32 v21, 32, v21
	s_delay_alu instid0(VALU_DEP_2) | instskip(SKIP_1) | instid1(VALU_DEP_1)
	v_xor_b32_e32 v16, v16, v22
	v_alignbit_b32 v18, v18, v17, 30
	v_dual_lshlrev_b32 v23, 23, v21 :: v_dual_bitop2_b32 v17, v18, v22 bitop3:0x14
	v_dual_sub_nc_u32 v18, 31, v21 :: v_dual_lshrrev_b32 v22, 29, v15
	s_delay_alu instid0(VALU_DEP_1) | instskip(SKIP_1) | instid1(VALU_DEP_3)
	v_alignbit_b32 v20, v20, v17, v18
	v_alignbit_b32 v16, v17, v16, v18
	v_lshlrev_b32_e32 v17, 31, v22
	s_delay_alu instid0(VALU_DEP_2) | instskip(NEXT) | instid1(VALU_DEP_2)
	v_alignbit_b32 v18, v20, v16, 9
	v_dual_lshrrev_b32 v20, 9, v20 :: v_dual_bitop2_b32 v22, 0.5, v17 bitop3:0x54
	s_delay_alu instid0(VALU_DEP_2) | instskip(NEXT) | instid1(VALU_DEP_2)
	v_clz_i32_u32_e32 v24, v18
	v_sub_nc_u32_e32 v22, v22, v23
	v_or_b32_e32 v17, 0x33000000, v17
	s_delay_alu instid0(VALU_DEP_3) | instskip(NEXT) | instid1(VALU_DEP_1)
	v_min_u32_e32 v23, 32, v24
	v_add_lshl_u32 v21, v23, v21, 23
	s_delay_alu instid0(VALU_DEP_4) | instskip(SKIP_1) | instid1(VALU_DEP_2)
	v_or_b32_e32 v20, v20, v22
	v_not_b32_e32 v22, v23
	v_dual_mul_f32 v24, 0x3fc90fda, v20 :: v_dual_sub_nc_u32 v17, v17, v21
	s_delay_alu instid0(VALU_DEP_2) | instskip(NEXT) | instid1(VALU_DEP_2)
	v_alignbit_b32 v16, v18, v16, v22
	v_fma_f32 v18, 0x3fc90fda, v20, -v24
	s_delay_alu instid0(VALU_DEP_2) | instskip(NEXT) | instid1(VALU_DEP_2)
	v_lshrrev_b32_e32 v16, 9, v16
	v_fmamk_f32 v18, v20, 0x33a22168, v18
	s_delay_alu instid0(VALU_DEP_2) | instskip(NEXT) | instid1(VALU_DEP_1)
	v_or_b32_e32 v16, v17, v16
	v_fmac_f32_e32 v18, 0x3fc90fda, v16
	s_delay_alu instid0(VALU_DEP_1) | instskip(NEXT) | instid1(VALU_DEP_1)
	v_dual_add_f32 v15, v24, v18 :: v_dual_lshrrev_b32 v16, 30, v15
	v_add_nc_u32_e32 v16, v19, v16
.LBB26_37:
	s_and_not1_saveexec_b32 s0, s5
; %bb.38:
	v_mul_f32_e64 v15, 0x3f22f983, |v13|
	s_delay_alu instid0(VALU_DEP_1) | instskip(NEXT) | instid1(VALU_DEP_1)
	v_rndne_f32_e32 v16, v15
	v_fma_f32 v15, 0xbfc90fda, v16, |v13|
	s_delay_alu instid0(VALU_DEP_1) | instskip(NEXT) | instid1(VALU_DEP_1)
	v_fmamk_f32 v15, v16, 0xb3a22168, v15
	v_fmamk_f32 v15, v16, 0xa7c234c4, v15
	v_cvt_i32_f32_e32 v16, v16
; %bb.39:
	s_or_b32 exec_lo, exec_lo, s0
	s_delay_alu instid0(VALU_DEP_1) | instskip(SKIP_3) | instid1(VALU_DEP_2)
	v_dual_mul_f32 v17, v15, v15 :: v_dual_bitop2_b32 v20, 1, v16 bitop3:0x40
	s_mov_b32 s0, 0xb94c1982
	s_mov_b32 s1, 0x37d75334
	v_lshlrev_b32_e32 v16, 30, v16
	v_fmaak_f32 v18, s0, v17, 0x3c0881c4
	v_cmp_eq_u32_e64 s0, 0, v20
	s_delay_alu instid0(VALU_DEP_3) | instskip(NEXT) | instid1(VALU_DEP_3)
	v_bitop3_b32 v14, v14, v16, 0x80000000 bitop3:0x78
	v_fmaak_f32 v18, v17, v18, 0xbe2aaa9d
	s_delay_alu instid0(VALU_DEP_1) | instskip(NEXT) | instid1(VALU_DEP_1)
	v_dual_fmaak_f32 v19, s1, v17, 0xbab64f3b :: v_dual_mul_f32 v18, v17, v18
	v_fmaak_f32 v19, v17, v19, 0x3d2aabf7
	s_delay_alu instid0(VALU_DEP_2) | instskip(NEXT) | instid1(VALU_DEP_2)
	v_fmac_f32_e32 v15, v15, v18
	v_fmaak_f32 v19, v17, v19, 0xbf000004
	s_delay_alu instid0(VALU_DEP_1) | instskip(NEXT) | instid1(VALU_DEP_1)
	v_fma_f32 v17, v17, v19, 1.0
	v_cndmask_b32_e64 v15, v17, v15, s0
	v_cmp_class_f32_e64 s0, v13, 0x1f8
	s_delay_alu instid0(VALU_DEP_2) | instskip(NEXT) | instid1(VALU_DEP_1)
	v_xor3_b32 v14, v14, v15, v13
	v_cndmask_b32_e64 v13, 0x7fc00000, v14, s0
	s_delay_alu instid0(VALU_DEP_1) | instskip(SKIP_1) | instid1(VALU_DEP_2)
	v_bfe_u32 v14, v13, 16, 1
	v_cmp_o_f32_e64 s0, v13, v13
	v_add3_u32 v14, v13, v14, 0x7fff
	s_delay_alu instid0(VALU_DEP_1) | instskip(NEXT) | instid1(VALU_DEP_1)
	v_lshrrev_b32_e32 v14, 16, v14
	v_cndmask_b32_e64 v14, 0x7fc0, v14, s0
.LBB26_40:
	s_or_b32 exec_lo, exec_lo, s4
	v_or_b32_e32 v13, 0x400, v5
	s_delay_alu instid0(VALU_DEP_1)
	v_cmp_lt_i32_e64 s0, v13, v4
                                        ; implicit-def: $vgpr13
	s_and_saveexec_b32 s4, s0
	s_cbranch_execz .LBB26_46
; %bb.41:
	v_and_b32_e32 v13, 0x7fffffff, v11
                                        ; implicit-def: $vgpr16
                                        ; implicit-def: $vgpr15
	s_mov_b32 s1, exec_lo
	v_cmpx_ngt_f32_e64 0x48000000, |v11|
	s_xor_b32 s5, exec_lo, s1
	s_cbranch_execz .LBB26_43
; %bb.42:
	s_mov_b32 s0, 0x7fffff
	v_mov_b32_e32 v17, 0
	v_and_or_b32 v16, v13, s0, 0x800000
	s_mov_b64 s[0:1], 0xfe5163ab
	v_lshrrev_b32_e32 v15, 23, v13
	s_delay_alu instid0(VALU_DEP_2) | instskip(NEXT) | instid1(VALU_DEP_1)
	v_mul_u64_e32 v[18:19], s[0:1], v[16:17]
	v_dual_mov_b32 v20, v19 :: v_dual_mov_b32 v21, v17
	v_dual_mov_b32 v23, v17 :: v_dual_mov_b32 v25, v17
	;; [unrolled: 1-line block ×3, first 2 shown]
	s_delay_alu instid0(VALU_DEP_3) | instskip(NEXT) | instid1(VALU_DEP_1)
	v_mad_nc_u64_u32 v[20:21], 0x3c439041, v16, v[20:21]
	v_mov_b32_e32 v22, v21
	s_delay_alu instid0(VALU_DEP_1) | instskip(NEXT) | instid1(VALU_DEP_1)
	v_mad_nc_u64_u32 v[22:23], 0xdb629599, v16, v[22:23]
	v_mov_b32_e32 v24, v23
	s_delay_alu instid0(VALU_DEP_1) | instskip(NEXT) | instid1(VALU_DEP_1)
	;; [unrolled: 3-line block ×3, first 2 shown]
	v_mad_nc_u64_u32 v[26:27], 0xfc2757d1, v16, v[26:27]
	v_dual_mov_b32 v29, v17 :: v_dual_mov_b32 v28, v27
	s_delay_alu instid0(VALU_DEP_1) | instskip(NEXT) | instid1(VALU_DEP_1)
	v_mad_nc_u64_u32 v[28:29], 0x4e441529, v16, v[28:29]
	v_dual_mov_b32 v30, v29 :: v_dual_add_nc_u32 v15, 0xffffff88, v15
	s_delay_alu instid0(VALU_DEP_1) | instskip(NEXT) | instid1(VALU_DEP_2)
	v_cmp_lt_u32_e64 s0, 63, v15
	v_mad_nc_u64_u32 v[16:17], 0xa2f9836e, v16, v[30:31]
	s_delay_alu instid0(VALU_DEP_2) | instskip(SKIP_1) | instid1(VALU_DEP_2)
	v_cndmask_b32_e64 v19, 0, 0xffffffc0, s0
	v_dual_cndmask_b32 v21, v28, v24, s0 :: v_dual_cndmask_b32 v18, v22, v18, s0
	v_add_nc_u32_e32 v15, v19, v15
	s_delay_alu instid0(VALU_DEP_1) | instskip(SKIP_1) | instid1(VALU_DEP_2)
	v_cmp_lt_u32_e64 s1, 31, v15
	v_dual_cndmask_b32 v16, v16, v26, s0 :: v_dual_cndmask_b32 v17, v17, v28, s0
	v_cndmask_b32_e64 v19, 0, 0xffffffe0, s1
	s_delay_alu instid0(VALU_DEP_1) | instskip(NEXT) | instid1(VALU_DEP_1)
	v_add_nc_u32_e32 v15, v19, v15
	v_cmp_lt_u32_e64 s2, 31, v15
	s_delay_alu instid0(VALU_DEP_1) | instskip(NEXT) | instid1(VALU_DEP_1)
	v_cndmask_b32_e64 v19, 0, 0xffffffe0, s2
	v_dual_cndmask_b32 v23, v26, v22, s0 :: v_dual_add_nc_u32 v15, v19, v15
	v_cndmask_b32_e64 v19, v24, v20, s0
	v_dual_cndmask_b32 v20, v16, v21, s1 :: v_dual_cndmask_b32 v16, v17, v16, s1
	s_delay_alu instid0(VALU_DEP_3) | instskip(NEXT) | instid1(VALU_DEP_4)
	v_cndmask_b32_e64 v17, v21, v23, s1
	v_sub_nc_u32_e32 v21, 32, v15
	s_delay_alu instid0(VALU_DEP_4) | instskip(SKIP_2) | instid1(VALU_DEP_3)
	v_cndmask_b32_e64 v23, v23, v19, s1
	v_cmp_eq_u32_e64 s0, 0, v15
	v_cndmask_b32_e64 v16, v16, v20, s2
	v_dual_cndmask_b32 v20, v20, v17, s2 :: v_dual_cndmask_b32 v17, v17, v23, s2
	s_delay_alu instid0(VALU_DEP_1) | instskip(NEXT) | instid1(VALU_DEP_2)
	v_alignbit_b32 v24, v16, v20, v21
	v_alignbit_b32 v22, v20, v17, v21
	s_delay_alu instid0(VALU_DEP_2) | instskip(NEXT) | instid1(VALU_DEP_1)
	v_dual_cndmask_b32 v15, v24, v16, s0 :: v_dual_cndmask_b32 v16, v19, v18, s1
	v_bfe_u32 v19, v15, 29, 1
	s_delay_alu instid0(VALU_DEP_1) | instskip(NEXT) | instid1(VALU_DEP_1)
	v_dual_cndmask_b32 v18, v22, v20, s0 :: v_dual_sub_nc_u32 v22, 0, v19
	v_alignbit_b32 v20, v15, v18, 30
	s_delay_alu instid0(VALU_DEP_1) | instskip(NEXT) | instid1(VALU_DEP_1)
	v_dual_cndmask_b32 v16, v23, v16, s2 :: v_dual_bitop2_b32 v20, v20, v22 bitop3:0x14
	v_alignbit_b32 v21, v17, v16, v21
	s_delay_alu instid0(VALU_DEP_1) | instskip(NEXT) | instid1(VALU_DEP_3)
	v_cndmask_b32_e64 v17, v21, v17, s0
	v_clz_i32_u32_e32 v21, v20
	s_delay_alu instid0(VALU_DEP_2) | instskip(NEXT) | instid1(VALU_DEP_2)
	v_alignbit_b32 v16, v17, v16, 30
	v_min_u32_e32 v21, 32, v21
	s_delay_alu instid0(VALU_DEP_2) | instskip(SKIP_1) | instid1(VALU_DEP_1)
	v_xor_b32_e32 v16, v16, v22
	v_alignbit_b32 v18, v18, v17, 30
	v_dual_lshlrev_b32 v23, 23, v21 :: v_dual_bitop2_b32 v17, v18, v22 bitop3:0x14
	v_dual_sub_nc_u32 v18, 31, v21 :: v_dual_lshrrev_b32 v22, 29, v15
	s_delay_alu instid0(VALU_DEP_1) | instskip(SKIP_1) | instid1(VALU_DEP_3)
	v_alignbit_b32 v20, v20, v17, v18
	v_alignbit_b32 v16, v17, v16, v18
	v_lshlrev_b32_e32 v17, 31, v22
	s_delay_alu instid0(VALU_DEP_2) | instskip(NEXT) | instid1(VALU_DEP_2)
	v_alignbit_b32 v18, v20, v16, 9
	v_dual_lshrrev_b32 v20, 9, v20 :: v_dual_bitop2_b32 v22, 0.5, v17 bitop3:0x54
	s_delay_alu instid0(VALU_DEP_2) | instskip(NEXT) | instid1(VALU_DEP_2)
	v_clz_i32_u32_e32 v24, v18
	v_sub_nc_u32_e32 v22, v22, v23
	v_or_b32_e32 v17, 0x33000000, v17
	s_delay_alu instid0(VALU_DEP_3) | instskip(NEXT) | instid1(VALU_DEP_1)
	v_min_u32_e32 v23, 32, v24
	v_add_lshl_u32 v21, v23, v21, 23
	s_delay_alu instid0(VALU_DEP_4) | instskip(SKIP_1) | instid1(VALU_DEP_2)
	v_or_b32_e32 v20, v20, v22
	v_not_b32_e32 v22, v23
	v_dual_mul_f32 v24, 0x3fc90fda, v20 :: v_dual_sub_nc_u32 v17, v17, v21
	s_delay_alu instid0(VALU_DEP_2) | instskip(NEXT) | instid1(VALU_DEP_2)
	v_alignbit_b32 v16, v18, v16, v22
	v_fma_f32 v18, 0x3fc90fda, v20, -v24
	s_delay_alu instid0(VALU_DEP_2) | instskip(NEXT) | instid1(VALU_DEP_2)
	v_lshrrev_b32_e32 v16, 9, v16
	v_fmamk_f32 v18, v20, 0x33a22168, v18
	s_delay_alu instid0(VALU_DEP_2) | instskip(NEXT) | instid1(VALU_DEP_1)
	v_or_b32_e32 v16, v17, v16
	v_fmac_f32_e32 v18, 0x3fc90fda, v16
	s_delay_alu instid0(VALU_DEP_1) | instskip(NEXT) | instid1(VALU_DEP_1)
	v_dual_add_f32 v15, v24, v18 :: v_dual_lshrrev_b32 v16, 30, v15
	v_add_nc_u32_e32 v16, v19, v16
.LBB26_43:
	s_and_not1_saveexec_b32 s0, s5
; %bb.44:
	v_mul_f32_e64 v15, 0x3f22f983, |v11|
	s_delay_alu instid0(VALU_DEP_1) | instskip(NEXT) | instid1(VALU_DEP_1)
	v_rndne_f32_e32 v16, v15
	v_fma_f32 v15, 0xbfc90fda, v16, |v11|
	s_delay_alu instid0(VALU_DEP_1) | instskip(NEXT) | instid1(VALU_DEP_1)
	v_fmamk_f32 v15, v16, 0xb3a22168, v15
	v_fmamk_f32 v15, v16, 0xa7c234c4, v15
	v_cvt_i32_f32_e32 v16, v16
; %bb.45:
	s_or_b32 exec_lo, exec_lo, s0
	s_delay_alu instid0(VALU_DEP_1) | instskip(SKIP_3) | instid1(VALU_DEP_2)
	v_dual_mul_f32 v17, v15, v15 :: v_dual_bitop2_b32 v20, 1, v16 bitop3:0x40
	s_mov_b32 s0, 0xb94c1982
	s_mov_b32 s1, 0x37d75334
	v_lshlrev_b32_e32 v16, 30, v16
	v_fmaak_f32 v18, s0, v17, 0x3c0881c4
	v_cmp_eq_u32_e64 s0, 0, v20
	s_delay_alu instid0(VALU_DEP_3) | instskip(NEXT) | instid1(VALU_DEP_3)
	v_bitop3_b32 v13, v13, v16, 0x80000000 bitop3:0x78
	v_fmaak_f32 v18, v17, v18, 0xbe2aaa9d
	s_delay_alu instid0(VALU_DEP_1) | instskip(NEXT) | instid1(VALU_DEP_1)
	v_dual_fmaak_f32 v19, s1, v17, 0xbab64f3b :: v_dual_mul_f32 v18, v17, v18
	v_fmaak_f32 v19, v17, v19, 0x3d2aabf7
	s_delay_alu instid0(VALU_DEP_2) | instskip(NEXT) | instid1(VALU_DEP_2)
	v_fmac_f32_e32 v15, v15, v18
	v_fmaak_f32 v19, v17, v19, 0xbf000004
	s_delay_alu instid0(VALU_DEP_1) | instskip(NEXT) | instid1(VALU_DEP_1)
	v_fma_f32 v17, v17, v19, 1.0
	v_cndmask_b32_e64 v15, v17, v15, s0
	v_cmp_class_f32_e64 s0, v11, 0x1f8
	s_delay_alu instid0(VALU_DEP_2) | instskip(NEXT) | instid1(VALU_DEP_1)
	v_xor3_b32 v13, v13, v15, v11
	v_cndmask_b32_e64 v11, 0x7fc00000, v13, s0
	s_delay_alu instid0(VALU_DEP_1) | instskip(SKIP_1) | instid1(VALU_DEP_2)
	v_bfe_u32 v13, v11, 16, 1
	v_cmp_o_f32_e64 s0, v11, v11
	v_add3_u32 v13, v11, v13, 0x7fff
	s_delay_alu instid0(VALU_DEP_1) | instskip(NEXT) | instid1(VALU_DEP_1)
	v_lshrrev_b32_e32 v13, 16, v13
	v_cndmask_b32_e64 v13, 0x7fc0, v13, s0
.LBB26_46:
	s_or_b32 exec_lo, exec_lo, s4
	v_add_nc_u32_e32 v11, 0x500, v5
	s_delay_alu instid0(VALU_DEP_1)
	v_cmp_lt_i32_e64 s0, v11, v4
                                        ; implicit-def: $vgpr11
	s_and_saveexec_b32 s4, s0
	s_cbranch_execz .LBB26_52
; %bb.47:
	v_and_b32_e32 v11, 0x7fffffff, v10
                                        ; implicit-def: $vgpr16
                                        ; implicit-def: $vgpr15
	s_mov_b32 s1, exec_lo
	v_cmpx_ngt_f32_e64 0x48000000, |v10|
	s_xor_b32 s5, exec_lo, s1
	s_cbranch_execz .LBB26_49
; %bb.48:
	s_mov_b32 s0, 0x7fffff
	v_mov_b32_e32 v17, 0
	v_and_or_b32 v16, v11, s0, 0x800000
	s_mov_b64 s[0:1], 0xfe5163ab
	v_lshrrev_b32_e32 v15, 23, v11
	s_delay_alu instid0(VALU_DEP_2) | instskip(NEXT) | instid1(VALU_DEP_1)
	v_mul_u64_e32 v[18:19], s[0:1], v[16:17]
	v_dual_mov_b32 v20, v19 :: v_dual_mov_b32 v21, v17
	v_dual_mov_b32 v23, v17 :: v_dual_mov_b32 v25, v17
	;; [unrolled: 1-line block ×3, first 2 shown]
	s_delay_alu instid0(VALU_DEP_3) | instskip(NEXT) | instid1(VALU_DEP_1)
	v_mad_nc_u64_u32 v[20:21], 0x3c439041, v16, v[20:21]
	v_mov_b32_e32 v22, v21
	s_delay_alu instid0(VALU_DEP_1) | instskip(NEXT) | instid1(VALU_DEP_1)
	v_mad_nc_u64_u32 v[22:23], 0xdb629599, v16, v[22:23]
	v_mov_b32_e32 v24, v23
	s_delay_alu instid0(VALU_DEP_1) | instskip(NEXT) | instid1(VALU_DEP_1)
	;; [unrolled: 3-line block ×3, first 2 shown]
	v_mad_nc_u64_u32 v[26:27], 0xfc2757d1, v16, v[26:27]
	v_dual_mov_b32 v29, v17 :: v_dual_mov_b32 v28, v27
	s_delay_alu instid0(VALU_DEP_1) | instskip(NEXT) | instid1(VALU_DEP_1)
	v_mad_nc_u64_u32 v[28:29], 0x4e441529, v16, v[28:29]
	v_dual_mov_b32 v30, v29 :: v_dual_add_nc_u32 v15, 0xffffff88, v15
	s_delay_alu instid0(VALU_DEP_1) | instskip(NEXT) | instid1(VALU_DEP_2)
	v_cmp_lt_u32_e64 s0, 63, v15
	v_mad_nc_u64_u32 v[16:17], 0xa2f9836e, v16, v[30:31]
	s_delay_alu instid0(VALU_DEP_2) | instskip(SKIP_1) | instid1(VALU_DEP_2)
	v_cndmask_b32_e64 v19, 0, 0xffffffc0, s0
	v_dual_cndmask_b32 v21, v28, v24, s0 :: v_dual_cndmask_b32 v18, v22, v18, s0
	v_add_nc_u32_e32 v15, v19, v15
	s_delay_alu instid0(VALU_DEP_1) | instskip(SKIP_1) | instid1(VALU_DEP_2)
	v_cmp_lt_u32_e64 s1, 31, v15
	v_dual_cndmask_b32 v16, v16, v26, s0 :: v_dual_cndmask_b32 v17, v17, v28, s0
	v_cndmask_b32_e64 v19, 0, 0xffffffe0, s1
	s_delay_alu instid0(VALU_DEP_1) | instskip(NEXT) | instid1(VALU_DEP_1)
	v_add_nc_u32_e32 v15, v19, v15
	v_cmp_lt_u32_e64 s2, 31, v15
	s_delay_alu instid0(VALU_DEP_1) | instskip(NEXT) | instid1(VALU_DEP_1)
	v_cndmask_b32_e64 v19, 0, 0xffffffe0, s2
	v_dual_cndmask_b32 v23, v26, v22, s0 :: v_dual_add_nc_u32 v15, v19, v15
	v_cndmask_b32_e64 v19, v24, v20, s0
	v_dual_cndmask_b32 v20, v16, v21, s1 :: v_dual_cndmask_b32 v16, v17, v16, s1
	s_delay_alu instid0(VALU_DEP_3) | instskip(NEXT) | instid1(VALU_DEP_4)
	v_cndmask_b32_e64 v17, v21, v23, s1
	v_sub_nc_u32_e32 v21, 32, v15
	s_delay_alu instid0(VALU_DEP_4) | instskip(SKIP_2) | instid1(VALU_DEP_3)
	v_cndmask_b32_e64 v23, v23, v19, s1
	v_cmp_eq_u32_e64 s0, 0, v15
	v_cndmask_b32_e64 v16, v16, v20, s2
	v_dual_cndmask_b32 v20, v20, v17, s2 :: v_dual_cndmask_b32 v17, v17, v23, s2
	s_delay_alu instid0(VALU_DEP_1) | instskip(NEXT) | instid1(VALU_DEP_2)
	v_alignbit_b32 v24, v16, v20, v21
	v_alignbit_b32 v22, v20, v17, v21
	s_delay_alu instid0(VALU_DEP_2) | instskip(NEXT) | instid1(VALU_DEP_1)
	v_dual_cndmask_b32 v15, v24, v16, s0 :: v_dual_cndmask_b32 v16, v19, v18, s1
	v_bfe_u32 v19, v15, 29, 1
	s_delay_alu instid0(VALU_DEP_1) | instskip(NEXT) | instid1(VALU_DEP_1)
	v_dual_cndmask_b32 v18, v22, v20, s0 :: v_dual_sub_nc_u32 v22, 0, v19
	v_alignbit_b32 v20, v15, v18, 30
	s_delay_alu instid0(VALU_DEP_1) | instskip(NEXT) | instid1(VALU_DEP_1)
	v_dual_cndmask_b32 v16, v23, v16, s2 :: v_dual_bitop2_b32 v20, v20, v22 bitop3:0x14
	v_alignbit_b32 v21, v17, v16, v21
	s_delay_alu instid0(VALU_DEP_1) | instskip(NEXT) | instid1(VALU_DEP_3)
	v_cndmask_b32_e64 v17, v21, v17, s0
	v_clz_i32_u32_e32 v21, v20
	s_delay_alu instid0(VALU_DEP_2) | instskip(NEXT) | instid1(VALU_DEP_2)
	v_alignbit_b32 v16, v17, v16, 30
	v_min_u32_e32 v21, 32, v21
	s_delay_alu instid0(VALU_DEP_2) | instskip(SKIP_1) | instid1(VALU_DEP_1)
	v_xor_b32_e32 v16, v16, v22
	v_alignbit_b32 v18, v18, v17, 30
	v_dual_lshlrev_b32 v23, 23, v21 :: v_dual_bitop2_b32 v17, v18, v22 bitop3:0x14
	v_dual_sub_nc_u32 v18, 31, v21 :: v_dual_lshrrev_b32 v22, 29, v15
	s_delay_alu instid0(VALU_DEP_1) | instskip(SKIP_1) | instid1(VALU_DEP_3)
	v_alignbit_b32 v20, v20, v17, v18
	v_alignbit_b32 v16, v17, v16, v18
	v_lshlrev_b32_e32 v17, 31, v22
	s_delay_alu instid0(VALU_DEP_2) | instskip(NEXT) | instid1(VALU_DEP_2)
	v_alignbit_b32 v18, v20, v16, 9
	v_dual_lshrrev_b32 v20, 9, v20 :: v_dual_bitop2_b32 v22, 0.5, v17 bitop3:0x54
	s_delay_alu instid0(VALU_DEP_2) | instskip(NEXT) | instid1(VALU_DEP_2)
	v_clz_i32_u32_e32 v24, v18
	v_sub_nc_u32_e32 v22, v22, v23
	v_or_b32_e32 v17, 0x33000000, v17
	s_delay_alu instid0(VALU_DEP_3) | instskip(NEXT) | instid1(VALU_DEP_1)
	v_min_u32_e32 v23, 32, v24
	v_add_lshl_u32 v21, v23, v21, 23
	s_delay_alu instid0(VALU_DEP_4) | instskip(SKIP_1) | instid1(VALU_DEP_2)
	v_or_b32_e32 v20, v20, v22
	v_not_b32_e32 v22, v23
	v_dual_mul_f32 v24, 0x3fc90fda, v20 :: v_dual_sub_nc_u32 v17, v17, v21
	s_delay_alu instid0(VALU_DEP_2) | instskip(NEXT) | instid1(VALU_DEP_2)
	v_alignbit_b32 v16, v18, v16, v22
	v_fma_f32 v18, 0x3fc90fda, v20, -v24
	s_delay_alu instid0(VALU_DEP_2) | instskip(NEXT) | instid1(VALU_DEP_2)
	v_lshrrev_b32_e32 v16, 9, v16
	v_fmamk_f32 v18, v20, 0x33a22168, v18
	s_delay_alu instid0(VALU_DEP_2) | instskip(NEXT) | instid1(VALU_DEP_1)
	v_or_b32_e32 v16, v17, v16
	v_fmac_f32_e32 v18, 0x3fc90fda, v16
	s_delay_alu instid0(VALU_DEP_1) | instskip(NEXT) | instid1(VALU_DEP_1)
	v_dual_add_f32 v15, v24, v18 :: v_dual_lshrrev_b32 v16, 30, v15
	v_add_nc_u32_e32 v16, v19, v16
.LBB26_49:
	s_and_not1_saveexec_b32 s0, s5
; %bb.50:
	v_mul_f32_e64 v15, 0x3f22f983, |v10|
	s_delay_alu instid0(VALU_DEP_1) | instskip(NEXT) | instid1(VALU_DEP_1)
	v_rndne_f32_e32 v16, v15
	v_fma_f32 v15, 0xbfc90fda, v16, |v10|
	s_delay_alu instid0(VALU_DEP_1) | instskip(NEXT) | instid1(VALU_DEP_1)
	v_fmamk_f32 v15, v16, 0xb3a22168, v15
	v_fmamk_f32 v15, v16, 0xa7c234c4, v15
	v_cvt_i32_f32_e32 v16, v16
; %bb.51:
	s_or_b32 exec_lo, exec_lo, s0
	s_delay_alu instid0(VALU_DEP_1) | instskip(SKIP_3) | instid1(VALU_DEP_2)
	v_dual_mul_f32 v17, v15, v15 :: v_dual_bitop2_b32 v20, 1, v16 bitop3:0x40
	s_mov_b32 s0, 0xb94c1982
	s_mov_b32 s1, 0x37d75334
	v_lshlrev_b32_e32 v16, 30, v16
	v_fmaak_f32 v18, s0, v17, 0x3c0881c4
	v_cmp_eq_u32_e64 s0, 0, v20
	s_delay_alu instid0(VALU_DEP_3) | instskip(NEXT) | instid1(VALU_DEP_3)
	v_bitop3_b32 v11, v11, v16, 0x80000000 bitop3:0x78
	v_fmaak_f32 v18, v17, v18, 0xbe2aaa9d
	s_delay_alu instid0(VALU_DEP_1) | instskip(NEXT) | instid1(VALU_DEP_1)
	v_dual_fmaak_f32 v19, s1, v17, 0xbab64f3b :: v_dual_mul_f32 v18, v17, v18
	v_fmaak_f32 v19, v17, v19, 0x3d2aabf7
	s_delay_alu instid0(VALU_DEP_2) | instskip(NEXT) | instid1(VALU_DEP_2)
	v_fmac_f32_e32 v15, v15, v18
	v_fmaak_f32 v19, v17, v19, 0xbf000004
	s_delay_alu instid0(VALU_DEP_1) | instskip(NEXT) | instid1(VALU_DEP_1)
	v_fma_f32 v17, v17, v19, 1.0
	v_cndmask_b32_e64 v15, v17, v15, s0
	v_cmp_class_f32_e64 s0, v10, 0x1f8
	s_delay_alu instid0(VALU_DEP_2) | instskip(NEXT) | instid1(VALU_DEP_1)
	v_xor3_b32 v11, v11, v15, v10
	v_cndmask_b32_e64 v10, 0x7fc00000, v11, s0
	s_delay_alu instid0(VALU_DEP_1) | instskip(SKIP_1) | instid1(VALU_DEP_2)
	v_bfe_u32 v11, v10, 16, 1
	v_cmp_o_f32_e64 s0, v10, v10
	v_add3_u32 v11, v10, v11, 0x7fff
	s_delay_alu instid0(VALU_DEP_1) | instskip(NEXT) | instid1(VALU_DEP_1)
	v_lshrrev_b32_e32 v11, 16, v11
	v_cndmask_b32_e64 v11, 0x7fc0, v11, s0
.LBB26_52:
	s_or_b32 exec_lo, exec_lo, s4
	v_add_nc_u32_e32 v10, 0x600, v5
	s_delay_alu instid0(VALU_DEP_1)
	v_cmp_lt_i32_e64 s0, v10, v4
                                        ; implicit-def: $vgpr10
	s_and_saveexec_b32 s4, s0
	s_cbranch_execz .LBB26_58
; %bb.53:
	v_and_b32_e32 v10, 0x7fffffff, v9
                                        ; implicit-def: $vgpr16
                                        ; implicit-def: $vgpr15
	s_mov_b32 s1, exec_lo
	v_cmpx_ngt_f32_e64 0x48000000, |v9|
	s_xor_b32 s5, exec_lo, s1
	s_cbranch_execz .LBB26_55
; %bb.54:
	s_mov_b32 s0, 0x7fffff
	v_mov_b32_e32 v17, 0
	v_and_or_b32 v16, v10, s0, 0x800000
	s_mov_b64 s[0:1], 0xfe5163ab
	v_lshrrev_b32_e32 v15, 23, v10
	s_delay_alu instid0(VALU_DEP_2) | instskip(NEXT) | instid1(VALU_DEP_1)
	v_mul_u64_e32 v[18:19], s[0:1], v[16:17]
	v_dual_mov_b32 v20, v19 :: v_dual_mov_b32 v21, v17
	v_dual_mov_b32 v23, v17 :: v_dual_mov_b32 v25, v17
	v_dual_mov_b32 v27, v17 :: v_dual_mov_b32 v31, v17
	s_delay_alu instid0(VALU_DEP_3) | instskip(NEXT) | instid1(VALU_DEP_1)
	v_mad_nc_u64_u32 v[20:21], 0x3c439041, v16, v[20:21]
	v_mov_b32_e32 v22, v21
	s_delay_alu instid0(VALU_DEP_1) | instskip(NEXT) | instid1(VALU_DEP_1)
	v_mad_nc_u64_u32 v[22:23], 0xdb629599, v16, v[22:23]
	v_mov_b32_e32 v24, v23
	s_delay_alu instid0(VALU_DEP_1) | instskip(NEXT) | instid1(VALU_DEP_1)
	;; [unrolled: 3-line block ×3, first 2 shown]
	v_mad_nc_u64_u32 v[26:27], 0xfc2757d1, v16, v[26:27]
	v_dual_mov_b32 v29, v17 :: v_dual_mov_b32 v28, v27
	s_delay_alu instid0(VALU_DEP_1) | instskip(NEXT) | instid1(VALU_DEP_1)
	v_mad_nc_u64_u32 v[28:29], 0x4e441529, v16, v[28:29]
	v_dual_mov_b32 v30, v29 :: v_dual_add_nc_u32 v15, 0xffffff88, v15
	s_delay_alu instid0(VALU_DEP_1) | instskip(NEXT) | instid1(VALU_DEP_2)
	v_cmp_lt_u32_e64 s0, 63, v15
	v_mad_nc_u64_u32 v[16:17], 0xa2f9836e, v16, v[30:31]
	s_delay_alu instid0(VALU_DEP_2) | instskip(SKIP_1) | instid1(VALU_DEP_2)
	v_cndmask_b32_e64 v19, 0, 0xffffffc0, s0
	v_dual_cndmask_b32 v21, v28, v24, s0 :: v_dual_cndmask_b32 v18, v22, v18, s0
	v_add_nc_u32_e32 v15, v19, v15
	s_delay_alu instid0(VALU_DEP_1) | instskip(SKIP_1) | instid1(VALU_DEP_2)
	v_cmp_lt_u32_e64 s1, 31, v15
	v_dual_cndmask_b32 v16, v16, v26, s0 :: v_dual_cndmask_b32 v17, v17, v28, s0
	v_cndmask_b32_e64 v19, 0, 0xffffffe0, s1
	s_delay_alu instid0(VALU_DEP_1) | instskip(NEXT) | instid1(VALU_DEP_1)
	v_add_nc_u32_e32 v15, v19, v15
	v_cmp_lt_u32_e64 s2, 31, v15
	s_delay_alu instid0(VALU_DEP_1) | instskip(NEXT) | instid1(VALU_DEP_1)
	v_cndmask_b32_e64 v19, 0, 0xffffffe0, s2
	v_dual_cndmask_b32 v23, v26, v22, s0 :: v_dual_add_nc_u32 v15, v19, v15
	v_cndmask_b32_e64 v19, v24, v20, s0
	v_dual_cndmask_b32 v20, v16, v21, s1 :: v_dual_cndmask_b32 v16, v17, v16, s1
	s_delay_alu instid0(VALU_DEP_3) | instskip(NEXT) | instid1(VALU_DEP_4)
	v_cndmask_b32_e64 v17, v21, v23, s1
	v_sub_nc_u32_e32 v21, 32, v15
	s_delay_alu instid0(VALU_DEP_4) | instskip(SKIP_2) | instid1(VALU_DEP_3)
	v_cndmask_b32_e64 v23, v23, v19, s1
	v_cmp_eq_u32_e64 s0, 0, v15
	v_cndmask_b32_e64 v16, v16, v20, s2
	v_dual_cndmask_b32 v20, v20, v17, s2 :: v_dual_cndmask_b32 v17, v17, v23, s2
	s_delay_alu instid0(VALU_DEP_1) | instskip(NEXT) | instid1(VALU_DEP_2)
	v_alignbit_b32 v24, v16, v20, v21
	v_alignbit_b32 v22, v20, v17, v21
	s_delay_alu instid0(VALU_DEP_2) | instskip(NEXT) | instid1(VALU_DEP_1)
	v_dual_cndmask_b32 v15, v24, v16, s0 :: v_dual_cndmask_b32 v16, v19, v18, s1
	v_bfe_u32 v19, v15, 29, 1
	s_delay_alu instid0(VALU_DEP_1) | instskip(NEXT) | instid1(VALU_DEP_1)
	v_dual_cndmask_b32 v18, v22, v20, s0 :: v_dual_sub_nc_u32 v22, 0, v19
	v_alignbit_b32 v20, v15, v18, 30
	s_delay_alu instid0(VALU_DEP_1) | instskip(NEXT) | instid1(VALU_DEP_1)
	v_dual_cndmask_b32 v16, v23, v16, s2 :: v_dual_bitop2_b32 v20, v20, v22 bitop3:0x14
	v_alignbit_b32 v21, v17, v16, v21
	s_delay_alu instid0(VALU_DEP_1) | instskip(NEXT) | instid1(VALU_DEP_3)
	v_cndmask_b32_e64 v17, v21, v17, s0
	v_clz_i32_u32_e32 v21, v20
	s_delay_alu instid0(VALU_DEP_2) | instskip(NEXT) | instid1(VALU_DEP_2)
	v_alignbit_b32 v16, v17, v16, 30
	v_min_u32_e32 v21, 32, v21
	s_delay_alu instid0(VALU_DEP_2) | instskip(SKIP_1) | instid1(VALU_DEP_1)
	v_xor_b32_e32 v16, v16, v22
	v_alignbit_b32 v18, v18, v17, 30
	v_dual_lshlrev_b32 v23, 23, v21 :: v_dual_bitop2_b32 v17, v18, v22 bitop3:0x14
	v_dual_sub_nc_u32 v18, 31, v21 :: v_dual_lshrrev_b32 v22, 29, v15
	s_delay_alu instid0(VALU_DEP_1) | instskip(SKIP_1) | instid1(VALU_DEP_3)
	v_alignbit_b32 v20, v20, v17, v18
	v_alignbit_b32 v16, v17, v16, v18
	v_lshlrev_b32_e32 v17, 31, v22
	s_delay_alu instid0(VALU_DEP_2) | instskip(NEXT) | instid1(VALU_DEP_2)
	v_alignbit_b32 v18, v20, v16, 9
	v_dual_lshrrev_b32 v20, 9, v20 :: v_dual_bitop2_b32 v22, 0.5, v17 bitop3:0x54
	s_delay_alu instid0(VALU_DEP_2) | instskip(NEXT) | instid1(VALU_DEP_2)
	v_clz_i32_u32_e32 v24, v18
	v_sub_nc_u32_e32 v22, v22, v23
	v_or_b32_e32 v17, 0x33000000, v17
	s_delay_alu instid0(VALU_DEP_3) | instskip(NEXT) | instid1(VALU_DEP_1)
	v_min_u32_e32 v23, 32, v24
	v_add_lshl_u32 v21, v23, v21, 23
	s_delay_alu instid0(VALU_DEP_4) | instskip(SKIP_1) | instid1(VALU_DEP_2)
	v_or_b32_e32 v20, v20, v22
	v_not_b32_e32 v22, v23
	v_dual_mul_f32 v24, 0x3fc90fda, v20 :: v_dual_sub_nc_u32 v17, v17, v21
	s_delay_alu instid0(VALU_DEP_2) | instskip(NEXT) | instid1(VALU_DEP_2)
	v_alignbit_b32 v16, v18, v16, v22
	v_fma_f32 v18, 0x3fc90fda, v20, -v24
	s_delay_alu instid0(VALU_DEP_2) | instskip(NEXT) | instid1(VALU_DEP_2)
	v_lshrrev_b32_e32 v16, 9, v16
	v_fmamk_f32 v18, v20, 0x33a22168, v18
	s_delay_alu instid0(VALU_DEP_2) | instskip(NEXT) | instid1(VALU_DEP_1)
	v_or_b32_e32 v16, v17, v16
	v_fmac_f32_e32 v18, 0x3fc90fda, v16
	s_delay_alu instid0(VALU_DEP_1) | instskip(NEXT) | instid1(VALU_DEP_1)
	v_dual_add_f32 v15, v24, v18 :: v_dual_lshrrev_b32 v16, 30, v15
	v_add_nc_u32_e32 v16, v19, v16
.LBB26_55:
	s_and_not1_saveexec_b32 s0, s5
; %bb.56:
	v_mul_f32_e64 v15, 0x3f22f983, |v9|
	s_delay_alu instid0(VALU_DEP_1) | instskip(NEXT) | instid1(VALU_DEP_1)
	v_rndne_f32_e32 v16, v15
	v_fma_f32 v15, 0xbfc90fda, v16, |v9|
	s_delay_alu instid0(VALU_DEP_1) | instskip(NEXT) | instid1(VALU_DEP_1)
	v_fmamk_f32 v15, v16, 0xb3a22168, v15
	v_fmamk_f32 v15, v16, 0xa7c234c4, v15
	v_cvt_i32_f32_e32 v16, v16
; %bb.57:
	s_or_b32 exec_lo, exec_lo, s0
	s_delay_alu instid0(VALU_DEP_1) | instskip(SKIP_3) | instid1(VALU_DEP_2)
	v_dual_mul_f32 v17, v15, v15 :: v_dual_bitop2_b32 v20, 1, v16 bitop3:0x40
	s_mov_b32 s0, 0xb94c1982
	s_mov_b32 s1, 0x37d75334
	v_lshlrev_b32_e32 v16, 30, v16
	v_fmaak_f32 v18, s0, v17, 0x3c0881c4
	v_cmp_eq_u32_e64 s0, 0, v20
	s_delay_alu instid0(VALU_DEP_3) | instskip(NEXT) | instid1(VALU_DEP_3)
	v_bitop3_b32 v10, v10, v16, 0x80000000 bitop3:0x78
	v_fmaak_f32 v18, v17, v18, 0xbe2aaa9d
	s_delay_alu instid0(VALU_DEP_1) | instskip(NEXT) | instid1(VALU_DEP_1)
	v_dual_fmaak_f32 v19, s1, v17, 0xbab64f3b :: v_dual_mul_f32 v18, v17, v18
	v_fmaak_f32 v19, v17, v19, 0x3d2aabf7
	s_delay_alu instid0(VALU_DEP_2) | instskip(NEXT) | instid1(VALU_DEP_2)
	v_fmac_f32_e32 v15, v15, v18
	v_fmaak_f32 v19, v17, v19, 0xbf000004
	s_delay_alu instid0(VALU_DEP_1) | instskip(NEXT) | instid1(VALU_DEP_1)
	v_fma_f32 v17, v17, v19, 1.0
	v_cndmask_b32_e64 v15, v17, v15, s0
	v_cmp_class_f32_e64 s0, v9, 0x1f8
	s_delay_alu instid0(VALU_DEP_2) | instskip(NEXT) | instid1(VALU_DEP_1)
	v_xor3_b32 v10, v10, v15, v9
	v_cndmask_b32_e64 v9, 0x7fc00000, v10, s0
	s_delay_alu instid0(VALU_DEP_1) | instskip(SKIP_1) | instid1(VALU_DEP_2)
	v_bfe_u32 v10, v9, 16, 1
	v_cmp_o_f32_e64 s0, v9, v9
	v_add3_u32 v10, v9, v10, 0x7fff
	s_delay_alu instid0(VALU_DEP_1) | instskip(NEXT) | instid1(VALU_DEP_1)
	v_lshrrev_b32_e32 v10, 16, v10
	v_cndmask_b32_e64 v10, 0x7fc0, v10, s0
.LBB26_58:
	s_or_b32 exec_lo, exec_lo, s4
	v_add_nc_u32_e32 v9, 0x700, v5
	s_delay_alu instid0(VALU_DEP_1)
	v_cmp_lt_i32_e64 s0, v9, v4
                                        ; implicit-def: $vgpr9
	s_and_saveexec_b32 s4, s0
	s_cbranch_execz .LBB26_72
; %bb.59:
	v_and_b32_e32 v9, 0x7fffffff, v7
                                        ; implicit-def: $vgpr16
                                        ; implicit-def: $vgpr15
	s_mov_b32 s1, exec_lo
	v_cmpx_ngt_f32_e64 0x48000000, |v7|
	s_xor_b32 s5, exec_lo, s1
	s_cbranch_execz .LBB26_61
; %bb.60:
	s_mov_b32 s0, 0x7fffff
	v_mov_b32_e32 v17, 0
	v_and_or_b32 v16, v9, s0, 0x800000
	s_mov_b64 s[0:1], 0xfe5163ab
	v_lshrrev_b32_e32 v15, 23, v9
	s_delay_alu instid0(VALU_DEP_2) | instskip(NEXT) | instid1(VALU_DEP_1)
	v_mul_u64_e32 v[18:19], s[0:1], v[16:17]
	v_dual_mov_b32 v20, v19 :: v_dual_mov_b32 v21, v17
	v_dual_mov_b32 v23, v17 :: v_dual_mov_b32 v25, v17
	;; [unrolled: 1-line block ×3, first 2 shown]
	s_delay_alu instid0(VALU_DEP_3) | instskip(NEXT) | instid1(VALU_DEP_1)
	v_mad_nc_u64_u32 v[20:21], 0x3c439041, v16, v[20:21]
	v_mov_b32_e32 v22, v21
	s_delay_alu instid0(VALU_DEP_1) | instskip(NEXT) | instid1(VALU_DEP_1)
	v_mad_nc_u64_u32 v[22:23], 0xdb629599, v16, v[22:23]
	v_mov_b32_e32 v24, v23
	s_delay_alu instid0(VALU_DEP_1) | instskip(NEXT) | instid1(VALU_DEP_1)
	;; [unrolled: 3-line block ×3, first 2 shown]
	v_mad_nc_u64_u32 v[26:27], 0xfc2757d1, v16, v[26:27]
	v_dual_mov_b32 v29, v17 :: v_dual_mov_b32 v28, v27
	s_delay_alu instid0(VALU_DEP_1) | instskip(NEXT) | instid1(VALU_DEP_1)
	v_mad_nc_u64_u32 v[28:29], 0x4e441529, v16, v[28:29]
	v_dual_mov_b32 v30, v29 :: v_dual_add_nc_u32 v15, 0xffffff88, v15
	s_delay_alu instid0(VALU_DEP_1) | instskip(NEXT) | instid1(VALU_DEP_2)
	v_cmp_lt_u32_e64 s0, 63, v15
	v_mad_nc_u64_u32 v[16:17], 0xa2f9836e, v16, v[30:31]
	s_delay_alu instid0(VALU_DEP_2) | instskip(SKIP_1) | instid1(VALU_DEP_2)
	v_cndmask_b32_e64 v19, 0, 0xffffffc0, s0
	v_dual_cndmask_b32 v21, v28, v24, s0 :: v_dual_cndmask_b32 v18, v22, v18, s0
	v_add_nc_u32_e32 v15, v19, v15
	s_delay_alu instid0(VALU_DEP_1) | instskip(SKIP_1) | instid1(VALU_DEP_2)
	v_cmp_lt_u32_e64 s1, 31, v15
	v_dual_cndmask_b32 v16, v16, v26, s0 :: v_dual_cndmask_b32 v17, v17, v28, s0
	v_cndmask_b32_e64 v19, 0, 0xffffffe0, s1
	s_delay_alu instid0(VALU_DEP_1) | instskip(NEXT) | instid1(VALU_DEP_1)
	v_add_nc_u32_e32 v15, v19, v15
	v_cmp_lt_u32_e64 s2, 31, v15
	s_delay_alu instid0(VALU_DEP_1) | instskip(NEXT) | instid1(VALU_DEP_1)
	v_cndmask_b32_e64 v19, 0, 0xffffffe0, s2
	v_dual_cndmask_b32 v23, v26, v22, s0 :: v_dual_add_nc_u32 v15, v19, v15
	v_cndmask_b32_e64 v19, v24, v20, s0
	v_dual_cndmask_b32 v20, v16, v21, s1 :: v_dual_cndmask_b32 v16, v17, v16, s1
	s_delay_alu instid0(VALU_DEP_3) | instskip(NEXT) | instid1(VALU_DEP_4)
	v_cndmask_b32_e64 v17, v21, v23, s1
	v_sub_nc_u32_e32 v21, 32, v15
	s_delay_alu instid0(VALU_DEP_4) | instskip(SKIP_2) | instid1(VALU_DEP_3)
	v_cndmask_b32_e64 v23, v23, v19, s1
	v_cmp_eq_u32_e64 s0, 0, v15
	v_cndmask_b32_e64 v16, v16, v20, s2
	v_dual_cndmask_b32 v20, v20, v17, s2 :: v_dual_cndmask_b32 v17, v17, v23, s2
	s_delay_alu instid0(VALU_DEP_1) | instskip(NEXT) | instid1(VALU_DEP_2)
	v_alignbit_b32 v24, v16, v20, v21
	v_alignbit_b32 v22, v20, v17, v21
	s_delay_alu instid0(VALU_DEP_2) | instskip(NEXT) | instid1(VALU_DEP_1)
	v_dual_cndmask_b32 v15, v24, v16, s0 :: v_dual_cndmask_b32 v16, v19, v18, s1
	v_bfe_u32 v19, v15, 29, 1
	s_delay_alu instid0(VALU_DEP_1) | instskip(NEXT) | instid1(VALU_DEP_1)
	v_dual_cndmask_b32 v18, v22, v20, s0 :: v_dual_sub_nc_u32 v22, 0, v19
	v_alignbit_b32 v20, v15, v18, 30
	s_delay_alu instid0(VALU_DEP_1) | instskip(NEXT) | instid1(VALU_DEP_1)
	v_dual_cndmask_b32 v16, v23, v16, s2 :: v_dual_bitop2_b32 v20, v20, v22 bitop3:0x14
	v_alignbit_b32 v21, v17, v16, v21
	s_delay_alu instid0(VALU_DEP_1) | instskip(NEXT) | instid1(VALU_DEP_3)
	v_cndmask_b32_e64 v17, v21, v17, s0
	v_clz_i32_u32_e32 v21, v20
	s_delay_alu instid0(VALU_DEP_2) | instskip(NEXT) | instid1(VALU_DEP_2)
	v_alignbit_b32 v16, v17, v16, 30
	v_min_u32_e32 v21, 32, v21
	s_delay_alu instid0(VALU_DEP_2) | instskip(SKIP_1) | instid1(VALU_DEP_1)
	v_xor_b32_e32 v16, v16, v22
	v_alignbit_b32 v18, v18, v17, 30
	v_dual_lshlrev_b32 v23, 23, v21 :: v_dual_bitop2_b32 v17, v18, v22 bitop3:0x14
	v_dual_sub_nc_u32 v18, 31, v21 :: v_dual_lshrrev_b32 v22, 29, v15
	s_delay_alu instid0(VALU_DEP_1) | instskip(SKIP_1) | instid1(VALU_DEP_3)
	v_alignbit_b32 v20, v20, v17, v18
	v_alignbit_b32 v16, v17, v16, v18
	v_lshlrev_b32_e32 v17, 31, v22
	s_delay_alu instid0(VALU_DEP_2) | instskip(NEXT) | instid1(VALU_DEP_2)
	v_alignbit_b32 v18, v20, v16, 9
	v_dual_lshrrev_b32 v20, 9, v20 :: v_dual_bitop2_b32 v22, 0.5, v17 bitop3:0x54
	s_delay_alu instid0(VALU_DEP_2) | instskip(NEXT) | instid1(VALU_DEP_2)
	v_clz_i32_u32_e32 v24, v18
	v_sub_nc_u32_e32 v22, v22, v23
	v_or_b32_e32 v17, 0x33000000, v17
	s_delay_alu instid0(VALU_DEP_3) | instskip(NEXT) | instid1(VALU_DEP_1)
	v_min_u32_e32 v23, 32, v24
	v_add_lshl_u32 v21, v23, v21, 23
	s_delay_alu instid0(VALU_DEP_4) | instskip(SKIP_1) | instid1(VALU_DEP_2)
	v_or_b32_e32 v20, v20, v22
	v_not_b32_e32 v22, v23
	v_dual_mul_f32 v24, 0x3fc90fda, v20 :: v_dual_sub_nc_u32 v17, v17, v21
	s_delay_alu instid0(VALU_DEP_2) | instskip(NEXT) | instid1(VALU_DEP_2)
	v_alignbit_b32 v16, v18, v16, v22
	v_fma_f32 v18, 0x3fc90fda, v20, -v24
	s_delay_alu instid0(VALU_DEP_2) | instskip(NEXT) | instid1(VALU_DEP_2)
	v_lshrrev_b32_e32 v16, 9, v16
	v_fmamk_f32 v18, v20, 0x33a22168, v18
	s_delay_alu instid0(VALU_DEP_2) | instskip(NEXT) | instid1(VALU_DEP_1)
	v_or_b32_e32 v16, v17, v16
	v_fmac_f32_e32 v18, 0x3fc90fda, v16
	s_delay_alu instid0(VALU_DEP_1) | instskip(NEXT) | instid1(VALU_DEP_1)
	v_dual_add_f32 v15, v24, v18 :: v_dual_lshrrev_b32 v16, 30, v15
	v_add_nc_u32_e32 v16, v19, v16
.LBB26_61:
	s_and_not1_saveexec_b32 s0, s5
; %bb.62:
	v_mul_f32_e64 v15, 0x3f22f983, |v7|
	s_delay_alu instid0(VALU_DEP_1) | instskip(NEXT) | instid1(VALU_DEP_1)
	v_rndne_f32_e32 v16, v15
	v_fma_f32 v15, 0xbfc90fda, v16, |v7|
	s_delay_alu instid0(VALU_DEP_1) | instskip(NEXT) | instid1(VALU_DEP_1)
	v_fmamk_f32 v15, v16, 0xb3a22168, v15
	v_fmamk_f32 v15, v16, 0xa7c234c4, v15
	v_cvt_i32_f32_e32 v16, v16
; %bb.63:
	s_or_b32 exec_lo, exec_lo, s0
	s_delay_alu instid0(VALU_DEP_1) | instskip(SKIP_3) | instid1(VALU_DEP_2)
	v_dual_mul_f32 v17, v15, v15 :: v_dual_bitop2_b32 v20, 1, v16 bitop3:0x40
	s_mov_b32 s0, 0xb94c1982
	s_mov_b32 s1, 0x37d75334
	v_lshlrev_b32_e32 v16, 30, v16
	v_fmaak_f32 v18, s0, v17, 0x3c0881c4
	v_cmp_eq_u32_e64 s0, 0, v20
	s_delay_alu instid0(VALU_DEP_3) | instskip(NEXT) | instid1(VALU_DEP_3)
	v_bitop3_b32 v9, v9, v16, 0x80000000 bitop3:0x78
	v_fmaak_f32 v18, v17, v18, 0xbe2aaa9d
	s_delay_alu instid0(VALU_DEP_1) | instskip(NEXT) | instid1(VALU_DEP_1)
	v_dual_fmaak_f32 v19, s1, v17, 0xbab64f3b :: v_dual_mul_f32 v18, v17, v18
	v_fmaak_f32 v19, v17, v19, 0x3d2aabf7
	s_delay_alu instid0(VALU_DEP_2) | instskip(NEXT) | instid1(VALU_DEP_2)
	v_fmac_f32_e32 v15, v15, v18
	v_fmaak_f32 v19, v17, v19, 0xbf000004
	s_delay_alu instid0(VALU_DEP_1) | instskip(NEXT) | instid1(VALU_DEP_1)
	v_fma_f32 v17, v17, v19, 1.0
	v_cndmask_b32_e64 v15, v17, v15, s0
	v_cmp_class_f32_e64 s0, v7, 0x1f8
	s_delay_alu instid0(VALU_DEP_2) | instskip(NEXT) | instid1(VALU_DEP_1)
	v_xor3_b32 v9, v9, v15, v7
	v_cndmask_b32_e64 v7, 0x7fc00000, v9, s0
	s_delay_alu instid0(VALU_DEP_1) | instskip(SKIP_1) | instid1(VALU_DEP_2)
	v_bfe_u32 v9, v7, 16, 1
	v_cmp_o_f32_e64 s0, v7, v7
	v_add3_u32 v9, v7, v9, 0x7fff
	s_delay_alu instid0(VALU_DEP_1) | instskip(NEXT) | instid1(VALU_DEP_1)
	v_lshrrev_b32_e32 v9, 16, v9
	v_cndmask_b32_e64 v9, 0x7fc0, v9, s0
	s_or_b32 exec_lo, exec_lo, s4
	s_and_saveexec_b32 s0, vcc_lo
	s_delay_alu instid0(SALU_CYCLE_1)
	s_xor_b32 s0, exec_lo, s0
	s_cbranch_execnz .LBB26_73
.LBB26_64:
	s_or_b32 exec_lo, exec_lo, s0
	s_delay_alu instid0(SALU_CYCLE_1)
	s_mov_b32 s0, exec_lo
	v_cmpx_lt_i32_e64 v5, v4
	s_cbranch_execz .LBB26_74
.LBB26_65:
	v_dual_mov_b32 v7, 0 :: v_dual_add_nc_u32 v6, s3, v5
	v_add_nc_u32_e32 v5, 0x100, v5
	s_delay_alu instid0(VALU_DEP_2) | instskip(SKIP_3) | instid1(SALU_CYCLE_1)
	v_lshl_add_u64 v[6:7], v[6:7], 1, v[0:1]
	flat_store_b16 v[6:7], v3
	s_wait_xcnt 0x0
	s_or_b32 exec_lo, exec_lo, s0
	s_mov_b32 s0, exec_lo
	v_cmpx_lt_i32_e64 v5, v4
	s_cbranch_execnz .LBB26_75
.LBB26_66:
	s_or_b32 exec_lo, exec_lo, s0
	s_delay_alu instid0(SALU_CYCLE_1)
	s_mov_b32 s0, exec_lo
	v_cmpx_lt_i32_e64 v5, v4
	s_cbranch_execz .LBB26_76
.LBB26_67:
	v_dual_mov_b32 v3, 0 :: v_dual_add_nc_u32 v2, s3, v5
	v_add_nc_u32_e32 v5, 0x100, v5
	s_delay_alu instid0(VALU_DEP_2) | instskip(SKIP_3) | instid1(SALU_CYCLE_1)
	v_lshl_add_u64 v[2:3], v[2:3], 1, v[0:1]
	flat_store_b16 v[2:3], v14
	s_wait_xcnt 0x0
	s_or_b32 exec_lo, exec_lo, s0
	s_mov_b32 s0, exec_lo
	v_cmpx_lt_i32_e64 v5, v4
	s_cbranch_execnz .LBB26_77
.LBB26_68:
	s_or_b32 exec_lo, exec_lo, s0
	s_delay_alu instid0(SALU_CYCLE_1)
	s_mov_b32 s0, exec_lo
	v_cmpx_lt_i32_e64 v5, v4
	s_cbranch_execz .LBB26_78
.LBB26_69:
	v_dual_mov_b32 v3, 0 :: v_dual_add_nc_u32 v2, s3, v5
	v_add_nc_u32_e32 v5, 0x100, v5
	s_delay_alu instid0(VALU_DEP_2) | instskip(SKIP_3) | instid1(SALU_CYCLE_1)
	v_lshl_add_u64 v[2:3], v[2:3], 1, v[0:1]
	flat_store_b16 v[2:3], v11
	s_wait_xcnt 0x0
	s_or_b32 exec_lo, exec_lo, s0
	s_mov_b32 s0, exec_lo
	v_cmpx_lt_i32_e64 v5, v4
	s_cbranch_execnz .LBB26_79
.LBB26_70:
	s_or_b32 exec_lo, exec_lo, s0
	s_delay_alu instid0(SALU_CYCLE_1)
	s_mov_b32 s0, exec_lo
	v_cmpx_lt_i32_e64 v5, v4
	s_cbranch_execz .LBB26_80
.LBB26_71:
	v_dual_mov_b32 v3, 0 :: v_dual_add_nc_u32 v2, s3, v5
	s_delay_alu instid0(VALU_DEP_1)
	v_lshl_add_u64 v[0:1], v[2:3], 1, v[0:1]
	flat_store_b16 v[0:1], v9
	s_wait_xcnt 0x0
	s_or_b32 exec_lo, exec_lo, s0
	s_wait_dscnt 0x0
	s_set_pc_i64 s[30:31]
.LBB26_72:
	s_or_b32 exec_lo, exec_lo, s4
	s_and_saveexec_b32 s0, vcc_lo
	s_delay_alu instid0(SALU_CYCLE_1)
	s_xor_b32 s0, exec_lo, s0
	s_cbranch_execz .LBB26_64
.LBB26_73:
	v_dual_mov_b32 v7, 0 :: v_dual_mov_b32 v5, v8
	s_delay_alu instid0(VALU_DEP_1) | instskip(SKIP_3) | instid1(SALU_CYCLE_1)
	v_lshl_add_u64 v[6:7], v[6:7], 1, v[0:1]
	flat_store_b16 v[6:7], v2
	s_wait_xcnt 0x0
	s_or_b32 exec_lo, exec_lo, s0
	s_mov_b32 s0, exec_lo
	v_cmpx_lt_i32_e64 v5, v4
	s_cbranch_execnz .LBB26_65
.LBB26_74:
	s_or_b32 exec_lo, exec_lo, s0
	s_delay_alu instid0(SALU_CYCLE_1)
	s_mov_b32 s0, exec_lo
	v_cmpx_lt_i32_e64 v5, v4
	s_cbranch_execz .LBB26_66
.LBB26_75:
	v_dual_mov_b32 v3, 0 :: v_dual_add_nc_u32 v2, s3, v5
	v_add_nc_u32_e32 v5, 0x100, v5
	s_delay_alu instid0(VALU_DEP_2) | instskip(SKIP_3) | instid1(SALU_CYCLE_1)
	v_lshl_add_u64 v[2:3], v[2:3], 1, v[0:1]
	flat_store_b16 v[2:3], v12
	s_wait_xcnt 0x0
	s_or_b32 exec_lo, exec_lo, s0
	s_mov_b32 s0, exec_lo
	v_cmpx_lt_i32_e64 v5, v4
	s_cbranch_execnz .LBB26_67
.LBB26_76:
	s_or_b32 exec_lo, exec_lo, s0
	s_delay_alu instid0(SALU_CYCLE_1)
	s_mov_b32 s0, exec_lo
	v_cmpx_lt_i32_e64 v5, v4
	s_cbranch_execz .LBB26_68
.LBB26_77:
	v_dual_mov_b32 v3, 0 :: v_dual_add_nc_u32 v2, s3, v5
	v_add_nc_u32_e32 v5, 0x100, v5
	s_delay_alu instid0(VALU_DEP_2) | instskip(SKIP_3) | instid1(SALU_CYCLE_1)
	v_lshl_add_u64 v[2:3], v[2:3], 1, v[0:1]
	flat_store_b16 v[2:3], v13
	s_wait_xcnt 0x0
	s_or_b32 exec_lo, exec_lo, s0
	s_mov_b32 s0, exec_lo
	v_cmpx_lt_i32_e64 v5, v4
	s_cbranch_execnz .LBB26_69
.LBB26_78:
	s_or_b32 exec_lo, exec_lo, s0
	s_delay_alu instid0(SALU_CYCLE_1)
	s_mov_b32 s0, exec_lo
	v_cmpx_lt_i32_e64 v5, v4
	s_cbranch_execz .LBB26_70
.LBB26_79:
	v_dual_mov_b32 v3, 0 :: v_dual_add_nc_u32 v2, s3, v5
	v_add_nc_u32_e32 v5, 0x100, v5
	s_delay_alu instid0(VALU_DEP_2) | instskip(SKIP_3) | instid1(SALU_CYCLE_1)
	v_lshl_add_u64 v[2:3], v[2:3], 1, v[0:1]
	flat_store_b16 v[2:3], v10
	s_wait_xcnt 0x0
	s_or_b32 exec_lo, exec_lo, s0
	s_mov_b32 s0, exec_lo
	v_cmpx_lt_i32_e64 v5, v4
	s_cbranch_execnz .LBB26_71
.LBB26_80:
	s_or_b32 exec_lo, exec_lo, s0
	s_wait_dscnt 0x0
	s_set_pc_i64 s[30:31]
.Lfunc_end26:
	.size	_ZN2at6native25elementwise_kernel_helperILb0EZZZNS0_15sin_kernel_cudaERNS_18TensorIteratorBaseEENKUlvE0_clEvENKUlvE2_clEvEUlN3c108BFloat16EE_NS0_6memory8policies11unroll_baseILi256ESt5arrayIPcLm2EE23TrivialOffsetCalculatorILi1EjESG_NS9_15LoadWithoutCastENS9_16StoreWithoutCastELi8ELi1EEEEEvT0_T1_, .Lfunc_end26-_ZN2at6native25elementwise_kernel_helperILb0EZZZNS0_15sin_kernel_cudaERNS_18TensorIteratorBaseEENKUlvE0_clEvENKUlvE2_clEvEUlN3c108BFloat16EE_NS0_6memory8policies11unroll_baseILi256ESt5arrayIPcLm2EE23TrivialOffsetCalculatorILi1EjESG_NS9_15LoadWithoutCastENS9_16StoreWithoutCastELi8ELi1EEEEEvT0_T1_
                                        ; -- End function
	.set .L_ZN2at6native25elementwise_kernel_helperILb0EZZZNS0_15sin_kernel_cudaERNS_18TensorIteratorBaseEENKUlvE0_clEvENKUlvE2_clEvEUlN3c108BFloat16EE_NS0_6memory8policies11unroll_baseILi256ESt5arrayIPcLm2EE23TrivialOffsetCalculatorILi1EjESG_NS9_15LoadWithoutCastENS9_16StoreWithoutCastELi8ELi1EEEEEvT0_T1_.num_vgpr, 32
	.set .L_ZN2at6native25elementwise_kernel_helperILb0EZZZNS0_15sin_kernel_cudaERNS_18TensorIteratorBaseEENKUlvE0_clEvENKUlvE2_clEvEUlN3c108BFloat16EE_NS0_6memory8policies11unroll_baseILi256ESt5arrayIPcLm2EE23TrivialOffsetCalculatorILi1EjESG_NS9_15LoadWithoutCastENS9_16StoreWithoutCastELi8ELi1EEEEEvT0_T1_.num_agpr, 0
	.set .L_ZN2at6native25elementwise_kernel_helperILb0EZZZNS0_15sin_kernel_cudaERNS_18TensorIteratorBaseEENKUlvE0_clEvENKUlvE2_clEvEUlN3c108BFloat16EE_NS0_6memory8policies11unroll_baseILi256ESt5arrayIPcLm2EE23TrivialOffsetCalculatorILi1EjESG_NS9_15LoadWithoutCastENS9_16StoreWithoutCastELi8ELi1EEEEEvT0_T1_.numbered_sgpr, 32
	.set .L_ZN2at6native25elementwise_kernel_helperILb0EZZZNS0_15sin_kernel_cudaERNS_18TensorIteratorBaseEENKUlvE0_clEvENKUlvE2_clEvEUlN3c108BFloat16EE_NS0_6memory8policies11unroll_baseILi256ESt5arrayIPcLm2EE23TrivialOffsetCalculatorILi1EjESG_NS9_15LoadWithoutCastENS9_16StoreWithoutCastELi8ELi1EEEEEvT0_T1_.num_named_barrier, 0
	.set .L_ZN2at6native25elementwise_kernel_helperILb0EZZZNS0_15sin_kernel_cudaERNS_18TensorIteratorBaseEENKUlvE0_clEvENKUlvE2_clEvEUlN3c108BFloat16EE_NS0_6memory8policies11unroll_baseILi256ESt5arrayIPcLm2EE23TrivialOffsetCalculatorILi1EjESG_NS9_15LoadWithoutCastENS9_16StoreWithoutCastELi8ELi1EEEEEvT0_T1_.private_seg_size, 0
	.set .L_ZN2at6native25elementwise_kernel_helperILb0EZZZNS0_15sin_kernel_cudaERNS_18TensorIteratorBaseEENKUlvE0_clEvENKUlvE2_clEvEUlN3c108BFloat16EE_NS0_6memory8policies11unroll_baseILi256ESt5arrayIPcLm2EE23TrivialOffsetCalculatorILi1EjESG_NS9_15LoadWithoutCastENS9_16StoreWithoutCastELi8ELi1EEEEEvT0_T1_.uses_vcc, 1
	.set .L_ZN2at6native25elementwise_kernel_helperILb0EZZZNS0_15sin_kernel_cudaERNS_18TensorIteratorBaseEENKUlvE0_clEvENKUlvE2_clEvEUlN3c108BFloat16EE_NS0_6memory8policies11unroll_baseILi256ESt5arrayIPcLm2EE23TrivialOffsetCalculatorILi1EjESG_NS9_15LoadWithoutCastENS9_16StoreWithoutCastELi8ELi1EEEEEvT0_T1_.uses_flat_scratch, 0
	.set .L_ZN2at6native25elementwise_kernel_helperILb0EZZZNS0_15sin_kernel_cudaERNS_18TensorIteratorBaseEENKUlvE0_clEvENKUlvE2_clEvEUlN3c108BFloat16EE_NS0_6memory8policies11unroll_baseILi256ESt5arrayIPcLm2EE23TrivialOffsetCalculatorILi1EjESG_NS9_15LoadWithoutCastENS9_16StoreWithoutCastELi8ELi1EEEEEvT0_T1_.has_dyn_sized_stack, 0
	.set .L_ZN2at6native25elementwise_kernel_helperILb0EZZZNS0_15sin_kernel_cudaERNS_18TensorIteratorBaseEENKUlvE0_clEvENKUlvE2_clEvEUlN3c108BFloat16EE_NS0_6memory8policies11unroll_baseILi256ESt5arrayIPcLm2EE23TrivialOffsetCalculatorILi1EjESG_NS9_15LoadWithoutCastENS9_16StoreWithoutCastELi8ELi1EEEEEvT0_T1_.has_recursion, 0
	.set .L_ZN2at6native25elementwise_kernel_helperILb0EZZZNS0_15sin_kernel_cudaERNS_18TensorIteratorBaseEENKUlvE0_clEvENKUlvE2_clEvEUlN3c108BFloat16EE_NS0_6memory8policies11unroll_baseILi256ESt5arrayIPcLm2EE23TrivialOffsetCalculatorILi1EjESG_NS9_15LoadWithoutCastENS9_16StoreWithoutCastELi8ELi1EEEEEvT0_T1_.has_indirect_call, 0
	.section	.AMDGPU.csdata,"",@progbits
; Function info:
; codeLenInByte = 10148
; TotalNumSgprs: 34
; NumVgprs: 32
; ScratchSize: 0
; MemoryBound: 0
	.text
	.p2align	2                               ; -- Begin function _ZN2at6native25elementwise_kernel_helperILb0EZZZNS0_15sin_kernel_cudaERNS_18TensorIteratorBaseEENKUlvE0_clEvENKUlvE2_clEvEUlN3c108BFloat16EE_NS0_6memory8policies10vectorizedILi8ESt5arrayIPcLm2EELi8EEEEEvT0_T1_
	.type	_ZN2at6native25elementwise_kernel_helperILb0EZZZNS0_15sin_kernel_cudaERNS_18TensorIteratorBaseEENKUlvE0_clEvENKUlvE2_clEvEUlN3c108BFloat16EE_NS0_6memory8policies10vectorizedILi8ESt5arrayIPcLm2EELi8EEEEEvT0_T1_,@function
_ZN2at6native25elementwise_kernel_helperILb0EZZZNS0_15sin_kernel_cudaERNS_18TensorIteratorBaseEENKUlvE0_clEvENKUlvE2_clEvEUlN3c108BFloat16EE_NS0_6memory8policies10vectorizedILi8ESt5arrayIPcLm2EELi8EEEEEvT0_T1_: ; @_ZN2at6native25elementwise_kernel_helperILb0EZZZNS0_15sin_kernel_cudaERNS_18TensorIteratorBaseEENKUlvE0_clEvENKUlvE2_clEvEUlN3c108BFloat16EE_NS0_6memory8policies10vectorizedILi8ESt5arrayIPcLm2EELi8EEEEEvT0_T1_
; %bb.0:
	s_wait_loadcnt_dscnt 0x0
	s_wait_kmcnt 0x0
	s_bfe_u32 s0, ttmp6, 0x4000c
	s_and_b32 s1, ttmp6, 15
	s_add_co_i32 s0, s0, 1
	s_getreg_b32 s2, hwreg(HW_REG_IB_STS2, 6, 4)
	s_mul_i32 s0, ttmp9, s0
	v_and_b32_e32 v4, 0x3ff, v31
	s_add_co_i32 s1, s1, s0
	s_cmp_eq_u32 s2, 0
	v_mov_b32_e32 v7, 0
	s_cselect_b32 s0, ttmp9, s1
	v_lshlrev_b32_e32 v6, 4, v4
	s_lshl_b32 s2, s0, 11
                                        ; implicit-def: $vgpr15
                                        ; implicit-def: $vgpr8
	s_mov_b32 s1, exec_lo
	s_ashr_i32 s3, s2, 31
	s_delay_alu instid0(SALU_CYCLE_1) | instskip(NEXT) | instid1(VALU_DEP_1)
	v_lshl_add_u64 v[2:3], s[2:3], 1, v[2:3]
	v_add_nc_u64_e32 v[2:3], v[2:3], v[6:7]
	flat_load_b128 v[2:5], v[2:3]
	s_wait_loadcnt_dscnt 0x0
	v_lshlrev_b32_e32 v12, 16, v2
	s_delay_alu instid0(VALU_DEP_1)
	v_and_b32_e32 v13, 0x7fffffff, v12
	s_wait_xcnt 0x0
	v_cmpx_ngt_f32_e64 0x48000000, |v12|
	s_xor_b32 s4, exec_lo, s1
	s_cbranch_execz .LBB27_2
; %bb.1:
	s_mov_b32 s0, 0x7fffff
	v_dual_mov_b32 v9, v7 :: v_dual_mov_b32 v15, v7
	v_and_or_b32 v8, v13, s0, 0x800000
	s_mov_b64 s[0:1], 0xfe5163ab
	v_dual_mov_b32 v17, v7 :: v_dual_mov_b32 v19, v7
	v_mov_b32_e32 v21, v7
	s_delay_alu instid0(VALU_DEP_3) | instskip(NEXT) | instid1(VALU_DEP_1)
	v_mul_u64_e32 v[10:11], s[0:1], v[8:9]
	v_dual_mov_b32 v14, v11 :: v_dual_lshrrev_b32 v9, 23, v13
	s_delay_alu instid0(VALU_DEP_1) | instskip(NEXT) | instid1(VALU_DEP_1)
	v_mad_nc_u64_u32 v[14:15], 0x3c439041, v8, v[14:15]
	v_mov_b32_e32 v16, v15
	s_delay_alu instid0(VALU_DEP_1) | instskip(NEXT) | instid1(VALU_DEP_1)
	v_mad_nc_u64_u32 v[16:17], 0xdb629599, v8, v[16:17]
	v_mov_b32_e32 v18, v17
	;; [unrolled: 3-line block ×3, first 2 shown]
	s_delay_alu instid0(VALU_DEP_1) | instskip(NEXT) | instid1(VALU_DEP_1)
	v_mad_nc_u64_u32 v[20:21], 0xfc2757d1, v8, v[20:21]
	v_dual_mov_b32 v23, v7 :: v_dual_mov_b32 v22, v21
	s_delay_alu instid0(VALU_DEP_1) | instskip(NEXT) | instid1(VALU_DEP_1)
	v_mad_nc_u64_u32 v[22:23], 0x4e441529, v8, v[22:23]
	v_dual_mov_b32 v24, v23 :: v_dual_add_nc_u32 v9, 0xffffff88, v9
	s_delay_alu instid0(VALU_DEP_1) | instskip(SKIP_1) | instid1(VALU_DEP_4)
	v_cmp_lt_u32_e32 vcc_lo, 63, v9
	v_cndmask_b32_e64 v11, 0, 0xffffffc0, vcc_lo
	v_cndmask_b32_e32 v15, v22, v18, vcc_lo
	s_delay_alu instid0(VALU_DEP_2) | instskip(SKIP_1) | instid1(VALU_DEP_2)
	v_dual_cndmask_b32 v10, v16, v10 :: v_dual_add_nc_u32 v11, v11, v9
	v_mov_b32_e32 v25, v7
	v_cmp_lt_u32_e64 s0, 31, v11
	s_delay_alu instid0(VALU_DEP_1) | instskip(NEXT) | instid1(VALU_DEP_1)
	v_cndmask_b32_e64 v7, 0, 0xffffffe0, s0
	v_add_nc_u32_e32 v7, v7, v11
	s_delay_alu instid0(VALU_DEP_4) | instskip(NEXT) | instid1(VALU_DEP_2)
	v_mad_nc_u64_u32 v[8:9], 0xa2f9836e, v8, v[24:25]
	v_cmp_lt_u32_e64 s1, 31, v7
	s_delay_alu instid0(VALU_DEP_1) | instskip(SKIP_1) | instid1(VALU_DEP_4)
	v_cndmask_b32_e64 v11, 0, 0xffffffe0, s1
	v_cndmask_b32_e32 v17, v20, v16, vcc_lo
	v_dual_cndmask_b32 v8, v8, v20 :: v_dual_cndmask_b32 v9, v9, v22
	s_delay_alu instid0(VALU_DEP_3) | instskip(NEXT) | instid1(VALU_DEP_2)
	v_dual_add_nc_u32 v7, v11, v7 :: v_dual_cndmask_b32 v11, v18, v14, vcc_lo
	v_dual_cndmask_b32 v14, v8, v15, s0 :: v_dual_cndmask_b32 v8, v9, v8, s0
	s_delay_alu instid0(VALU_DEP_2) | instskip(NEXT) | instid1(VALU_DEP_3)
	v_dual_cndmask_b32 v9, v15, v17, s0 :: v_dual_sub_nc_u32 v15, 32, v7
	v_cndmask_b32_e64 v17, v17, v11, s0
	v_cmp_eq_u32_e32 vcc_lo, 0, v7
	s_delay_alu instid0(VALU_DEP_3) | instskip(NEXT) | instid1(VALU_DEP_3)
	v_dual_cndmask_b32 v8, v8, v14, s1 :: v_dual_cndmask_b32 v14, v14, v9, s1
	v_cndmask_b32_e64 v9, v9, v17, s1
	s_delay_alu instid0(VALU_DEP_2) | instskip(NEXT) | instid1(VALU_DEP_2)
	v_alignbit_b32 v18, v8, v14, v15
	v_alignbit_b32 v16, v14, v9, v15
	s_delay_alu instid0(VALU_DEP_2) | instskip(NEXT) | instid1(VALU_DEP_2)
	v_dual_cndmask_b32 v7, v18, v8, vcc_lo :: v_dual_cndmask_b32 v8, v11, v10, s0
	v_cndmask_b32_e32 v10, v16, v14, vcc_lo
	s_delay_alu instid0(VALU_DEP_2) | instskip(NEXT) | instid1(VALU_DEP_3)
	v_bfe_u32 v11, v7, 29, 1
	v_cndmask_b32_e64 v8, v17, v8, s1
	s_delay_alu instid0(VALU_DEP_3) | instskip(NEXT) | instid1(VALU_DEP_2)
	v_alignbit_b32 v14, v7, v10, 30
	v_alignbit_b32 v15, v9, v8, v15
	s_delay_alu instid0(VALU_DEP_1) | instskip(NEXT) | instid1(VALU_DEP_1)
	v_dual_cndmask_b32 v9, v15, v9 :: v_dual_sub_nc_u32 v16, 0, v11
	v_xor_b32_e32 v14, v14, v16
	s_delay_alu instid0(VALU_DEP_2) | instskip(NEXT) | instid1(VALU_DEP_2)
	v_alignbit_b32 v10, v10, v9, 30
	v_clz_i32_u32_e32 v15, v14
	v_alignbit_b32 v8, v9, v8, 30
	s_delay_alu instid0(VALU_DEP_3) | instskip(NEXT) | instid1(VALU_DEP_3)
	v_xor_b32_e32 v9, v10, v16
	v_min_u32_e32 v15, 32, v15
	s_delay_alu instid0(VALU_DEP_3) | instskip(SKIP_1) | instid1(VALU_DEP_3)
	v_dual_lshrrev_b32 v16, 29, v7 :: v_dual_bitop2_b32 v8, v8, v16 bitop3:0x14
	v_lshrrev_b32_e32 v7, 30, v7
	v_dual_sub_nc_u32 v10, 31, v15 :: v_dual_lshlrev_b32 v17, 23, v15
	s_delay_alu instid0(VALU_DEP_1) | instskip(NEXT) | instid1(VALU_DEP_4)
	v_alignbit_b32 v14, v14, v9, v10
	v_alignbit_b32 v8, v9, v8, v10
	v_lshlrev_b32_e32 v9, 31, v16
	s_delay_alu instid0(VALU_DEP_2) | instskip(NEXT) | instid1(VALU_DEP_2)
	v_alignbit_b32 v10, v14, v8, 9
	v_dual_lshrrev_b32 v14, 9, v14 :: v_dual_bitop2_b32 v16, 0.5, v9 bitop3:0x54
	v_or_b32_e32 v9, 0x33000000, v9
	s_delay_alu instid0(VALU_DEP_3) | instskip(NEXT) | instid1(VALU_DEP_3)
	v_clz_i32_u32_e32 v18, v10
	v_sub_nc_u32_e32 v16, v16, v17
	s_delay_alu instid0(VALU_DEP_2) | instskip(NEXT) | instid1(VALU_DEP_1)
	v_min_u32_e32 v17, 32, v18
	v_add_lshl_u32 v15, v17, v15, 23
	s_delay_alu instid0(VALU_DEP_3) | instskip(SKIP_1) | instid1(VALU_DEP_2)
	v_or_b32_e32 v14, v14, v16
	v_not_b32_e32 v16, v17
	v_dual_mul_f32 v18, 0x3fc90fda, v14 :: v_dual_sub_nc_u32 v9, v9, v15
	s_delay_alu instid0(VALU_DEP_2) | instskip(SKIP_1) | instid1(VALU_DEP_3)
	v_alignbit_b32 v8, v10, v8, v16
	v_add_nc_u32_e32 v15, v11, v7
	v_fma_f32 v10, 0x3fc90fda, v14, -v18
	s_delay_alu instid0(VALU_DEP_3) | instskip(NEXT) | instid1(VALU_DEP_2)
	v_lshrrev_b32_e32 v8, 9, v8
	v_fmamk_f32 v10, v14, 0x33a22168, v10
	s_delay_alu instid0(VALU_DEP_2) | instskip(NEXT) | instid1(VALU_DEP_1)
	v_or_b32_e32 v8, v9, v8
	v_fmac_f32_e32 v10, 0x3fc90fda, v8
	s_delay_alu instid0(VALU_DEP_1)
	v_add_f32_e32 v8, v18, v10
.LBB27_2:
	s_and_not1_saveexec_b32 s0, s4
; %bb.3:
	v_mul_f32_e64 v7, 0x3f22f983, |v12|
	s_delay_alu instid0(VALU_DEP_1) | instskip(NEXT) | instid1(VALU_DEP_1)
	v_rndne_f32_e32 v7, v7
	v_fma_f32 v8, 0xbfc90fda, v7, |v12|
	v_cvt_i32_f32_e32 v15, v7
	s_delay_alu instid0(VALU_DEP_2) | instskip(NEXT) | instid1(VALU_DEP_1)
	v_fmamk_f32 v8, v7, 0xb3a22168, v8
	v_fmamk_f32 v8, v7, 0xa7c234c4, v8
; %bb.4:
	s_or_b32 exec_lo, exec_lo, s0
	v_and_b32_e32 v7, 0xffff0000, v2
                                        ; implicit-def: $vgpr17
	s_mov_b32 s1, exec_lo
	s_delay_alu instid0(VALU_DEP_1)
	v_and_b32_e32 v14, 0x7fffffff, v7
	v_cmpx_ngt_f32_e64 0x48000000, |v7|
	s_xor_b32 s4, exec_lo, s1
	s_cbranch_execz .LBB27_6
; %bb.5:
	s_mov_b32 s0, 0x7fffff
	v_mov_b32_e32 v11, 0
	v_and_or_b32 v10, v14, s0, 0x800000
	s_mov_b64 s[0:1], 0xfe5163ab
	v_lshrrev_b32_e32 v2, 23, v14
	s_delay_alu instid0(VALU_DEP_2) | instskip(NEXT) | instid1(VALU_DEP_1)
	v_mul_u64_e32 v[16:17], s[0:1], v[10:11]
	v_dual_mov_b32 v18, v17 :: v_dual_mov_b32 v19, v11
	v_dual_mov_b32 v21, v11 :: v_dual_mov_b32 v23, v11
	s_delay_alu instid0(VALU_DEP_4) | instskip(SKIP_1) | instid1(VALU_DEP_4)
	v_dual_mov_b32 v25, v11 :: v_dual_add_nc_u32 v2, 0xffffff88, v2
	v_mov_b32_e32 v29, v11
	v_mad_nc_u64_u32 v[18:19], 0x3c439041, v10, v[18:19]
	s_delay_alu instid0(VALU_DEP_3) | instskip(SKIP_1) | instid1(VALU_DEP_3)
	v_cmp_lt_u32_e32 vcc_lo, 63, v2
	v_cndmask_b32_e64 v9, 0, 0xffffffc0, vcc_lo
	v_mov_b32_e32 v20, v19
	s_delay_alu instid0(VALU_DEP_1) | instskip(NEXT) | instid1(VALU_DEP_1)
	v_mad_nc_u64_u32 v[20:21], 0xdb629599, v10, v[20:21]
	v_dual_mov_b32 v22, v21 :: v_dual_cndmask_b32 v16, v20, v16, vcc_lo
	s_delay_alu instid0(VALU_DEP_1) | instskip(NEXT) | instid1(VALU_DEP_1)
	v_mad_nc_u64_u32 v[22:23], 0xf534ddc0, v10, v[22:23]
	v_mov_b32_e32 v24, v23
	s_delay_alu instid0(VALU_DEP_1) | instskip(NEXT) | instid1(VALU_DEP_1)
	v_mad_nc_u64_u32 v[24:25], 0xfc2757d1, v10, v[24:25]
	v_dual_mov_b32 v27, v11 :: v_dual_mov_b32 v26, v25
	s_delay_alu instid0(VALU_DEP_2) | instskip(NEXT) | instid1(VALU_DEP_2)
	v_cndmask_b32_e32 v19, v24, v20, vcc_lo
	v_mad_nc_u64_u32 v[26:27], 0x4e441529, v10, v[26:27]
	s_delay_alu instid0(VALU_DEP_1) | instskip(NEXT) | instid1(VALU_DEP_1)
	v_dual_add_nc_u32 v2, v9, v2 :: v_dual_mov_b32 v28, v27
	v_cmp_lt_u32_e64 s0, 31, v2
	s_delay_alu instid0(VALU_DEP_3) | instskip(NEXT) | instid1(VALU_DEP_3)
	v_cndmask_b32_e32 v17, v26, v22, vcc_lo
	v_mad_nc_u64_u32 v[10:11], 0xa2f9836e, v10, v[28:29]
	s_delay_alu instid0(VALU_DEP_3) | instskip(NEXT) | instid1(VALU_DEP_1)
	v_cndmask_b32_e64 v9, 0, 0xffffffe0, s0
	v_dual_add_nc_u32 v2, v9, v2 :: v_dual_cndmask_b32 v10, v10, v24, vcc_lo
	s_delay_alu instid0(VALU_DEP_1) | instskip(NEXT) | instid1(VALU_DEP_4)
	v_cmp_lt_u32_e64 s1, 31, v2
	v_cndmask_b32_e32 v11, v11, v26, vcc_lo
	s_delay_alu instid0(VALU_DEP_2) | instskip(NEXT) | instid1(VALU_DEP_1)
	v_cndmask_b32_e64 v9, 0, 0xffffffe0, s1
	v_add_nc_u32_e32 v2, v9, v2
	v_cndmask_b32_e32 v9, v22, v18, vcc_lo
	s_delay_alu instid0(VALU_DEP_4) | instskip(NEXT) | instid1(VALU_DEP_2)
	v_dual_cndmask_b32 v18, v10, v17, s0 :: v_dual_cndmask_b32 v10, v11, v10, s0
	v_dual_cndmask_b32 v11, v17, v19, s0 :: v_dual_cndmask_b32 v19, v19, v9, s0
	s_delay_alu instid0(VALU_DEP_4) | instskip(NEXT) | instid1(VALU_DEP_3)
	v_sub_nc_u32_e32 v17, 32, v2
	v_cndmask_b32_e64 v10, v10, v18, s1
	s_delay_alu instid0(VALU_DEP_3) | instskip(SKIP_2) | instid1(VALU_DEP_3)
	v_cndmask_b32_e64 v18, v18, v11, s1
	v_cmp_eq_u32_e32 vcc_lo, 0, v2
	v_cndmask_b32_e64 v11, v11, v19, s1
	v_alignbit_b32 v21, v10, v18, v17
	s_delay_alu instid0(VALU_DEP_2) | instskip(SKIP_1) | instid1(VALU_DEP_3)
	v_alignbit_b32 v20, v18, v11, v17
	v_cndmask_b32_e64 v9, v9, v16, s0
	v_cndmask_b32_e32 v2, v21, v10, vcc_lo
	s_delay_alu instid0(VALU_DEP_2) | instskip(NEXT) | instid1(VALU_DEP_2)
	v_dual_cndmask_b32 v10, v20, v18, vcc_lo :: v_dual_cndmask_b32 v9, v19, v9, s1
	v_bfe_u32 v16, v2, 29, 1
	s_delay_alu instid0(VALU_DEP_2) | instskip(NEXT) | instid1(VALU_DEP_3)
	v_alignbit_b32 v18, v2, v10, 30
	v_alignbit_b32 v17, v11, v9, v17
	s_delay_alu instid0(VALU_DEP_1) | instskip(NEXT) | instid1(VALU_DEP_1)
	v_dual_sub_nc_u32 v19, 0, v16 :: v_dual_cndmask_b32 v11, v17, v11, vcc_lo
	v_xor_b32_e32 v18, v18, v19
	s_delay_alu instid0(VALU_DEP_2) | instskip(SKIP_1) | instid1(VALU_DEP_3)
	v_alignbit_b32 v10, v10, v11, 30
	v_alignbit_b32 v9, v11, v9, 30
	v_clz_i32_u32_e32 v17, v18
	s_delay_alu instid0(VALU_DEP_3) | instskip(NEXT) | instid1(VALU_DEP_3)
	v_xor_b32_e32 v10, v10, v19
	v_xor_b32_e32 v9, v9, v19
	s_delay_alu instid0(VALU_DEP_3) | instskip(SKIP_1) | instid1(VALU_DEP_2)
	v_min_u32_e32 v17, 32, v17
	v_dual_lshrrev_b32 v19, 29, v2 :: v_dual_lshrrev_b32 v2, 30, v2
	v_dual_sub_nc_u32 v11, 31, v17 :: v_dual_lshlrev_b32 v20, 23, v17
	s_delay_alu instid0(VALU_DEP_1) | instskip(SKIP_1) | instid1(VALU_DEP_4)
	v_alignbit_b32 v18, v18, v10, v11
	v_alignbit_b32 v9, v10, v9, v11
	v_lshlrev_b32_e32 v10, 31, v19
	s_delay_alu instid0(VALU_DEP_2) | instskip(NEXT) | instid1(VALU_DEP_2)
	v_alignbit_b32 v11, v18, v9, 9
	v_or_b32_e32 v19, 0.5, v10
	v_lshrrev_b32_e32 v18, 9, v18
	v_or_b32_e32 v10, 0x33000000, v10
	s_delay_alu instid0(VALU_DEP_4) | instskip(NEXT) | instid1(VALU_DEP_4)
	v_clz_i32_u32_e32 v21, v11
	v_sub_nc_u32_e32 v19, v19, v20
	s_delay_alu instid0(VALU_DEP_2) | instskip(NEXT) | instid1(VALU_DEP_2)
	v_min_u32_e32 v20, 32, v21
	v_or_b32_e32 v18, v18, v19
	s_delay_alu instid0(VALU_DEP_2) | instskip(SKIP_1) | instid1(VALU_DEP_2)
	v_not_b32_e32 v19, v20
	v_add_lshl_u32 v17, v20, v17, 23
	v_alignbit_b32 v9, v11, v9, v19
	s_delay_alu instid0(VALU_DEP_2) | instskip(NEXT) | instid1(VALU_DEP_2)
	v_dual_sub_nc_u32 v10, v10, v17 :: v_dual_add_nc_u32 v17, v16, v2
	v_lshrrev_b32_e32 v9, 9, v9
	v_mul_f32_e32 v21, 0x3fc90fda, v18
	s_delay_alu instid0(VALU_DEP_2) | instskip(NEXT) | instid1(VALU_DEP_2)
	v_or_b32_e32 v9, v10, v9
	v_fma_f32 v11, 0x3fc90fda, v18, -v21
	s_delay_alu instid0(VALU_DEP_1) | instskip(NEXT) | instid1(VALU_DEP_1)
	v_fmamk_f32 v11, v18, 0x33a22168, v11
	v_fmac_f32_e32 v11, 0x3fc90fda, v9
	s_delay_alu instid0(VALU_DEP_1)
	v_add_f32_e32 v9, v21, v11
.LBB27_6:
	s_and_not1_saveexec_b32 s0, s4
; %bb.7:
	v_mul_f32_e64 v2, 0x3f22f983, |v7|
	s_delay_alu instid0(VALU_DEP_1) | instskip(NEXT) | instid1(VALU_DEP_1)
	v_rndne_f32_e32 v2, v2
	v_fma_f32 v9, 0xbfc90fda, v2, |v7|
	v_cvt_i32_f32_e32 v17, v2
	s_delay_alu instid0(VALU_DEP_2) | instskip(NEXT) | instid1(VALU_DEP_1)
	v_fmamk_f32 v9, v2, 0xb3a22168, v9
	v_fmamk_f32 v9, v2, 0xa7c234c4, v9
; %bb.8:
	s_or_b32 exec_lo, exec_lo, s0
	v_lshlrev_b32_e32 v16, 16, v3
                                        ; implicit-def: $vgpr20
                                        ; implicit-def: $vgpr2
	s_mov_b32 s1, exec_lo
	s_delay_alu instid0(VALU_DEP_1)
	v_and_b32_e32 v18, 0x7fffffff, v16
	v_cmpx_ngt_f32_e64 0x48000000, |v16|
	s_xor_b32 s4, exec_lo, s1
	s_cbranch_execz .LBB27_10
; %bb.9:
	s_mov_b32 s0, 0x7fffff
	v_mov_b32_e32 v11, 0
	v_and_or_b32 v10, v18, s0, 0x800000
	s_mov_b64 s[0:1], 0xfe5163ab
	v_lshrrev_b32_e32 v2, 23, v18
	s_delay_alu instid0(VALU_DEP_2) | instskip(NEXT) | instid1(VALU_DEP_1)
	v_mul_u64_e32 v[20:21], s[0:1], v[10:11]
	v_dual_mov_b32 v22, v21 :: v_dual_mov_b32 v23, v11
	v_dual_mov_b32 v25, v11 :: v_dual_mov_b32 v27, v11
	s_delay_alu instid0(VALU_DEP_4) | instskip(SKIP_1) | instid1(VALU_DEP_4)
	v_dual_mov_b32 v29, v11 :: v_dual_add_nc_u32 v2, 0xffffff88, v2
	v_mov_b32_e32 v33, v11
	v_mad_nc_u64_u32 v[22:23], 0x3c439041, v10, v[22:23]
	s_delay_alu instid0(VALU_DEP_3) | instskip(SKIP_1) | instid1(VALU_DEP_3)
	v_cmp_lt_u32_e32 vcc_lo, 63, v2
	v_cndmask_b32_e64 v19, 0, 0xffffffc0, vcc_lo
	v_mov_b32_e32 v24, v23
	s_delay_alu instid0(VALU_DEP_1) | instskip(NEXT) | instid1(VALU_DEP_1)
	v_mad_nc_u64_u32 v[24:25], 0xdb629599, v10, v[24:25]
	v_dual_mov_b32 v26, v25 :: v_dual_cndmask_b32 v20, v24, v20, vcc_lo
	s_delay_alu instid0(VALU_DEP_1) | instskip(NEXT) | instid1(VALU_DEP_1)
	v_mad_nc_u64_u32 v[26:27], 0xf534ddc0, v10, v[26:27]
	v_mov_b32_e32 v28, v27
	s_delay_alu instid0(VALU_DEP_1) | instskip(NEXT) | instid1(VALU_DEP_1)
	v_mad_nc_u64_u32 v[28:29], 0xfc2757d1, v10, v[28:29]
	v_dual_mov_b32 v31, v11 :: v_dual_mov_b32 v30, v29
	s_delay_alu instid0(VALU_DEP_2) | instskip(NEXT) | instid1(VALU_DEP_2)
	v_cndmask_b32_e32 v23, v28, v24, vcc_lo
	v_mad_nc_u64_u32 v[30:31], 0x4e441529, v10, v[30:31]
	s_delay_alu instid0(VALU_DEP_1) | instskip(NEXT) | instid1(VALU_DEP_1)
	v_dual_mov_b32 v32, v31 :: v_dual_cndmask_b32 v21, v30, v26
	v_mad_nc_u64_u32 v[10:11], 0xa2f9836e, v10, v[32:33]
	s_delay_alu instid0(VALU_DEP_1) | instskip(NEXT) | instid1(VALU_DEP_1)
	v_dual_add_nc_u32 v2, v19, v2 :: v_dual_cndmask_b32 v10, v10, v28, vcc_lo
	v_cmp_lt_u32_e64 s0, 31, v2
	s_delay_alu instid0(VALU_DEP_3) | instskip(NEXT) | instid1(VALU_DEP_2)
	v_cndmask_b32_e32 v11, v11, v30, vcc_lo
	v_cndmask_b32_e64 v19, 0, 0xffffffe0, s0
	s_delay_alu instid0(VALU_DEP_1) | instskip(NEXT) | instid1(VALU_DEP_1)
	v_add_nc_u32_e32 v2, v19, v2
	v_cmp_lt_u32_e64 s1, 31, v2
	s_delay_alu instid0(VALU_DEP_1) | instskip(NEXT) | instid1(VALU_DEP_1)
	v_cndmask_b32_e64 v19, 0, 0xffffffe0, s1
	v_add_nc_u32_e32 v2, v19, v2
	v_cndmask_b32_e32 v19, v26, v22, vcc_lo
	v_dual_cndmask_b32 v22, v10, v21, s0 :: v_dual_cndmask_b32 v10, v11, v10, s0
	s_delay_alu instid0(VALU_DEP_3) | instskip(NEXT) | instid1(VALU_DEP_3)
	v_dual_cndmask_b32 v11, v21, v23, s0 :: v_dual_sub_nc_u32 v21, 32, v2
	v_cndmask_b32_e64 v23, v23, v19, s0
	v_cmp_eq_u32_e32 vcc_lo, 0, v2
	s_delay_alu instid0(VALU_DEP_4) | instskip(NEXT) | instid1(VALU_DEP_4)
	v_cndmask_b32_e64 v10, v10, v22, s1
	v_cndmask_b32_e64 v22, v22, v11, s1
	s_delay_alu instid0(VALU_DEP_4) | instskip(NEXT) | instid1(VALU_DEP_2)
	v_cndmask_b32_e64 v11, v11, v23, s1
	v_alignbit_b32 v25, v10, v22, v21
	s_delay_alu instid0(VALU_DEP_2) | instskip(NEXT) | instid1(VALU_DEP_2)
	v_alignbit_b32 v24, v22, v11, v21
	v_dual_cndmask_b32 v2, v25, v10, vcc_lo :: v_dual_cndmask_b32 v10, v19, v20, s0
	s_delay_alu instid0(VALU_DEP_1) | instskip(NEXT) | instid1(VALU_DEP_3)
	v_bfe_u32 v20, v2, 29, 1
	v_cndmask_b32_e32 v19, v24, v22, vcc_lo
	s_delay_alu instid0(VALU_DEP_2) | instskip(NEXT) | instid1(VALU_DEP_2)
	v_dual_cndmask_b32 v10, v23, v10, s1 :: v_dual_sub_nc_u32 v23, 0, v20
	v_alignbit_b32 v22, v2, v19, 30
	s_delay_alu instid0(VALU_DEP_1) | instskip(NEXT) | instid1(VALU_DEP_3)
	v_xor_b32_e32 v22, v22, v23
	v_alignbit_b32 v21, v11, v10, v21
	s_delay_alu instid0(VALU_DEP_1) | instskip(NEXT) | instid1(VALU_DEP_3)
	v_cndmask_b32_e32 v11, v21, v11, vcc_lo
	v_clz_i32_u32_e32 v21, v22
	s_delay_alu instid0(VALU_DEP_2) | instskip(NEXT) | instid1(VALU_DEP_2)
	v_alignbit_b32 v19, v19, v11, 30
	v_min_u32_e32 v21, 32, v21
	v_alignbit_b32 v10, v11, v10, 30
	s_delay_alu instid0(VALU_DEP_2) | instskip(NEXT) | instid1(VALU_DEP_2)
	v_dual_sub_nc_u32 v19, 31, v21 :: v_dual_bitop2_b32 v11, v19, v23 bitop3:0x14
	v_dual_lshrrev_b32 v23, 29, v2 :: v_dual_bitop2_b32 v10, v10, v23 bitop3:0x14
	v_lshlrev_b32_e32 v24, 23, v21
	s_delay_alu instid0(VALU_DEP_3) | instskip(NEXT) | instid1(VALU_DEP_3)
	v_alignbit_b32 v22, v22, v11, v19
	v_alignbit_b32 v10, v11, v10, v19
	s_delay_alu instid0(VALU_DEP_4) | instskip(NEXT) | instid1(VALU_DEP_2)
	v_lshlrev_b32_e32 v11, 31, v23
	v_alignbit_b32 v19, v22, v10, 9
	s_delay_alu instid0(VALU_DEP_2) | instskip(SKIP_1) | instid1(VALU_DEP_3)
	v_dual_lshrrev_b32 v22, 9, v22 :: v_dual_bitop2_b32 v23, 0.5, v11 bitop3:0x54
	v_or_b32_e32 v11, 0x33000000, v11
	v_clz_i32_u32_e32 v25, v19
	s_delay_alu instid0(VALU_DEP_3) | instskip(NEXT) | instid1(VALU_DEP_2)
	v_sub_nc_u32_e32 v23, v23, v24
	v_min_u32_e32 v24, 32, v25
	s_delay_alu instid0(VALU_DEP_1) | instskip(NEXT) | instid1(VALU_DEP_3)
	v_add_lshl_u32 v21, v24, v21, 23
	v_or_b32_e32 v22, v22, v23
	v_not_b32_e32 v23, v24
	s_delay_alu instid0(VALU_DEP_3) | instskip(NEXT) | instid1(VALU_DEP_3)
	v_sub_nc_u32_e32 v11, v11, v21
	v_mul_f32_e32 v25, 0x3fc90fda, v22
	s_delay_alu instid0(VALU_DEP_3) | instskip(NEXT) | instid1(VALU_DEP_2)
	v_alignbit_b32 v10, v19, v10, v23
	v_fma_f32 v19, 0x3fc90fda, v22, -v25
	s_delay_alu instid0(VALU_DEP_1) | instskip(NEXT) | instid1(VALU_DEP_1)
	v_dual_fmamk_f32 v19, v22, 0x33a22168, v19 :: v_dual_lshrrev_b32 v10, 9, v10
	v_or_b32_e32 v10, v11, v10
	s_delay_alu instid0(VALU_DEP_1) | instskip(SKIP_1) | instid1(VALU_DEP_1)
	v_fmac_f32_e32 v19, 0x3fc90fda, v10
	v_lshrrev_b32_e32 v10, 30, v2
	v_dual_add_nc_u32 v20, v20, v10 :: v_dual_add_f32 v2, v25, v19
.LBB27_10:
	s_and_not1_saveexec_b32 s0, s4
; %bb.11:
	v_mul_f32_e64 v2, 0x3f22f983, |v16|
	s_delay_alu instid0(VALU_DEP_1) | instskip(NEXT) | instid1(VALU_DEP_1)
	v_rndne_f32_e32 v10, v2
	v_fma_f32 v2, 0xbfc90fda, v10, |v16|
	v_cvt_i32_f32_e32 v20, v10
	s_delay_alu instid0(VALU_DEP_2) | instskip(NEXT) | instid1(VALU_DEP_1)
	v_fmamk_f32 v2, v10, 0xb3a22168, v2
	v_fmamk_f32 v2, v10, 0xa7c234c4, v2
; %bb.12:
	s_or_b32 exec_lo, exec_lo, s0
	v_and_b32_e32 v19, 0xffff0000, v3
                                        ; implicit-def: $vgpr24
	s_mov_b32 s1, exec_lo
	s_delay_alu instid0(VALU_DEP_1)
	v_and_b32_e32 v21, 0x7fffffff, v19
	v_cmpx_ngt_f32_e64 0x48000000, |v19|
	s_xor_b32 s4, exec_lo, s1
	s_cbranch_execz .LBB27_14
; %bb.13:
	s_mov_b32 s0, 0x7fffff
	v_mov_b32_e32 v11, 0
	v_and_or_b32 v10, v21, s0, 0x800000
	s_mov_b64 s[0:1], 0xfe5163ab
	v_lshrrev_b32_e32 v3, 23, v21
	s_delay_alu instid0(VALU_DEP_2) | instskip(NEXT) | instid1(VALU_DEP_1)
	v_mul_u64_e32 v[22:23], s[0:1], v[10:11]
	v_dual_mov_b32 v24, v23 :: v_dual_mov_b32 v25, v11
	v_dual_mov_b32 v27, v11 :: v_dual_mov_b32 v29, v11
	v_mov_b32_e32 v31, v11
	s_delay_alu instid0(VALU_DEP_3) | instskip(NEXT) | instid1(VALU_DEP_1)
	v_mad_nc_u64_u32 v[24:25], 0x3c439041, v10, v[24:25]
	v_mov_b32_e32 v26, v25
	s_delay_alu instid0(VALU_DEP_1) | instskip(NEXT) | instid1(VALU_DEP_1)
	v_mad_nc_u64_u32 v[26:27], 0xdb629599, v10, v[26:27]
	v_mov_b32_e32 v28, v27
	s_delay_alu instid0(VALU_DEP_1) | instskip(NEXT) | instid1(VALU_DEP_1)
	;; [unrolled: 3-line block ×3, first 2 shown]
	v_mad_nc_u64_u32 v[30:31], 0xfc2757d1, v10, v[30:31]
	v_dual_mov_b32 v33, v11 :: v_dual_mov_b32 v32, v31
	s_delay_alu instid0(VALU_DEP_1) | instskip(NEXT) | instid1(VALU_DEP_1)
	v_mad_nc_u64_u32 v[32:33], 0x4e441529, v10, v[32:33]
	v_dual_mov_b32 v34, v33 :: v_dual_add_nc_u32 v3, 0xffffff88, v3
	s_delay_alu instid0(VALU_DEP_1) | instskip(SKIP_2) | instid1(VALU_DEP_2)
	v_cmp_lt_u32_e32 vcc_lo, 63, v3
	v_mov_b32_e32 v35, v11
	v_cndmask_b32_e64 v23, 0, 0xffffffc0, vcc_lo
	v_mad_nc_u64_u32 v[10:11], 0xa2f9836e, v10, v[34:35]
	v_dual_cndmask_b32 v25, v32, v28, vcc_lo :: v_dual_cndmask_b32 v27, v30, v26, vcc_lo
	s_delay_alu instid0(VALU_DEP_3) | instskip(NEXT) | instid1(VALU_DEP_1)
	v_dual_cndmask_b32 v22, v26, v22 :: v_dual_add_nc_u32 v3, v23, v3
	v_cmp_lt_u32_e64 s0, 31, v3
	s_delay_alu instid0(VALU_DEP_4) | instskip(NEXT) | instid1(VALU_DEP_2)
	v_dual_cndmask_b32 v10, v10, v30 :: v_dual_cndmask_b32 v11, v11, v32
	v_cndmask_b32_e64 v23, 0, 0xffffffe0, s0
	s_delay_alu instid0(VALU_DEP_1) | instskip(NEXT) | instid1(VALU_DEP_1)
	v_add_nc_u32_e32 v3, v23, v3
	v_cmp_lt_u32_e64 s1, 31, v3
	s_delay_alu instid0(VALU_DEP_1) | instskip(NEXT) | instid1(VALU_DEP_1)
	v_cndmask_b32_e64 v23, 0, 0xffffffe0, s1
	v_dual_add_nc_u32 v3, v23, v3 :: v_dual_cndmask_b32 v23, v28, v24, vcc_lo
	v_dual_cndmask_b32 v24, v10, v25, s0 :: v_dual_cndmask_b32 v10, v11, v10, s0
	v_cndmask_b32_e64 v11, v25, v27, s0
	s_delay_alu instid0(VALU_DEP_3) | instskip(NEXT) | instid1(VALU_DEP_4)
	v_sub_nc_u32_e32 v25, 32, v3
	v_cndmask_b32_e64 v27, v27, v23, s0
	v_cmp_eq_u32_e32 vcc_lo, 0, v3
	s_delay_alu instid0(VALU_DEP_4) | instskip(NEXT) | instid1(VALU_DEP_1)
	v_dual_cndmask_b32 v10, v10, v24, s1 :: v_dual_cndmask_b32 v24, v24, v11, s1
	v_alignbit_b32 v28, v10, v24, v25
	s_delay_alu instid0(VALU_DEP_1) | instskip(SKIP_1) | instid1(VALU_DEP_2)
	v_dual_cndmask_b32 v11, v11, v27, s1 :: v_dual_cndmask_b32 v3, v28, v10, vcc_lo
	v_cndmask_b32_e64 v10, v23, v22, s0
	v_alignbit_b32 v26, v24, v11, v25
	s_delay_alu instid0(VALU_DEP_3) | instskip(NEXT) | instid1(VALU_DEP_2)
	v_bfe_u32 v23, v3, 29, 1
	v_dual_cndmask_b32 v10, v27, v10, s1 :: v_dual_cndmask_b32 v22, v26, v24, vcc_lo
	s_delay_alu instid0(VALU_DEP_2) | instskip(NEXT) | instid1(VALU_DEP_2)
	v_sub_nc_u32_e32 v26, 0, v23
	v_alignbit_b32 v25, v11, v10, v25
	s_delay_alu instid0(VALU_DEP_3) | instskip(NEXT) | instid1(VALU_DEP_1)
	v_alignbit_b32 v24, v3, v22, 30
	v_dual_cndmask_b32 v11, v25, v11, vcc_lo :: v_dual_bitop2_b32 v24, v24, v26 bitop3:0x14
	s_delay_alu instid0(VALU_DEP_1) | instskip(NEXT) | instid1(VALU_DEP_2)
	v_alignbit_b32 v22, v22, v11, 30
	v_clz_i32_u32_e32 v25, v24
	v_alignbit_b32 v10, v11, v10, 30
	s_delay_alu instid0(VALU_DEP_3) | instskip(NEXT) | instid1(VALU_DEP_3)
	v_xor_b32_e32 v11, v22, v26
	v_min_u32_e32 v25, 32, v25
	s_delay_alu instid0(VALU_DEP_1) | instskip(SKIP_1) | instid1(VALU_DEP_2)
	v_dual_sub_nc_u32 v22, 31, v25 :: v_dual_bitop2_b32 v10, v10, v26 bitop3:0x14
	v_dual_lshrrev_b32 v26, 29, v3 :: v_dual_lshlrev_b32 v27, 23, v25
	v_alignbit_b32 v24, v24, v11, v22
	s_delay_alu instid0(VALU_DEP_3) | instskip(NEXT) | instid1(VALU_DEP_3)
	v_alignbit_b32 v10, v11, v10, v22
	v_lshlrev_b32_e32 v11, 31, v26
	s_delay_alu instid0(VALU_DEP_2) | instskip(NEXT) | instid1(VALU_DEP_2)
	v_alignbit_b32 v22, v24, v10, 9
	v_dual_lshrrev_b32 v24, 9, v24 :: v_dual_bitop2_b32 v26, 0.5, v11 bitop3:0x54
	v_or_b32_e32 v11, 0x33000000, v11
	s_delay_alu instid0(VALU_DEP_3) | instskip(NEXT) | instid1(VALU_DEP_3)
	v_clz_i32_u32_e32 v28, v22
	v_sub_nc_u32_e32 v26, v26, v27
	s_delay_alu instid0(VALU_DEP_2) | instskip(NEXT) | instid1(VALU_DEP_1)
	v_min_u32_e32 v27, 32, v28
	v_add_lshl_u32 v25, v27, v25, 23
	s_delay_alu instid0(VALU_DEP_3) | instskip(SKIP_1) | instid1(VALU_DEP_2)
	v_or_b32_e32 v24, v24, v26
	v_not_b32_e32 v26, v27
	v_dual_mul_f32 v28, 0x3fc90fda, v24 :: v_dual_sub_nc_u32 v11, v11, v25
	s_delay_alu instid0(VALU_DEP_2) | instskip(NEXT) | instid1(VALU_DEP_2)
	v_alignbit_b32 v10, v22, v10, v26
	v_fma_f32 v22, 0x3fc90fda, v24, -v28
	s_delay_alu instid0(VALU_DEP_2) | instskip(NEXT) | instid1(VALU_DEP_2)
	v_lshrrev_b32_e32 v10, 9, v10
	v_fmamk_f32 v22, v24, 0x33a22168, v22
	s_delay_alu instid0(VALU_DEP_2) | instskip(NEXT) | instid1(VALU_DEP_1)
	v_or_b32_e32 v10, v11, v10
	v_fmac_f32_e32 v22, 0x3fc90fda, v10
	s_delay_alu instid0(VALU_DEP_1) | instskip(NEXT) | instid1(VALU_DEP_1)
	v_dual_add_f32 v3, v28, v22 :: v_dual_lshrrev_b32 v10, 30, v3
	v_add_nc_u32_e32 v24, v23, v10
.LBB27_14:
	s_and_not1_saveexec_b32 s0, s4
; %bb.15:
	v_mul_f32_e64 v3, 0x3f22f983, |v19|
	s_delay_alu instid0(VALU_DEP_1) | instskip(NEXT) | instid1(VALU_DEP_1)
	v_rndne_f32_e32 v10, v3
	v_fma_f32 v3, 0xbfc90fda, v10, |v19|
	v_cvt_i32_f32_e32 v24, v10
	s_delay_alu instid0(VALU_DEP_2) | instskip(NEXT) | instid1(VALU_DEP_1)
	v_fmamk_f32 v3, v10, 0xb3a22168, v3
	v_fmamk_f32 v3, v10, 0xa7c234c4, v3
; %bb.16:
	s_or_b32 exec_lo, exec_lo, s0
	v_lshlrev_b32_e32 v22, 16, v4
                                        ; implicit-def: $vgpr27
                                        ; implicit-def: $vgpr10
	s_mov_b32 s1, exec_lo
	s_delay_alu instid0(VALU_DEP_1)
	v_and_b32_e32 v23, 0x7fffffff, v22
	v_cmpx_ngt_f32_e64 0x48000000, |v22|
	s_xor_b32 s4, exec_lo, s1
	s_cbranch_execz .LBB27_18
; %bb.17:
	s_mov_b32 s0, 0x7fffff
	v_mov_b32_e32 v11, 0
	v_and_or_b32 v10, v23, s0, 0x800000
	s_mov_b64 s[0:1], 0xfe5163ab
	v_lshrrev_b32_e32 v25, 23, v23
	s_delay_alu instid0(VALU_DEP_2) | instskip(NEXT) | instid1(VALU_DEP_1)
	v_mul_u64_e32 v[26:27], s[0:1], v[10:11]
	v_dual_mov_b32 v28, v27 :: v_dual_mov_b32 v29, v11
	v_dual_mov_b32 v31, v11 :: v_dual_mov_b32 v33, v11
	v_mov_b32_e32 v35, v11
	s_delay_alu instid0(VALU_DEP_3) | instskip(NEXT) | instid1(VALU_DEP_1)
	v_mad_nc_u64_u32 v[28:29], 0x3c439041, v10, v[28:29]
	v_mov_b32_e32 v30, v29
	s_delay_alu instid0(VALU_DEP_1) | instskip(NEXT) | instid1(VALU_DEP_1)
	v_mad_nc_u64_u32 v[30:31], 0xdb629599, v10, v[30:31]
	v_mov_b32_e32 v32, v31
	s_delay_alu instid0(VALU_DEP_1) | instskip(NEXT) | instid1(VALU_DEP_1)
	;; [unrolled: 3-line block ×3, first 2 shown]
	v_mad_nc_u64_u32 v[34:35], 0xfc2757d1, v10, v[34:35]
	v_dual_mov_b32 v37, v11 :: v_dual_mov_b32 v36, v35
	s_delay_alu instid0(VALU_DEP_1) | instskip(NEXT) | instid1(VALU_DEP_1)
	v_mad_nc_u64_u32 v[36:37], 0x4e441529, v10, v[36:37]
	v_dual_mov_b32 v38, v37 :: v_dual_add_nc_u32 v25, 0xffffff88, v25
	s_delay_alu instid0(VALU_DEP_1) | instskip(SKIP_2) | instid1(VALU_DEP_2)
	v_cmp_lt_u32_e32 vcc_lo, 63, v25
	v_mov_b32_e32 v39, v11
	v_cndmask_b32_e64 v27, 0, 0xffffffc0, vcc_lo
	v_mad_nc_u64_u32 v[10:11], 0xa2f9836e, v10, v[38:39]
	v_dual_cndmask_b32 v29, v36, v32, vcc_lo :: v_dual_cndmask_b32 v31, v34, v30, vcc_lo
	s_delay_alu instid0(VALU_DEP_3) | instskip(NEXT) | instid1(VALU_DEP_1)
	v_dual_cndmask_b32 v26, v30, v26 :: v_dual_add_nc_u32 v25, v27, v25
	v_cmp_lt_u32_e64 s0, 31, v25
	s_delay_alu instid0(VALU_DEP_4) | instskip(NEXT) | instid1(VALU_DEP_2)
	v_dual_cndmask_b32 v10, v10, v34 :: v_dual_cndmask_b32 v11, v11, v36
	v_cndmask_b32_e64 v27, 0, 0xffffffe0, s0
	s_delay_alu instid0(VALU_DEP_1) | instskip(NEXT) | instid1(VALU_DEP_1)
	v_add_nc_u32_e32 v25, v27, v25
	v_cmp_lt_u32_e64 s1, 31, v25
	s_delay_alu instid0(VALU_DEP_1) | instskip(NEXT) | instid1(VALU_DEP_1)
	v_cndmask_b32_e64 v27, 0, 0xffffffe0, s1
	v_dual_add_nc_u32 v25, v27, v25 :: v_dual_cndmask_b32 v27, v32, v28, vcc_lo
	v_dual_cndmask_b32 v28, v10, v29, s0 :: v_dual_cndmask_b32 v10, v11, v10, s0
	s_delay_alu instid0(VALU_DEP_2) | instskip(NEXT) | instid1(VALU_DEP_3)
	v_dual_cndmask_b32 v11, v29, v31, s0 :: v_dual_sub_nc_u32 v29, 32, v25
	v_cndmask_b32_e64 v31, v31, v27, s0
	v_cmp_eq_u32_e32 vcc_lo, 0, v25
	s_delay_alu instid0(VALU_DEP_3) | instskip(SKIP_1) | instid1(VALU_DEP_4)
	v_dual_cndmask_b32 v10, v10, v28, s1 :: v_dual_cndmask_b32 v28, v28, v11, s1
	v_cndmask_b32_e64 v25, v27, v26, s0
	v_cndmask_b32_e64 v11, v11, v31, s1
	s_delay_alu instid0(VALU_DEP_3) | instskip(NEXT) | instid1(VALU_DEP_2)
	v_alignbit_b32 v32, v10, v28, v29
	v_alignbit_b32 v30, v28, v11, v29
	s_delay_alu instid0(VALU_DEP_1) | instskip(NEXT) | instid1(VALU_DEP_1)
	v_dual_cndmask_b32 v10, v32, v10, vcc_lo :: v_dual_cndmask_b32 v26, v30, v28, vcc_lo
	v_bfe_u32 v27, v10, 29, 1
	s_delay_alu instid0(VALU_DEP_2) | instskip(NEXT) | instid1(VALU_DEP_2)
	v_alignbit_b32 v28, v10, v26, 30
	v_dual_sub_nc_u32 v30, 0, v27 :: v_dual_cndmask_b32 v25, v31, v25, s1
	s_delay_alu instid0(VALU_DEP_1) | instskip(NEXT) | instid1(VALU_DEP_2)
	v_xor_b32_e32 v28, v28, v30
	v_alignbit_b32 v29, v11, v25, v29
	s_delay_alu instid0(VALU_DEP_1) | instskip(NEXT) | instid1(VALU_DEP_3)
	v_cndmask_b32_e32 v11, v29, v11, vcc_lo
	v_clz_i32_u32_e32 v29, v28
	s_delay_alu instid0(VALU_DEP_2) | instskip(NEXT) | instid1(VALU_DEP_2)
	v_alignbit_b32 v26, v26, v11, 30
	v_min_u32_e32 v29, 32, v29
	v_alignbit_b32 v11, v11, v25, 30
	s_delay_alu instid0(VALU_DEP_2) | instskip(NEXT) | instid1(VALU_DEP_2)
	v_dual_sub_nc_u32 v26, 31, v29 :: v_dual_bitop2_b32 v25, v26, v30 bitop3:0x14
	v_xor_b32_e32 v11, v11, v30
	v_dual_lshrrev_b32 v30, 29, v10 :: v_dual_lshlrev_b32 v31, 23, v29
	s_delay_alu instid0(VALU_DEP_3) | instskip(NEXT) | instid1(VALU_DEP_3)
	v_alignbit_b32 v28, v28, v25, v26
	v_alignbit_b32 v11, v25, v11, v26
	s_delay_alu instid0(VALU_DEP_3) | instskip(NEXT) | instid1(VALU_DEP_2)
	v_lshlrev_b32_e32 v25, 31, v30
	v_alignbit_b32 v26, v28, v11, 9
	s_delay_alu instid0(VALU_DEP_2) | instskip(NEXT) | instid1(VALU_DEP_2)
	v_dual_lshrrev_b32 v28, 9, v28 :: v_dual_bitop2_b32 v30, 0.5, v25 bitop3:0x54
	v_clz_i32_u32_e32 v32, v26
	s_delay_alu instid0(VALU_DEP_2) | instskip(SKIP_1) | instid1(VALU_DEP_3)
	v_sub_nc_u32_e32 v30, v30, v31
	v_or_b32_e32 v25, 0x33000000, v25
	v_min_u32_e32 v31, 32, v32
	s_delay_alu instid0(VALU_DEP_1) | instskip(NEXT) | instid1(VALU_DEP_4)
	v_add_lshl_u32 v29, v31, v29, 23
	v_or_b32_e32 v28, v28, v30
	v_not_b32_e32 v30, v31
	s_delay_alu instid0(VALU_DEP_3) | instskip(NEXT) | instid1(VALU_DEP_2)
	v_sub_nc_u32_e32 v25, v25, v29
	v_alignbit_b32 v11, v26, v11, v30
	s_delay_alu instid0(VALU_DEP_1) | instskip(NEXT) | instid1(VALU_DEP_1)
	v_dual_mul_f32 v32, 0x3fc90fda, v28 :: v_dual_lshrrev_b32 v11, 9, v11
	v_fma_f32 v26, 0x3fc90fda, v28, -v32
	s_delay_alu instid0(VALU_DEP_2) | instskip(NEXT) | instid1(VALU_DEP_2)
	v_or_b32_e32 v11, v25, v11
	v_fmamk_f32 v26, v28, 0x33a22168, v26
	s_delay_alu instid0(VALU_DEP_1) | instskip(NEXT) | instid1(VALU_DEP_1)
	v_dual_fmac_f32 v26, 0x3fc90fda, v11 :: v_dual_lshrrev_b32 v11, 30, v10
	v_dual_add_f32 v10, v32, v26 :: v_dual_add_nc_u32 v27, v27, v11
.LBB27_18:
	s_and_not1_saveexec_b32 s0, s4
; %bb.19:
	v_mul_f32_e64 v10, 0x3f22f983, |v22|
	s_delay_alu instid0(VALU_DEP_1) | instskip(NEXT) | instid1(VALU_DEP_1)
	v_rndne_f32_e32 v11, v10
	v_fma_f32 v10, 0xbfc90fda, v11, |v22|
	v_cvt_i32_f32_e32 v27, v11
	s_delay_alu instid0(VALU_DEP_2) | instskip(NEXT) | instid1(VALU_DEP_1)
	v_fmamk_f32 v10, v11, 0xb3a22168, v10
	v_fmamk_f32 v10, v11, 0xa7c234c4, v10
; %bb.20:
	s_or_b32 exec_lo, exec_lo, s0
	v_and_b32_e32 v25, 0xffff0000, v4
                                        ; implicit-def: $vgpr30
	s_mov_b32 s1, exec_lo
	s_delay_alu instid0(VALU_DEP_1)
	v_and_b32_e32 v26, 0x7fffffff, v25
	v_cmpx_ngt_f32_e64 0x48000000, |v25|
	s_xor_b32 s4, exec_lo, s1
	s_cbranch_execz .LBB27_22
; %bb.21:
	s_mov_b32 s0, 0x7fffff
	v_mov_b32_e32 v29, 0
	v_and_or_b32 v28, v26, s0, 0x800000
	s_mov_b64 s[0:1], 0xfe5163ab
	v_lshrrev_b32_e32 v4, 23, v26
	s_delay_alu instid0(VALU_DEP_2) | instskip(NEXT) | instid1(VALU_DEP_1)
	v_mul_u64_e32 v[30:31], s[0:1], v[28:29]
	v_dual_mov_b32 v32, v31 :: v_dual_mov_b32 v33, v29
	v_dual_mov_b32 v35, v29 :: v_dual_mov_b32 v37, v29
	s_delay_alu instid0(VALU_DEP_4) | instskip(SKIP_1) | instid1(VALU_DEP_4)
	v_dual_mov_b32 v39, v29 :: v_dual_add_nc_u32 v4, 0xffffff88, v4
	v_mov_b32_e32 v51, v29
	v_mad_nc_u64_u32 v[32:33], 0x3c439041, v28, v[32:33]
	s_delay_alu instid0(VALU_DEP_3) | instskip(SKIP_1) | instid1(VALU_DEP_3)
	v_cmp_lt_u32_e32 vcc_lo, 63, v4
	v_cndmask_b32_e64 v11, 0, 0xffffffc0, vcc_lo
	v_mov_b32_e32 v34, v33
	s_delay_alu instid0(VALU_DEP_1) | instskip(NEXT) | instid1(VALU_DEP_1)
	v_mad_nc_u64_u32 v[34:35], 0xdb629599, v28, v[34:35]
	v_dual_mov_b32 v36, v35 :: v_dual_cndmask_b32 v30, v34, v30, vcc_lo
	s_delay_alu instid0(VALU_DEP_1) | instskip(NEXT) | instid1(VALU_DEP_1)
	v_mad_nc_u64_u32 v[36:37], 0xf534ddc0, v28, v[36:37]
	v_mov_b32_e32 v38, v37
	s_delay_alu instid0(VALU_DEP_1) | instskip(NEXT) | instid1(VALU_DEP_1)
	v_mad_nc_u64_u32 v[38:39], 0xfc2757d1, v28, v[38:39]
	v_dual_mov_b32 v49, v29 :: v_dual_mov_b32 v48, v39
	s_delay_alu instid0(VALU_DEP_2) | instskip(NEXT) | instid1(VALU_DEP_2)
	v_cndmask_b32_e32 v33, v38, v34, vcc_lo
	v_mad_nc_u64_u32 v[48:49], 0x4e441529, v28, v[48:49]
	s_delay_alu instid0(VALU_DEP_1) | instskip(NEXT) | instid1(VALU_DEP_1)
	v_dual_add_nc_u32 v4, v11, v4 :: v_dual_mov_b32 v50, v49
	v_cmp_lt_u32_e64 s0, 31, v4
	s_delay_alu instid0(VALU_DEP_3) | instskip(NEXT) | instid1(VALU_DEP_3)
	v_cndmask_b32_e32 v31, v48, v36, vcc_lo
	v_mad_nc_u64_u32 v[28:29], 0xa2f9836e, v28, v[50:51]
	s_delay_alu instid0(VALU_DEP_3) | instskip(NEXT) | instid1(VALU_DEP_1)
	v_cndmask_b32_e64 v11, 0, 0xffffffe0, s0
	v_dual_add_nc_u32 v4, v11, v4 :: v_dual_cndmask_b32 v28, v28, v38, vcc_lo
	s_delay_alu instid0(VALU_DEP_1) | instskip(NEXT) | instid1(VALU_DEP_4)
	v_cmp_lt_u32_e64 s1, 31, v4
	v_cndmask_b32_e32 v29, v29, v48, vcc_lo
	s_delay_alu instid0(VALU_DEP_2) | instskip(NEXT) | instid1(VALU_DEP_1)
	v_cndmask_b32_e64 v11, 0, 0xffffffe0, s1
	v_add_nc_u32_e32 v4, v11, v4
	v_cndmask_b32_e32 v11, v36, v32, vcc_lo
	s_delay_alu instid0(VALU_DEP_4) | instskip(NEXT) | instid1(VALU_DEP_2)
	v_dual_cndmask_b32 v32, v28, v31, s0 :: v_dual_cndmask_b32 v28, v29, v28, s0
	v_dual_cndmask_b32 v29, v31, v33, s0 :: v_dual_cndmask_b32 v33, v33, v11, s0
	s_delay_alu instid0(VALU_DEP_4) | instskip(NEXT) | instid1(VALU_DEP_3)
	v_sub_nc_u32_e32 v31, 32, v4
	v_cndmask_b32_e64 v28, v28, v32, s1
	s_delay_alu instid0(VALU_DEP_3) | instskip(SKIP_2) | instid1(VALU_DEP_3)
	v_cndmask_b32_e64 v32, v32, v29, s1
	v_cmp_eq_u32_e32 vcc_lo, 0, v4
	v_cndmask_b32_e64 v29, v29, v33, s1
	v_alignbit_b32 v35, v28, v32, v31
	s_delay_alu instid0(VALU_DEP_2) | instskip(SKIP_1) | instid1(VALU_DEP_3)
	v_alignbit_b32 v34, v32, v29, v31
	v_cndmask_b32_e64 v11, v11, v30, s0
	v_cndmask_b32_e32 v4, v35, v28, vcc_lo
	s_delay_alu instid0(VALU_DEP_2) | instskip(NEXT) | instid1(VALU_DEP_2)
	v_dual_cndmask_b32 v28, v34, v32, vcc_lo :: v_dual_cndmask_b32 v11, v33, v11, s1
	v_bfe_u32 v30, v4, 29, 1
	s_delay_alu instid0(VALU_DEP_2) | instskip(NEXT) | instid1(VALU_DEP_3)
	v_alignbit_b32 v32, v4, v28, 30
	v_alignbit_b32 v31, v29, v11, v31
	s_delay_alu instid0(VALU_DEP_1) | instskip(NEXT) | instid1(VALU_DEP_1)
	v_dual_sub_nc_u32 v33, 0, v30 :: v_dual_cndmask_b32 v29, v31, v29, vcc_lo
	v_xor_b32_e32 v32, v32, v33
	s_delay_alu instid0(VALU_DEP_2) | instskip(SKIP_1) | instid1(VALU_DEP_3)
	v_alignbit_b32 v28, v28, v29, 30
	v_alignbit_b32 v11, v29, v11, 30
	v_clz_i32_u32_e32 v31, v32
	s_delay_alu instid0(VALU_DEP_3) | instskip(NEXT) | instid1(VALU_DEP_3)
	v_xor_b32_e32 v28, v28, v33
	v_xor_b32_e32 v11, v11, v33
	s_delay_alu instid0(VALU_DEP_3) | instskip(SKIP_1) | instid1(VALU_DEP_2)
	v_min_u32_e32 v31, 32, v31
	v_dual_lshrrev_b32 v33, 29, v4 :: v_dual_lshrrev_b32 v4, 30, v4
	v_dual_sub_nc_u32 v29, 31, v31 :: v_dual_lshlrev_b32 v34, 23, v31
	s_delay_alu instid0(VALU_DEP_2) | instskip(NEXT) | instid1(VALU_DEP_2)
	v_add_nc_u32_e32 v30, v30, v4
	v_alignbit_b32 v32, v32, v28, v29
	v_alignbit_b32 v11, v28, v11, v29
	v_lshlrev_b32_e32 v28, 31, v33
	s_delay_alu instid0(VALU_DEP_2) | instskip(NEXT) | instid1(VALU_DEP_2)
	v_alignbit_b32 v29, v32, v11, 9
	v_or_b32_e32 v33, 0.5, v28
	v_lshrrev_b32_e32 v32, 9, v32
	v_or_b32_e32 v28, 0x33000000, v28
	s_delay_alu instid0(VALU_DEP_4) | instskip(NEXT) | instid1(VALU_DEP_4)
	v_clz_i32_u32_e32 v35, v29
	v_sub_nc_u32_e32 v33, v33, v34
	s_delay_alu instid0(VALU_DEP_2) | instskip(NEXT) | instid1(VALU_DEP_2)
	v_min_u32_e32 v34, 32, v35
	v_or_b32_e32 v32, v32, v33
	s_delay_alu instid0(VALU_DEP_2) | instskip(SKIP_1) | instid1(VALU_DEP_2)
	v_not_b32_e32 v33, v34
	v_add_lshl_u32 v31, v34, v31, 23
	v_alignbit_b32 v11, v29, v11, v33
	s_delay_alu instid0(VALU_DEP_2) | instskip(NEXT) | instid1(VALU_DEP_2)
	v_sub_nc_u32_e32 v28, v28, v31
	v_lshrrev_b32_e32 v11, 9, v11
	v_mul_f32_e32 v35, 0x3fc90fda, v32
	s_delay_alu instid0(VALU_DEP_2) | instskip(NEXT) | instid1(VALU_DEP_2)
	v_or_b32_e32 v11, v28, v11
	v_fma_f32 v29, 0x3fc90fda, v32, -v35
	s_delay_alu instid0(VALU_DEP_1) | instskip(NEXT) | instid1(VALU_DEP_1)
	v_fmamk_f32 v29, v32, 0x33a22168, v29
	v_fmac_f32_e32 v29, 0x3fc90fda, v11
	s_delay_alu instid0(VALU_DEP_1)
	v_add_f32_e32 v11, v35, v29
.LBB27_22:
	s_and_not1_saveexec_b32 s0, s4
; %bb.23:
	v_mul_f32_e64 v4, 0x3f22f983, |v25|
	s_delay_alu instid0(VALU_DEP_1) | instskip(NEXT) | instid1(VALU_DEP_1)
	v_rndne_f32_e32 v4, v4
	v_fma_f32 v11, 0xbfc90fda, v4, |v25|
	v_cvt_i32_f32_e32 v30, v4
	s_delay_alu instid0(VALU_DEP_2) | instskip(NEXT) | instid1(VALU_DEP_1)
	v_fmamk_f32 v11, v4, 0xb3a22168, v11
	v_fmamk_f32 v11, v4, 0xa7c234c4, v11
; %bb.24:
	s_or_b32 exec_lo, exec_lo, s0
	v_lshlrev_b32_e32 v28, 16, v5
                                        ; implicit-def: $vgpr33
                                        ; implicit-def: $vgpr4
	s_mov_b32 s1, exec_lo
	s_delay_alu instid0(VALU_DEP_1)
	v_and_b32_e32 v29, 0x7fffffff, v28
	v_cmpx_ngt_f32_e64 0x48000000, |v28|
	s_xor_b32 s4, exec_lo, s1
	s_cbranch_execz .LBB27_26
; %bb.25:
	s_mov_b32 s0, 0x7fffff
	v_mov_b32_e32 v33, 0
	v_and_or_b32 v32, v29, s0, 0x800000
	s_mov_b64 s[0:1], 0xfe5163ab
	v_lshrrev_b32_e32 v4, 23, v29
	s_delay_alu instid0(VALU_DEP_2) | instskip(NEXT) | instid1(VALU_DEP_1)
	v_mul_u64_e32 v[34:35], s[0:1], v[32:33]
	v_dual_mov_b32 v36, v35 :: v_dual_mov_b32 v37, v33
	v_dual_mov_b32 v39, v33 :: v_dual_mov_b32 v49, v33
	s_delay_alu instid0(VALU_DEP_4) | instskip(SKIP_1) | instid1(VALU_DEP_4)
	v_dual_mov_b32 v51, v33 :: v_dual_add_nc_u32 v4, 0xffffff88, v4
	v_mov_b32_e32 v55, v33
	v_mad_nc_u64_u32 v[36:37], 0x3c439041, v32, v[36:37]
	s_delay_alu instid0(VALU_DEP_3) | instskip(SKIP_1) | instid1(VALU_DEP_3)
	v_cmp_lt_u32_e32 vcc_lo, 63, v4
	v_cndmask_b32_e64 v31, 0, 0xffffffc0, vcc_lo
	v_mov_b32_e32 v38, v37
	s_delay_alu instid0(VALU_DEP_1) | instskip(NEXT) | instid1(VALU_DEP_1)
	v_mad_nc_u64_u32 v[38:39], 0xdb629599, v32, v[38:39]
	v_dual_mov_b32 v48, v39 :: v_dual_cndmask_b32 v34, v38, v34, vcc_lo
	s_delay_alu instid0(VALU_DEP_1) | instskip(NEXT) | instid1(VALU_DEP_1)
	v_mad_nc_u64_u32 v[48:49], 0xf534ddc0, v32, v[48:49]
	v_mov_b32_e32 v50, v49
	s_delay_alu instid0(VALU_DEP_1) | instskip(NEXT) | instid1(VALU_DEP_1)
	v_mad_nc_u64_u32 v[50:51], 0xfc2757d1, v32, v[50:51]
	v_dual_mov_b32 v53, v33 :: v_dual_mov_b32 v52, v51
	s_delay_alu instid0(VALU_DEP_2) | instskip(NEXT) | instid1(VALU_DEP_2)
	v_cndmask_b32_e32 v37, v50, v38, vcc_lo
	v_mad_nc_u64_u32 v[52:53], 0x4e441529, v32, v[52:53]
	s_delay_alu instid0(VALU_DEP_1) | instskip(NEXT) | instid1(VALU_DEP_1)
	v_dual_add_nc_u32 v4, v31, v4 :: v_dual_mov_b32 v54, v53
	v_cmp_lt_u32_e64 s0, 31, v4
	s_delay_alu instid0(VALU_DEP_3) | instskip(NEXT) | instid1(VALU_DEP_3)
	v_cndmask_b32_e32 v35, v52, v48, vcc_lo
	v_mad_nc_u64_u32 v[32:33], 0xa2f9836e, v32, v[54:55]
	s_delay_alu instid0(VALU_DEP_3) | instskip(NEXT) | instid1(VALU_DEP_1)
	v_cndmask_b32_e64 v31, 0, 0xffffffe0, s0
	v_dual_add_nc_u32 v4, v31, v4 :: v_dual_cndmask_b32 v32, v32, v50, vcc_lo
	s_delay_alu instid0(VALU_DEP_1) | instskip(NEXT) | instid1(VALU_DEP_4)
	v_cmp_lt_u32_e64 s1, 31, v4
	v_cndmask_b32_e32 v33, v33, v52, vcc_lo
	s_delay_alu instid0(VALU_DEP_2) | instskip(NEXT) | instid1(VALU_DEP_1)
	v_cndmask_b32_e64 v31, 0, 0xffffffe0, s1
	v_add_nc_u32_e32 v4, v31, v4
	v_cndmask_b32_e32 v31, v48, v36, vcc_lo
	s_delay_alu instid0(VALU_DEP_4) | instskip(NEXT) | instid1(VALU_DEP_2)
	v_dual_cndmask_b32 v36, v32, v35, s0 :: v_dual_cndmask_b32 v32, v33, v32, s0
	v_dual_cndmask_b32 v33, v35, v37, s0 :: v_dual_cndmask_b32 v37, v37, v31, s0
	s_delay_alu instid0(VALU_DEP_4) | instskip(NEXT) | instid1(VALU_DEP_3)
	v_sub_nc_u32_e32 v35, 32, v4
	v_cndmask_b32_e64 v32, v32, v36, s1
	s_delay_alu instid0(VALU_DEP_3) | instskip(SKIP_2) | instid1(VALU_DEP_3)
	v_cndmask_b32_e64 v36, v36, v33, s1
	v_cmp_eq_u32_e32 vcc_lo, 0, v4
	v_cndmask_b32_e64 v33, v33, v37, s1
	v_alignbit_b32 v39, v32, v36, v35
	s_delay_alu instid0(VALU_DEP_2) | instskip(SKIP_1) | instid1(VALU_DEP_3)
	v_alignbit_b32 v38, v36, v33, v35
	v_cndmask_b32_e64 v31, v31, v34, s0
	v_cndmask_b32_e32 v4, v39, v32, vcc_lo
	s_delay_alu instid0(VALU_DEP_2) | instskip(NEXT) | instid1(VALU_DEP_2)
	v_dual_cndmask_b32 v32, v38, v36, vcc_lo :: v_dual_cndmask_b32 v31, v37, v31, s1
	v_bfe_u32 v34, v4, 29, 1
	s_delay_alu instid0(VALU_DEP_2) | instskip(NEXT) | instid1(VALU_DEP_3)
	v_alignbit_b32 v36, v4, v32, 30
	v_alignbit_b32 v35, v33, v31, v35
	s_delay_alu instid0(VALU_DEP_1) | instskip(NEXT) | instid1(VALU_DEP_1)
	v_dual_sub_nc_u32 v37, 0, v34 :: v_dual_cndmask_b32 v33, v35, v33, vcc_lo
	v_xor_b32_e32 v36, v36, v37
	s_delay_alu instid0(VALU_DEP_2) | instskip(SKIP_1) | instid1(VALU_DEP_3)
	v_alignbit_b32 v32, v32, v33, 30
	v_alignbit_b32 v31, v33, v31, 30
	v_clz_i32_u32_e32 v35, v36
	s_delay_alu instid0(VALU_DEP_3) | instskip(NEXT) | instid1(VALU_DEP_3)
	v_xor_b32_e32 v32, v32, v37
	v_xor_b32_e32 v31, v31, v37
	s_delay_alu instid0(VALU_DEP_3) | instskip(NEXT) | instid1(VALU_DEP_1)
	v_min_u32_e32 v35, 32, v35
	v_dual_lshrrev_b32 v37, 29, v4 :: v_dual_sub_nc_u32 v33, 31, v35
	v_lshlrev_b32_e32 v38, 23, v35
	s_delay_alu instid0(VALU_DEP_2) | instskip(SKIP_1) | instid1(VALU_DEP_4)
	v_alignbit_b32 v36, v36, v32, v33
	v_alignbit_b32 v31, v32, v31, v33
	v_lshlrev_b32_e32 v32, 31, v37
	s_delay_alu instid0(VALU_DEP_2) | instskip(NEXT) | instid1(VALU_DEP_2)
	v_alignbit_b32 v33, v36, v31, 9
	v_or_b32_e32 v37, 0.5, v32
	v_lshrrev_b32_e32 v36, 9, v36
	v_or_b32_e32 v32, 0x33000000, v32
	s_delay_alu instid0(VALU_DEP_4) | instskip(NEXT) | instid1(VALU_DEP_4)
	v_clz_i32_u32_e32 v39, v33
	v_sub_nc_u32_e32 v37, v37, v38
	s_delay_alu instid0(VALU_DEP_2) | instskip(NEXT) | instid1(VALU_DEP_2)
	v_min_u32_e32 v38, 32, v39
	v_or_b32_e32 v36, v36, v37
	s_delay_alu instid0(VALU_DEP_2) | instskip(SKIP_1) | instid1(VALU_DEP_2)
	v_not_b32_e32 v37, v38
	v_add_lshl_u32 v35, v38, v35, 23
	v_alignbit_b32 v31, v33, v31, v37
	s_delay_alu instid0(VALU_DEP_2) | instskip(NEXT) | instid1(VALU_DEP_2)
	v_sub_nc_u32_e32 v32, v32, v35
	v_lshrrev_b32_e32 v31, 9, v31
	v_mul_f32_e32 v39, 0x3fc90fda, v36
	s_delay_alu instid0(VALU_DEP_2) | instskip(NEXT) | instid1(VALU_DEP_2)
	v_or_b32_e32 v31, v32, v31
	v_fma_f32 v33, 0x3fc90fda, v36, -v39
	s_delay_alu instid0(VALU_DEP_1) | instskip(NEXT) | instid1(VALU_DEP_1)
	v_fmamk_f32 v33, v36, 0x33a22168, v33
	v_fmac_f32_e32 v33, 0x3fc90fda, v31
	s_delay_alu instid0(VALU_DEP_1) | instskip(NEXT) | instid1(VALU_DEP_1)
	v_dual_add_f32 v4, v39, v33 :: v_dual_lshrrev_b32 v31, 30, v4
	v_add_nc_u32_e32 v33, v34, v31
.LBB27_26:
	s_and_not1_saveexec_b32 s0, s4
; %bb.27:
	v_mul_f32_e64 v4, 0x3f22f983, |v28|
	s_delay_alu instid0(VALU_DEP_1) | instskip(NEXT) | instid1(VALU_DEP_1)
	v_rndne_f32_e32 v31, v4
	v_fma_f32 v4, 0xbfc90fda, v31, |v28|
	v_cvt_i32_f32_e32 v33, v31
	s_delay_alu instid0(VALU_DEP_2) | instskip(NEXT) | instid1(VALU_DEP_1)
	v_fmamk_f32 v4, v31, 0xb3a22168, v4
	v_fmamk_f32 v4, v31, 0xa7c234c4, v4
; %bb.28:
	s_or_b32 exec_lo, exec_lo, s0
	v_and_b32_e32 v31, 0xffff0000, v5
                                        ; implicit-def: $vgpr34
	s_mov_b32 s1, exec_lo
	s_delay_alu instid0(VALU_DEP_1)
	v_and_b32_e32 v32, 0x7fffffff, v31
	v_cmpx_ngt_f32_e64 0x48000000, |v31|
	s_xor_b32 s4, exec_lo, s1
	s_cbranch_execz .LBB27_30
; %bb.29:
	s_mov_b32 s0, 0x7fffff
	v_mov_b32_e32 v35, 0
	v_and_or_b32 v34, v32, s0, 0x800000
	s_mov_b64 s[0:1], 0xfe5163ab
	v_lshrrev_b32_e32 v5, 23, v32
	s_delay_alu instid0(VALU_DEP_2) | instskip(NEXT) | instid1(VALU_DEP_1)
	v_mul_u64_e32 v[36:37], s[0:1], v[34:35]
	v_dual_mov_b32 v38, v37 :: v_dual_mov_b32 v39, v35
	v_dual_mov_b32 v49, v35 :: v_dual_mov_b32 v51, v35
	;; [unrolled: 1-line block ×3, first 2 shown]
	s_delay_alu instid0(VALU_DEP_3) | instskip(NEXT) | instid1(VALU_DEP_1)
	v_mad_nc_u64_u32 v[38:39], 0x3c439041, v34, v[38:39]
	v_mov_b32_e32 v48, v39
	s_delay_alu instid0(VALU_DEP_1) | instskip(NEXT) | instid1(VALU_DEP_1)
	v_mad_nc_u64_u32 v[48:49], 0xdb629599, v34, v[48:49]
	v_mov_b32_e32 v50, v49
	s_delay_alu instid0(VALU_DEP_1) | instskip(NEXT) | instid1(VALU_DEP_1)
	;; [unrolled: 3-line block ×3, first 2 shown]
	v_mad_nc_u64_u32 v[52:53], 0xfc2757d1, v34, v[52:53]
	v_dual_mov_b32 v55, v35 :: v_dual_mov_b32 v54, v53
	s_delay_alu instid0(VALU_DEP_1) | instskip(NEXT) | instid1(VALU_DEP_1)
	v_mad_nc_u64_u32 v[54:55], 0x4e441529, v34, v[54:55]
	v_dual_mov_b32 v64, v55 :: v_dual_add_nc_u32 v5, 0xffffff88, v5
	s_delay_alu instid0(VALU_DEP_1) | instskip(NEXT) | instid1(VALU_DEP_2)
	v_cmp_lt_u32_e32 vcc_lo, 63, v5
	v_mad_nc_u64_u32 v[34:35], 0xa2f9836e, v34, v[64:65]
	v_cndmask_b32_e64 v37, 0, 0xffffffc0, vcc_lo
	v_dual_cndmask_b32 v39, v54, v50 :: v_dual_cndmask_b32 v36, v48, v36
	s_delay_alu instid0(VALU_DEP_2) | instskip(NEXT) | instid1(VALU_DEP_1)
	v_add_nc_u32_e32 v5, v37, v5
	v_cmp_lt_u32_e64 s0, 31, v5
	v_dual_cndmask_b32 v34, v34, v52 :: v_dual_cndmask_b32 v35, v35, v54
	s_delay_alu instid0(VALU_DEP_2) | instskip(NEXT) | instid1(VALU_DEP_1)
	v_cndmask_b32_e64 v37, 0, 0xffffffe0, s0
	v_add_nc_u32_e32 v5, v37, v5
	s_delay_alu instid0(VALU_DEP_1) | instskip(NEXT) | instid1(VALU_DEP_1)
	v_cmp_lt_u32_e64 s1, 31, v5
	v_cndmask_b32_e64 v37, 0, 0xffffffe0, s1
	s_delay_alu instid0(VALU_DEP_1) | instskip(SKIP_2) | instid1(VALU_DEP_3)
	v_dual_cndmask_b32 v49, v52, v48, vcc_lo :: v_dual_add_nc_u32 v5, v37, v5
	v_cndmask_b32_e32 v37, v50, v38, vcc_lo
	v_dual_cndmask_b32 v38, v34, v39, s0 :: v_dual_cndmask_b32 v34, v35, v34, s0
	v_cndmask_b32_e64 v35, v39, v49, s0
	s_delay_alu instid0(VALU_DEP_4) | instskip(NEXT) | instid1(VALU_DEP_4)
	v_sub_nc_u32_e32 v39, 32, v5
	v_cndmask_b32_e64 v49, v49, v37, s0
	v_cmp_eq_u32_e32 vcc_lo, 0, v5
	v_cndmask_b32_e64 v34, v34, v38, s1
	s_delay_alu instid0(VALU_DEP_3) | instskip(NEXT) | instid1(VALU_DEP_1)
	v_dual_cndmask_b32 v38, v38, v35, s1 :: v_dual_cndmask_b32 v35, v35, v49, s1
	v_alignbit_b32 v50, v34, v38, v39
	s_delay_alu instid0(VALU_DEP_2) | instskip(NEXT) | instid1(VALU_DEP_2)
	v_alignbit_b32 v48, v38, v35, v39
	v_dual_cndmask_b32 v5, v50, v34, vcc_lo :: v_dual_cndmask_b32 v34, v37, v36, s0
	s_delay_alu instid0(VALU_DEP_1) | instskip(NEXT) | instid1(VALU_DEP_1)
	v_bfe_u32 v37, v5, 29, 1
	v_dual_cndmask_b32 v36, v48, v38, vcc_lo :: v_dual_sub_nc_u32 v48, 0, v37
	s_delay_alu instid0(VALU_DEP_1) | instskip(NEXT) | instid1(VALU_DEP_1)
	v_alignbit_b32 v38, v5, v36, 30
	v_dual_cndmask_b32 v34, v49, v34, s1 :: v_dual_bitop2_b32 v38, v38, v48 bitop3:0x14
	s_delay_alu instid0(VALU_DEP_1) | instskip(NEXT) | instid1(VALU_DEP_1)
	v_alignbit_b32 v39, v35, v34, v39
	v_cndmask_b32_e32 v35, v39, v35, vcc_lo
	s_delay_alu instid0(VALU_DEP_3) | instskip(NEXT) | instid1(VALU_DEP_2)
	v_clz_i32_u32_e32 v39, v38
	v_alignbit_b32 v34, v35, v34, 30
	s_delay_alu instid0(VALU_DEP_2) | instskip(NEXT) | instid1(VALU_DEP_2)
	v_min_u32_e32 v39, 32, v39
	v_xor_b32_e32 v34, v34, v48
	v_alignbit_b32 v36, v36, v35, 30
	s_delay_alu instid0(VALU_DEP_1) | instskip(SKIP_1) | instid1(VALU_DEP_1)
	v_dual_lshlrev_b32 v49, 23, v39 :: v_dual_bitop2_b32 v35, v36, v48 bitop3:0x14
	v_dual_sub_nc_u32 v36, 31, v39 :: v_dual_lshrrev_b32 v48, 29, v5
	v_alignbit_b32 v38, v38, v35, v36
	v_alignbit_b32 v34, v35, v34, v36
	s_delay_alu instid0(VALU_DEP_3) | instskip(NEXT) | instid1(VALU_DEP_2)
	v_lshlrev_b32_e32 v35, 31, v48
	v_alignbit_b32 v36, v38, v34, 9
	s_delay_alu instid0(VALU_DEP_2) | instskip(NEXT) | instid1(VALU_DEP_2)
	v_dual_lshrrev_b32 v38, 9, v38 :: v_dual_bitop2_b32 v48, 0.5, v35 bitop3:0x54
	v_clz_i32_u32_e32 v50, v36
	s_delay_alu instid0(VALU_DEP_2) | instskip(SKIP_1) | instid1(VALU_DEP_3)
	v_sub_nc_u32_e32 v48, v48, v49
	v_or_b32_e32 v35, 0x33000000, v35
	v_min_u32_e32 v49, 32, v50
	s_delay_alu instid0(VALU_DEP_1) | instskip(NEXT) | instid1(VALU_DEP_4)
	v_add_lshl_u32 v39, v49, v39, 23
	v_or_b32_e32 v38, v38, v48
	v_not_b32_e32 v48, v49
	s_delay_alu instid0(VALU_DEP_2) | instskip(NEXT) | instid1(VALU_DEP_2)
	v_dual_mul_f32 v50, 0x3fc90fda, v38 :: v_dual_sub_nc_u32 v35, v35, v39
	v_alignbit_b32 v34, v36, v34, v48
	s_delay_alu instid0(VALU_DEP_2) | instskip(NEXT) | instid1(VALU_DEP_2)
	v_fma_f32 v36, 0x3fc90fda, v38, -v50
	v_lshrrev_b32_e32 v34, 9, v34
	s_delay_alu instid0(VALU_DEP_2) | instskip(NEXT) | instid1(VALU_DEP_2)
	v_fmamk_f32 v36, v38, 0x33a22168, v36
	v_or_b32_e32 v34, v35, v34
	s_delay_alu instid0(VALU_DEP_1) | instskip(NEXT) | instid1(VALU_DEP_1)
	v_fmac_f32_e32 v36, 0x3fc90fda, v34
	v_dual_add_f32 v5, v50, v36 :: v_dual_lshrrev_b32 v34, 30, v5
	s_delay_alu instid0(VALU_DEP_1)
	v_add_nc_u32_e32 v34, v37, v34
.LBB27_30:
	s_and_not1_saveexec_b32 s0, s4
; %bb.31:
	v_mul_f32_e64 v5, 0x3f22f983, |v31|
	s_delay_alu instid0(VALU_DEP_1) | instskip(NEXT) | instid1(VALU_DEP_1)
	v_rndne_f32_e32 v34, v5
	v_fma_f32 v5, 0xbfc90fda, v34, |v31|
	s_delay_alu instid0(VALU_DEP_1) | instskip(NEXT) | instid1(VALU_DEP_1)
	v_fmamk_f32 v5, v34, 0xb3a22168, v5
	v_fmamk_f32 v5, v34, 0xa7c234c4, v5
	v_cvt_i32_f32_e32 v34, v34
; %bb.32:
	s_or_b32 exec_lo, exec_lo, s0
	v_dual_lshlrev_b32 v64, 30, v27 :: v_dual_lshlrev_b32 v65, 30, v30
	v_dual_lshlrev_b32 v51, 30, v24 :: v_dual_bitop2_b32 v27, 1, v27 bitop3:0x40
	v_pk_mul_f32 v[48:49], v[2:3], v[2:3]
	s_mov_b32 s0, 0x3c0881c4
	s_mov_b32 s4, 0xb94c1982
	;; [unrolled: 1-line block ×4, first 2 shown]
	v_dual_lshlrev_b32 v66, 30, v33 :: v_dual_lshlrev_b32 v67, 30, v34
	v_dual_lshlrev_b32 v50, 30, v20 :: v_dual_bitop2_b32 v33, 1, v33 bitop3:0x40
	v_and_b32_e32 v71, 1, v20
	v_bitop3_b32 v81, v21, v51, 0x80000000 bitop3:0x78
	v_pk_fma_f32 v[20:21], v[48:49], s[4:5], s[0:1] op_sel_hi:[1,0,0]
	v_pk_fma_f32 v[52:53], v[48:49], s[8:9], s[6:7] op_sel_hi:[1,0,0]
	s_mov_b32 s10, 0xbe2aaa9d
	s_mov_b32 s12, 0x3d2aabf7
	;; [unrolled: 1-line block ×3, first 2 shown]
	v_pk_fma_f32 v[20:21], v[48:49], v[20:21], s[10:11] op_sel_hi:[1,1,0]
	v_pk_fma_f32 v[52:53], v[48:49], v[52:53], s[12:13] op_sel_hi:[1,1,0]
	v_pk_mul_f32 v[38:39], v[8:9], v[8:9]
	v_bitop3_b32 v18, v18, v50, 0x80000000 bitop3:0x78
	v_dual_lshlrev_b32 v70, 30, v17 :: v_dual_bitop2_b32 v30, 1, v30 bitop3:0x40
	v_pk_mul_f32 v[20:21], v[48:49], v[20:21]
	v_pk_fma_f32 v[52:53], v[48:49], v[52:53], s[14:15] op_sel_hi:[1,1,0]
	v_pk_fma_f32 v[50:51], v[38:39], s[4:5], s[0:1] op_sel_hi:[1,0,0]
	;; [unrolled: 1-line block ×3, first 2 shown]
	v_dual_lshlrev_b32 v69, 30, v15 :: v_dual_bitop2_b32 v68, 1, v34 bitop3:0x40
	v_pk_fma_f32 v[2:3], v[2:3], v[20:21], v[2:3]
	v_pk_fma_f32 v[20:21], v[48:49], v[52:53], 1.0 op_sel_hi:[1,1,0]
	v_and_b32_e32 v24, 1, v24
	v_pk_fma_f32 v[50:51], v[38:39], v[50:51], s[10:11] op_sel_hi:[1,1,0]
	v_pk_fma_f32 v[54:55], v[38:39], v[54:55], s[12:13] op_sel_hi:[1,1,0]
	v_and_b32_e32 v80, 1, v15
	v_bitop3_b32 v70, v14, v70, 0x80000000 bitop3:0x78
	v_cmp_eq_u32_e32 vcc_lo, 0, v24
	v_pk_mul_f32 v[14:15], v[38:39], v[50:51]
	v_pk_fma_f32 v[50:51], v[38:39], v[54:55], s[14:15] op_sel_hi:[1,1,0]
	v_bitop3_b32 v13, v13, v69, 0x80000000 bitop3:0x78
	v_pk_mul_f32 v[36:37], v[4:5], v[4:5]
	v_cndmask_b32_e32 v3, v21, v3, vcc_lo
	v_cmp_eq_u32_e32 vcc_lo, 0, v71
	v_pk_fma_f32 v[8:9], v[8:9], v[14:15], v[8:9]
	v_pk_fma_f32 v[14:15], v[38:39], v[50:51], 1.0 op_sel_hi:[1,1,0]
	v_pk_mul_f32 v[34:35], v[10:11], v[10:11]
	v_xor3_b32 v3, v81, v3, v19
	v_cndmask_b32_e32 v2, v20, v2, vcc_lo
	v_cmp_eq_u32_e32 vcc_lo, 0, v80
	v_and_b32_e32 v17, 1, v17
	v_lshl_add_u64 v[0:1], s[2:3], 1, v[0:1]
	s_delay_alu instid0(VALU_DEP_4) | instskip(SKIP_1) | instid1(VALU_DEP_4)
	v_xor3_b32 v2, v18, v2, v16
	v_cndmask_b32_e32 v8, v14, v8, vcc_lo
	v_cmp_eq_u32_e32 vcc_lo, 0, v17
	s_delay_alu instid0(VALU_DEP_2) | instskip(SKIP_3) | instid1(VALU_DEP_3)
	v_xor3_b32 v8, v13, v8, v12
	v_cndmask_b32_e32 v9, v15, v9, vcc_lo
	v_cmp_class_f32_e64 vcc_lo, v19, 0x1f8
	v_pk_fma_f32 v[14:15], v[34:35], s[8:9], s[6:7] op_sel_hi:[1,0,0]
	v_xor3_b32 v9, v70, v9, v7
	v_cndmask_b32_e32 v17, 0x7fc00000, v3, vcc_lo
	v_cmp_class_f32_e64 vcc_lo, v16, 0x1f8
	s_delay_alu instid0(VALU_DEP_4) | instskip(SKIP_3) | instid1(VALU_DEP_4)
	v_pk_fma_f32 v[14:15], v[34:35], v[14:15], s[12:13] op_sel_hi:[1,1,0]
	v_cndmask_b32_e32 v16, 0x7fc00000, v2, vcc_lo
	v_cmp_class_f32_e64 vcc_lo, v7, 0x1f8
	v_mov_b32_e32 v7, 0
	v_pk_fma_f32 v[14:15], v[34:35], v[14:15], s[14:15] op_sel_hi:[1,1,0]
	s_delay_alu instid0(VALU_DEP_4) | instskip(SKIP_2) | instid1(VALU_DEP_3)
	v_bfe_u32 v3, v16, 16, 1
	v_cndmask_b32_e32 v18, 0x7fc00000, v9, vcc_lo
	v_cmp_class_f32_e64 vcc_lo, v12, 0x1f8
	v_add3_u32 v21, v16, v3, 0x7fff
	v_cndmask_b32_e32 v19, 0x7fc00000, v8, vcc_lo
	s_delay_alu instid0(VALU_DEP_4) | instskip(SKIP_1) | instid1(VALU_DEP_4)
	v_bfe_u32 v8, v18, 16, 1
	v_cmp_eq_u32_e32 vcc_lo, 0, v68
	v_lshrrev_b32_e32 v21, 16, v21
	s_delay_alu instid0(VALU_DEP_4) | instskip(NEXT) | instid1(VALU_DEP_4)
	v_bfe_u32 v12, v19, 16, 1
	v_add3_u32 v24, v18, v8, 0x7fff
	v_pk_fma_f32 v[8:9], v[36:37], s[8:9], s[6:7] op_sel_hi:[1,0,0]
	s_delay_alu instid0(VALU_DEP_3) | instskip(SKIP_1) | instid1(VALU_DEP_3)
	v_add3_u32 v38, v19, v12, 0x7fff
	v_pk_fma_f32 v[12:13], v[34:35], s[4:5], s[0:1] op_sel_hi:[1,0,0]
	v_pk_fma_f32 v[8:9], v[36:37], v[8:9], s[12:13] op_sel_hi:[1,1,0]
	s_delay_alu instid0(VALU_DEP_3) | instskip(SKIP_1) | instid1(VALU_DEP_3)
	v_dual_lshrrev_b32 v24, 16, v24 :: v_dual_lshrrev_b32 v38, 16, v38
	v_bfe_u32 v2, v17, 16, 1
	v_pk_fma_f32 v[8:9], v[36:37], v[8:9], s[14:15] op_sel_hi:[1,1,0]
	v_pk_fma_f32 v[12:13], v[34:35], v[12:13], s[10:11] op_sel_hi:[1,1,0]
	s_delay_alu instid0(VALU_DEP_3) | instskip(SKIP_1) | instid1(VALU_DEP_3)
	v_add3_u32 v20, v17, v2, 0x7fff
	v_pk_fma_f32 v[2:3], v[36:37], s[4:5], s[0:1] op_sel_hi:[1,0,0]
	v_pk_mul_f32 v[12:13], v[34:35], v[12:13]
	s_delay_alu instid0(VALU_DEP_2) | instskip(NEXT) | instid1(VALU_DEP_1)
	v_pk_fma_f32 v[2:3], v[36:37], v[2:3], s[10:11] op_sel_hi:[1,1,0]
	v_pk_mul_f32 v[2:3], v[36:37], v[2:3]
	s_delay_alu instid0(VALU_DEP_1) | instskip(SKIP_3) | instid1(VALU_DEP_3)
	v_pk_fma_f32 v[2:3], v[4:5], v[2:3], v[4:5]
	v_pk_fma_f32 v[4:5], v[36:37], v[8:9], 1.0 op_sel_hi:[1,1,0]
	v_pk_fma_f32 v[8:9], v[10:11], v[12:13], v[10:11]
	v_pk_fma_f32 v[10:11], v[34:35], v[14:15], 1.0 op_sel_hi:[1,1,0]
	v_cndmask_b32_e32 v3, v5, v3, vcc_lo
	v_cmp_eq_u32_e32 vcc_lo, 0, v33
	v_cndmask_b32_e32 v2, v4, v2, vcc_lo
	v_cmp_eq_u32_e32 vcc_lo, 0, v30
	;; [unrolled: 2-line block ×3, first 2 shown]
	v_bitop3_b32 v9, v23, v64, 0x80000000 bitop3:0x78
	v_bitop3_b32 v11, v26, v65, 0x80000000 bitop3:0x78
	v_cndmask_b32_e32 v5, v10, v8, vcc_lo
	v_bitop3_b32 v8, v32, v67, 0x80000000 bitop3:0x78
	v_bitop3_b32 v10, v29, v66, 0x80000000 bitop3:0x78
	v_cmp_class_f32_e64 vcc_lo, v31, 0x1f8
	v_xor3_b32 v4, v11, v4, v25
	v_xor3_b32 v5, v9, v5, v22
	;; [unrolled: 1-line block ×3, first 2 shown]
	v_lshrrev_b32_e32 v12, 16, v20
	v_xor3_b32 v2, v10, v2, v28
	s_delay_alu instid0(VALU_DEP_3) | instskip(SKIP_1) | instid1(VALU_DEP_2)
	v_cndmask_b32_e32 v3, 0x7fc00000, v3, vcc_lo
	v_cmp_class_f32_e64 vcc_lo, v28, 0x1f8
	v_bfe_u32 v10, v3, 16, 1
	s_delay_alu instid0(VALU_DEP_4) | instskip(SKIP_1) | instid1(VALU_DEP_3)
	v_cndmask_b32_e32 v2, 0x7fc00000, v2, vcc_lo
	v_cmp_class_f32_e64 vcc_lo, v22, 0x1f8
	v_add3_u32 v10, v3, v10, 0x7fff
	v_cndmask_b32_e32 v5, 0x7fc00000, v5, vcc_lo
	v_cmp_class_f32_e64 vcc_lo, v25, 0x1f8
	s_delay_alu instid0(VALU_DEP_3) | instskip(NEXT) | instid1(VALU_DEP_3)
	v_lshrrev_b32_e32 v10, 16, v10
	v_bfe_u32 v9, v5, 16, 1
	v_cndmask_b32_e32 v4, 0x7fc00000, v4, vcc_lo
	v_cmp_o_f32_e32 vcc_lo, v19, v19
	s_delay_alu instid0(VALU_DEP_3) | instskip(NEXT) | instid1(VALU_DEP_3)
	v_add3_u32 v9, v5, v9, 0x7fff
	v_bfe_u32 v11, v4, 16, 1
	v_cndmask_b32_e32 v8, 0x7fc0, v38, vcc_lo
	v_cmp_o_f32_e32 vcc_lo, v16, v16
	s_delay_alu instid0(VALU_DEP_4) | instskip(NEXT) | instid1(VALU_DEP_4)
	v_lshrrev_b32_e32 v9, 16, v9
	v_add3_u32 v11, v4, v11, 0x7fff
	v_cndmask_b32_e32 v14, 0x7fc0, v21, vcc_lo
	v_cmp_o_f32_e32 vcc_lo, v17, v17
	s_delay_alu instid0(VALU_DEP_3) | instskip(SKIP_3) | instid1(VALU_DEP_3)
	v_lshrrev_b32_e32 v11, 16, v11
	v_bfe_u32 v13, v2, 16, 1
	v_cndmask_b32_e32 v12, 0x7fc0, v12, vcc_lo
	v_cmp_o_f32_e32 vcc_lo, v5, v5
	v_add3_u32 v13, v2, v13, 0x7fff
	v_cndmask_b32_e32 v9, 0x7fc0, v9, vcc_lo
	v_cmp_o_f32_e32 vcc_lo, v2, v2
	s_delay_alu instid0(VALU_DEP_3) | instskip(NEXT) | instid1(VALU_DEP_1)
	v_lshrrev_b32_e32 v13, 16, v13
	v_cndmask_b32_e32 v2, 0x7fc0, v13, vcc_lo
	v_cmp_o_f32_e32 vcc_lo, v3, v3
	v_cndmask_b32_e32 v3, 0x7fc0, v10, vcc_lo
	v_cmp_o_f32_e32 vcc_lo, v4, v4
	v_add_nc_u64_e32 v[4:5], v[0:1], v[6:7]
	v_perm_b32 v1, v12, v14, 0x5040100
	s_delay_alu instid0(VALU_DEP_4) | instskip(SKIP_2) | instid1(VALU_DEP_2)
	v_perm_b32 v3, v3, v2, 0x5040100
	v_cndmask_b32_e32 v10, 0x7fc0, v11, vcc_lo
	v_cmp_o_f32_e32 vcc_lo, v18, v18
	v_perm_b32 v2, v10, v9, 0x5040100
	v_cndmask_b32_e32 v11, 0x7fc0, v24, vcc_lo
	s_delay_alu instid0(VALU_DEP_1)
	v_perm_b32 v0, v11, v8, 0x5040100
	flat_store_b128 v[4:5], v[0:3]
	s_wait_dscnt 0x0
	s_set_pc_i64 s[30:31]
.Lfunc_end27:
	.size	_ZN2at6native25elementwise_kernel_helperILb0EZZZNS0_15sin_kernel_cudaERNS_18TensorIteratorBaseEENKUlvE0_clEvENKUlvE2_clEvEUlN3c108BFloat16EE_NS0_6memory8policies10vectorizedILi8ESt5arrayIPcLm2EELi8EEEEEvT0_T1_, .Lfunc_end27-_ZN2at6native25elementwise_kernel_helperILb0EZZZNS0_15sin_kernel_cudaERNS_18TensorIteratorBaseEENKUlvE0_clEvENKUlvE2_clEvEUlN3c108BFloat16EE_NS0_6memory8policies10vectorizedILi8ESt5arrayIPcLm2EELi8EEEEEvT0_T1_
                                        ; -- End function
	.set .L_ZN2at6native25elementwise_kernel_helperILb0EZZZNS0_15sin_kernel_cudaERNS_18TensorIteratorBaseEENKUlvE0_clEvENKUlvE2_clEvEUlN3c108BFloat16EE_NS0_6memory8policies10vectorizedILi8ESt5arrayIPcLm2EELi8EEEEEvT0_T1_.num_vgpr, 82
	.set .L_ZN2at6native25elementwise_kernel_helperILb0EZZZNS0_15sin_kernel_cudaERNS_18TensorIteratorBaseEENKUlvE0_clEvENKUlvE2_clEvEUlN3c108BFloat16EE_NS0_6memory8policies10vectorizedILi8ESt5arrayIPcLm2EELi8EEEEEvT0_T1_.num_agpr, 0
	.set .L_ZN2at6native25elementwise_kernel_helperILb0EZZZNS0_15sin_kernel_cudaERNS_18TensorIteratorBaseEENKUlvE0_clEvENKUlvE2_clEvEUlN3c108BFloat16EE_NS0_6memory8policies10vectorizedILi8ESt5arrayIPcLm2EELi8EEEEEvT0_T1_.numbered_sgpr, 32
	.set .L_ZN2at6native25elementwise_kernel_helperILb0EZZZNS0_15sin_kernel_cudaERNS_18TensorIteratorBaseEENKUlvE0_clEvENKUlvE2_clEvEUlN3c108BFloat16EE_NS0_6memory8policies10vectorizedILi8ESt5arrayIPcLm2EELi8EEEEEvT0_T1_.num_named_barrier, 0
	.set .L_ZN2at6native25elementwise_kernel_helperILb0EZZZNS0_15sin_kernel_cudaERNS_18TensorIteratorBaseEENKUlvE0_clEvENKUlvE2_clEvEUlN3c108BFloat16EE_NS0_6memory8policies10vectorizedILi8ESt5arrayIPcLm2EELi8EEEEEvT0_T1_.private_seg_size, 0
	.set .L_ZN2at6native25elementwise_kernel_helperILb0EZZZNS0_15sin_kernel_cudaERNS_18TensorIteratorBaseEENKUlvE0_clEvENKUlvE2_clEvEUlN3c108BFloat16EE_NS0_6memory8policies10vectorizedILi8ESt5arrayIPcLm2EELi8EEEEEvT0_T1_.uses_vcc, 1
	.set .L_ZN2at6native25elementwise_kernel_helperILb0EZZZNS0_15sin_kernel_cudaERNS_18TensorIteratorBaseEENKUlvE0_clEvENKUlvE2_clEvEUlN3c108BFloat16EE_NS0_6memory8policies10vectorizedILi8ESt5arrayIPcLm2EELi8EEEEEvT0_T1_.uses_flat_scratch, 0
	.set .L_ZN2at6native25elementwise_kernel_helperILb0EZZZNS0_15sin_kernel_cudaERNS_18TensorIteratorBaseEENKUlvE0_clEvENKUlvE2_clEvEUlN3c108BFloat16EE_NS0_6memory8policies10vectorizedILi8ESt5arrayIPcLm2EELi8EEEEEvT0_T1_.has_dyn_sized_stack, 0
	.set .L_ZN2at6native25elementwise_kernel_helperILb0EZZZNS0_15sin_kernel_cudaERNS_18TensorIteratorBaseEENKUlvE0_clEvENKUlvE2_clEvEUlN3c108BFloat16EE_NS0_6memory8policies10vectorizedILi8ESt5arrayIPcLm2EELi8EEEEEvT0_T1_.has_recursion, 0
	.set .L_ZN2at6native25elementwise_kernel_helperILb0EZZZNS0_15sin_kernel_cudaERNS_18TensorIteratorBaseEENKUlvE0_clEvENKUlvE2_clEvEUlN3c108BFloat16EE_NS0_6memory8policies10vectorizedILi8ESt5arrayIPcLm2EELi8EEEEEvT0_T1_.has_indirect_call, 0
	.section	.AMDGPU.csdata,"",@progbits
; Function info:
; codeLenInByte = 8024
; TotalNumSgprs: 34
; NumVgprs: 82
; ScratchSize: 0
; MemoryBound: 0
	.section	.text._ZN2at6native29vectorized_elementwise_kernelILi16EZZZNS0_15sin_kernel_cudaERNS_18TensorIteratorBaseEENKUlvE0_clEvENKUlvE2_clEvEUlN3c108BFloat16EE_St5arrayIPcLm2EEEEviT0_T1_,"axG",@progbits,_ZN2at6native29vectorized_elementwise_kernelILi16EZZZNS0_15sin_kernel_cudaERNS_18TensorIteratorBaseEENKUlvE0_clEvENKUlvE2_clEvEUlN3c108BFloat16EE_St5arrayIPcLm2EEEEviT0_T1_,comdat
	.globl	_ZN2at6native29vectorized_elementwise_kernelILi16EZZZNS0_15sin_kernel_cudaERNS_18TensorIteratorBaseEENKUlvE0_clEvENKUlvE2_clEvEUlN3c108BFloat16EE_St5arrayIPcLm2EEEEviT0_T1_ ; -- Begin function _ZN2at6native29vectorized_elementwise_kernelILi16EZZZNS0_15sin_kernel_cudaERNS_18TensorIteratorBaseEENKUlvE0_clEvENKUlvE2_clEvEUlN3c108BFloat16EE_St5arrayIPcLm2EEEEviT0_T1_
	.p2align	8
	.type	_ZN2at6native29vectorized_elementwise_kernelILi16EZZZNS0_15sin_kernel_cudaERNS_18TensorIteratorBaseEENKUlvE0_clEvENKUlvE2_clEvEUlN3c108BFloat16EE_St5arrayIPcLm2EEEEviT0_T1_,@function
_ZN2at6native29vectorized_elementwise_kernelILi16EZZZNS0_15sin_kernel_cudaERNS_18TensorIteratorBaseEENKUlvE0_clEvENKUlvE2_clEvEUlN3c108BFloat16EE_St5arrayIPcLm2EEEEviT0_T1_: ; @_ZN2at6native29vectorized_elementwise_kernelILi16EZZZNS0_15sin_kernel_cudaERNS_18TensorIteratorBaseEENKUlvE0_clEvENKUlvE2_clEvEUlN3c108BFloat16EE_St5arrayIPcLm2EEEEviT0_T1_
; %bb.0:
	s_clause 0x1
	s_load_b32 s2, s[0:1], 0x0
	s_load_b128 s[16:19], s[0:1], 0x8
	s_wait_xcnt 0x0
	s_bfe_u32 s0, ttmp6, 0x4000c
	s_and_b32 s1, ttmp6, 15
	s_add_co_i32 s0, s0, 1
	s_getreg_b32 s3, hwreg(HW_REG_IB_STS2, 6, 4)
	s_mul_i32 s0, ttmp9, s0
	v_mov_b32_e32 v40, v0
	s_add_co_i32 s1, s1, s0
	s_cmp_eq_u32 s3, 0
	s_mov_b32 s32, 0
	s_cselect_b32 s0, ttmp9, s1
	s_delay_alu instid0(SALU_CYCLE_1)
	s_lshl_b32 s0, s0, 11
	s_wait_kmcnt 0x0
	s_sub_co_i32 s5, s2, s0
	s_mov_b32 s0, -1
	s_cmp_gt_i32 s5, 0x7ff
	s_cbranch_scc1 .LBB28_3
; %bb.1:
	s_and_not1_b32 vcc_lo, exec_lo, s0
	s_cbranch_vccz .LBB28_4
.LBB28_2:
	s_endpgm
.LBB28_3:
	v_dual_mov_b32 v31, v40 :: v_dual_mov_b32 v0, s16
	v_dual_mov_b32 v1, s17 :: v_dual_mov_b32 v2, s18
	v_mov_b32_e32 v3, s19
	s_get_pc_i64 s[0:1]
	s_add_nc_u64 s[0:1], s[0:1], _ZN2at6native25elementwise_kernel_helperILb0EZZZNS0_15sin_kernel_cudaERNS_18TensorIteratorBaseEENKUlvE0_clEvENKUlvE2_clEvEUlN3c108BFloat16EE_NS0_6memory8policies10vectorizedILi8ESt5arrayIPcLm2EELi8EEEEEvT0_T1_@rel64+4
	s_delay_alu instid0(SALU_CYCLE_1)
	s_swap_pc_i64 s[30:31], s[0:1]
	s_cbranch_execnz .LBB28_2
.LBB28_4:
	v_dual_mov_b32 v31, v40 :: v_dual_mov_b32 v0, s16
	v_dual_mov_b32 v1, s17 :: v_dual_mov_b32 v2, s18
	;; [unrolled: 1-line block ×3, first 2 shown]
	s_get_pc_i64 s[0:1]
	s_add_nc_u64 s[0:1], s[0:1], _ZN2at6native25elementwise_kernel_helperILb0EZZZNS0_15sin_kernel_cudaERNS_18TensorIteratorBaseEENKUlvE0_clEvENKUlvE2_clEvEUlN3c108BFloat16EE_NS0_6memory8policies11unroll_baseILi256ESt5arrayIPcLm2EE23TrivialOffsetCalculatorILi1EjESG_NS9_15LoadWithoutCastENS9_16StoreWithoutCastELi8ELi1EEEEEvT0_T1_@rel64+4
	s_delay_alu instid0(SALU_CYCLE_1)
	s_swap_pc_i64 s[30:31], s[0:1]
	s_endpgm
	.section	.rodata,"a",@progbits
	.p2align	6, 0x0
	.amdhsa_kernel _ZN2at6native29vectorized_elementwise_kernelILi16EZZZNS0_15sin_kernel_cudaERNS_18TensorIteratorBaseEENKUlvE0_clEvENKUlvE2_clEvEUlN3c108BFloat16EE_St5arrayIPcLm2EEEEviT0_T1_
		.amdhsa_group_segment_fixed_size 0
		.amdhsa_private_segment_fixed_size 0
		.amdhsa_kernarg_size 24
		.amdhsa_user_sgpr_count 2
		.amdhsa_user_sgpr_dispatch_ptr 0
		.amdhsa_user_sgpr_queue_ptr 0
		.amdhsa_user_sgpr_kernarg_segment_ptr 1
		.amdhsa_user_sgpr_dispatch_id 0
		.amdhsa_user_sgpr_kernarg_preload_length 0
		.amdhsa_user_sgpr_kernarg_preload_offset 0
		.amdhsa_user_sgpr_private_segment_size 0
		.amdhsa_wavefront_size32 1
		.amdhsa_uses_dynamic_stack 0
		.amdhsa_enable_private_segment 0
		.amdhsa_system_sgpr_workgroup_id_x 1
		.amdhsa_system_sgpr_workgroup_id_y 0
		.amdhsa_system_sgpr_workgroup_id_z 0
		.amdhsa_system_sgpr_workgroup_info 0
		.amdhsa_system_vgpr_workitem_id 0
		.amdhsa_next_free_vgpr 82
		.amdhsa_next_free_sgpr 33
		.amdhsa_named_barrier_count 0
		.amdhsa_reserve_vcc 1
		.amdhsa_float_round_mode_32 0
		.amdhsa_float_round_mode_16_64 0
		.amdhsa_float_denorm_mode_32 3
		.amdhsa_float_denorm_mode_16_64 3
		.amdhsa_fp16_overflow 0
		.amdhsa_memory_ordered 1
		.amdhsa_forward_progress 1
		.amdhsa_inst_pref_size 2
		.amdhsa_round_robin_scheduling 0
		.amdhsa_exception_fp_ieee_invalid_op 0
		.amdhsa_exception_fp_denorm_src 0
		.amdhsa_exception_fp_ieee_div_zero 0
		.amdhsa_exception_fp_ieee_overflow 0
		.amdhsa_exception_fp_ieee_underflow 0
		.amdhsa_exception_fp_ieee_inexact 0
		.amdhsa_exception_int_div_zero 0
	.end_amdhsa_kernel
	.section	.text._ZN2at6native29vectorized_elementwise_kernelILi16EZZZNS0_15sin_kernel_cudaERNS_18TensorIteratorBaseEENKUlvE0_clEvENKUlvE2_clEvEUlN3c108BFloat16EE_St5arrayIPcLm2EEEEviT0_T1_,"axG",@progbits,_ZN2at6native29vectorized_elementwise_kernelILi16EZZZNS0_15sin_kernel_cudaERNS_18TensorIteratorBaseEENKUlvE0_clEvENKUlvE2_clEvEUlN3c108BFloat16EE_St5arrayIPcLm2EEEEviT0_T1_,comdat
.Lfunc_end28:
	.size	_ZN2at6native29vectorized_elementwise_kernelILi16EZZZNS0_15sin_kernel_cudaERNS_18TensorIteratorBaseEENKUlvE0_clEvENKUlvE2_clEvEUlN3c108BFloat16EE_St5arrayIPcLm2EEEEviT0_T1_, .Lfunc_end28-_ZN2at6native29vectorized_elementwise_kernelILi16EZZZNS0_15sin_kernel_cudaERNS_18TensorIteratorBaseEENKUlvE0_clEvENKUlvE2_clEvEUlN3c108BFloat16EE_St5arrayIPcLm2EEEEviT0_T1_
                                        ; -- End function
	.set _ZN2at6native29vectorized_elementwise_kernelILi16EZZZNS0_15sin_kernel_cudaERNS_18TensorIteratorBaseEENKUlvE0_clEvENKUlvE2_clEvEUlN3c108BFloat16EE_St5arrayIPcLm2EEEEviT0_T1_.num_vgpr, max(41, .L_ZN2at6native25elementwise_kernel_helperILb0EZZZNS0_15sin_kernel_cudaERNS_18TensorIteratorBaseEENKUlvE0_clEvENKUlvE2_clEvEUlN3c108BFloat16EE_NS0_6memory8policies10vectorizedILi8ESt5arrayIPcLm2EELi8EEEEEvT0_T1_.num_vgpr, .L_ZN2at6native25elementwise_kernel_helperILb0EZZZNS0_15sin_kernel_cudaERNS_18TensorIteratorBaseEENKUlvE0_clEvENKUlvE2_clEvEUlN3c108BFloat16EE_NS0_6memory8policies11unroll_baseILi256ESt5arrayIPcLm2EE23TrivialOffsetCalculatorILi1EjESG_NS9_15LoadWithoutCastENS9_16StoreWithoutCastELi8ELi1EEEEEvT0_T1_.num_vgpr)
	.set _ZN2at6native29vectorized_elementwise_kernelILi16EZZZNS0_15sin_kernel_cudaERNS_18TensorIteratorBaseEENKUlvE0_clEvENKUlvE2_clEvEUlN3c108BFloat16EE_St5arrayIPcLm2EEEEviT0_T1_.num_agpr, max(0, .L_ZN2at6native25elementwise_kernel_helperILb0EZZZNS0_15sin_kernel_cudaERNS_18TensorIteratorBaseEENKUlvE0_clEvENKUlvE2_clEvEUlN3c108BFloat16EE_NS0_6memory8policies10vectorizedILi8ESt5arrayIPcLm2EELi8EEEEEvT0_T1_.num_agpr, .L_ZN2at6native25elementwise_kernel_helperILb0EZZZNS0_15sin_kernel_cudaERNS_18TensorIteratorBaseEENKUlvE0_clEvENKUlvE2_clEvEUlN3c108BFloat16EE_NS0_6memory8policies11unroll_baseILi256ESt5arrayIPcLm2EE23TrivialOffsetCalculatorILi1EjESG_NS9_15LoadWithoutCastENS9_16StoreWithoutCastELi8ELi1EEEEEvT0_T1_.num_agpr)
	.set _ZN2at6native29vectorized_elementwise_kernelILi16EZZZNS0_15sin_kernel_cudaERNS_18TensorIteratorBaseEENKUlvE0_clEvENKUlvE2_clEvEUlN3c108BFloat16EE_St5arrayIPcLm2EEEEviT0_T1_.numbered_sgpr, max(33, .L_ZN2at6native25elementwise_kernel_helperILb0EZZZNS0_15sin_kernel_cudaERNS_18TensorIteratorBaseEENKUlvE0_clEvENKUlvE2_clEvEUlN3c108BFloat16EE_NS0_6memory8policies10vectorizedILi8ESt5arrayIPcLm2EELi8EEEEEvT0_T1_.numbered_sgpr, .L_ZN2at6native25elementwise_kernel_helperILb0EZZZNS0_15sin_kernel_cudaERNS_18TensorIteratorBaseEENKUlvE0_clEvENKUlvE2_clEvEUlN3c108BFloat16EE_NS0_6memory8policies11unroll_baseILi256ESt5arrayIPcLm2EE23TrivialOffsetCalculatorILi1EjESG_NS9_15LoadWithoutCastENS9_16StoreWithoutCastELi8ELi1EEEEEvT0_T1_.numbered_sgpr)
	.set _ZN2at6native29vectorized_elementwise_kernelILi16EZZZNS0_15sin_kernel_cudaERNS_18TensorIteratorBaseEENKUlvE0_clEvENKUlvE2_clEvEUlN3c108BFloat16EE_St5arrayIPcLm2EEEEviT0_T1_.num_named_barrier, max(0, .L_ZN2at6native25elementwise_kernel_helperILb0EZZZNS0_15sin_kernel_cudaERNS_18TensorIteratorBaseEENKUlvE0_clEvENKUlvE2_clEvEUlN3c108BFloat16EE_NS0_6memory8policies10vectorizedILi8ESt5arrayIPcLm2EELi8EEEEEvT0_T1_.num_named_barrier, .L_ZN2at6native25elementwise_kernel_helperILb0EZZZNS0_15sin_kernel_cudaERNS_18TensorIteratorBaseEENKUlvE0_clEvENKUlvE2_clEvEUlN3c108BFloat16EE_NS0_6memory8policies11unroll_baseILi256ESt5arrayIPcLm2EE23TrivialOffsetCalculatorILi1EjESG_NS9_15LoadWithoutCastENS9_16StoreWithoutCastELi8ELi1EEEEEvT0_T1_.num_named_barrier)
	.set _ZN2at6native29vectorized_elementwise_kernelILi16EZZZNS0_15sin_kernel_cudaERNS_18TensorIteratorBaseEENKUlvE0_clEvENKUlvE2_clEvEUlN3c108BFloat16EE_St5arrayIPcLm2EEEEviT0_T1_.private_seg_size, 0+max(.L_ZN2at6native25elementwise_kernel_helperILb0EZZZNS0_15sin_kernel_cudaERNS_18TensorIteratorBaseEENKUlvE0_clEvENKUlvE2_clEvEUlN3c108BFloat16EE_NS0_6memory8policies10vectorizedILi8ESt5arrayIPcLm2EELi8EEEEEvT0_T1_.private_seg_size, .L_ZN2at6native25elementwise_kernel_helperILb0EZZZNS0_15sin_kernel_cudaERNS_18TensorIteratorBaseEENKUlvE0_clEvENKUlvE2_clEvEUlN3c108BFloat16EE_NS0_6memory8policies11unroll_baseILi256ESt5arrayIPcLm2EE23TrivialOffsetCalculatorILi1EjESG_NS9_15LoadWithoutCastENS9_16StoreWithoutCastELi8ELi1EEEEEvT0_T1_.private_seg_size)
	.set _ZN2at6native29vectorized_elementwise_kernelILi16EZZZNS0_15sin_kernel_cudaERNS_18TensorIteratorBaseEENKUlvE0_clEvENKUlvE2_clEvEUlN3c108BFloat16EE_St5arrayIPcLm2EEEEviT0_T1_.uses_vcc, or(1, .L_ZN2at6native25elementwise_kernel_helperILb0EZZZNS0_15sin_kernel_cudaERNS_18TensorIteratorBaseEENKUlvE0_clEvENKUlvE2_clEvEUlN3c108BFloat16EE_NS0_6memory8policies10vectorizedILi8ESt5arrayIPcLm2EELi8EEEEEvT0_T1_.uses_vcc, .L_ZN2at6native25elementwise_kernel_helperILb0EZZZNS0_15sin_kernel_cudaERNS_18TensorIteratorBaseEENKUlvE0_clEvENKUlvE2_clEvEUlN3c108BFloat16EE_NS0_6memory8policies11unroll_baseILi256ESt5arrayIPcLm2EE23TrivialOffsetCalculatorILi1EjESG_NS9_15LoadWithoutCastENS9_16StoreWithoutCastELi8ELi1EEEEEvT0_T1_.uses_vcc)
	.set _ZN2at6native29vectorized_elementwise_kernelILi16EZZZNS0_15sin_kernel_cudaERNS_18TensorIteratorBaseEENKUlvE0_clEvENKUlvE2_clEvEUlN3c108BFloat16EE_St5arrayIPcLm2EEEEviT0_T1_.uses_flat_scratch, or(0, .L_ZN2at6native25elementwise_kernel_helperILb0EZZZNS0_15sin_kernel_cudaERNS_18TensorIteratorBaseEENKUlvE0_clEvENKUlvE2_clEvEUlN3c108BFloat16EE_NS0_6memory8policies10vectorizedILi8ESt5arrayIPcLm2EELi8EEEEEvT0_T1_.uses_flat_scratch, .L_ZN2at6native25elementwise_kernel_helperILb0EZZZNS0_15sin_kernel_cudaERNS_18TensorIteratorBaseEENKUlvE0_clEvENKUlvE2_clEvEUlN3c108BFloat16EE_NS0_6memory8policies11unroll_baseILi256ESt5arrayIPcLm2EE23TrivialOffsetCalculatorILi1EjESG_NS9_15LoadWithoutCastENS9_16StoreWithoutCastELi8ELi1EEEEEvT0_T1_.uses_flat_scratch)
	.set _ZN2at6native29vectorized_elementwise_kernelILi16EZZZNS0_15sin_kernel_cudaERNS_18TensorIteratorBaseEENKUlvE0_clEvENKUlvE2_clEvEUlN3c108BFloat16EE_St5arrayIPcLm2EEEEviT0_T1_.has_dyn_sized_stack, or(0, .L_ZN2at6native25elementwise_kernel_helperILb0EZZZNS0_15sin_kernel_cudaERNS_18TensorIteratorBaseEENKUlvE0_clEvENKUlvE2_clEvEUlN3c108BFloat16EE_NS0_6memory8policies10vectorizedILi8ESt5arrayIPcLm2EELi8EEEEEvT0_T1_.has_dyn_sized_stack, .L_ZN2at6native25elementwise_kernel_helperILb0EZZZNS0_15sin_kernel_cudaERNS_18TensorIteratorBaseEENKUlvE0_clEvENKUlvE2_clEvEUlN3c108BFloat16EE_NS0_6memory8policies11unroll_baseILi256ESt5arrayIPcLm2EE23TrivialOffsetCalculatorILi1EjESG_NS9_15LoadWithoutCastENS9_16StoreWithoutCastELi8ELi1EEEEEvT0_T1_.has_dyn_sized_stack)
	.set _ZN2at6native29vectorized_elementwise_kernelILi16EZZZNS0_15sin_kernel_cudaERNS_18TensorIteratorBaseEENKUlvE0_clEvENKUlvE2_clEvEUlN3c108BFloat16EE_St5arrayIPcLm2EEEEviT0_T1_.has_recursion, or(0, .L_ZN2at6native25elementwise_kernel_helperILb0EZZZNS0_15sin_kernel_cudaERNS_18TensorIteratorBaseEENKUlvE0_clEvENKUlvE2_clEvEUlN3c108BFloat16EE_NS0_6memory8policies10vectorizedILi8ESt5arrayIPcLm2EELi8EEEEEvT0_T1_.has_recursion, .L_ZN2at6native25elementwise_kernel_helperILb0EZZZNS0_15sin_kernel_cudaERNS_18TensorIteratorBaseEENKUlvE0_clEvENKUlvE2_clEvEUlN3c108BFloat16EE_NS0_6memory8policies11unroll_baseILi256ESt5arrayIPcLm2EE23TrivialOffsetCalculatorILi1EjESG_NS9_15LoadWithoutCastENS9_16StoreWithoutCastELi8ELi1EEEEEvT0_T1_.has_recursion)
	.set _ZN2at6native29vectorized_elementwise_kernelILi16EZZZNS0_15sin_kernel_cudaERNS_18TensorIteratorBaseEENKUlvE0_clEvENKUlvE2_clEvEUlN3c108BFloat16EE_St5arrayIPcLm2EEEEviT0_T1_.has_indirect_call, or(0, .L_ZN2at6native25elementwise_kernel_helperILb0EZZZNS0_15sin_kernel_cudaERNS_18TensorIteratorBaseEENKUlvE0_clEvENKUlvE2_clEvEUlN3c108BFloat16EE_NS0_6memory8policies10vectorizedILi8ESt5arrayIPcLm2EELi8EEEEEvT0_T1_.has_indirect_call, .L_ZN2at6native25elementwise_kernel_helperILb0EZZZNS0_15sin_kernel_cudaERNS_18TensorIteratorBaseEENKUlvE0_clEvENKUlvE2_clEvEUlN3c108BFloat16EE_NS0_6memory8policies11unroll_baseILi256ESt5arrayIPcLm2EE23TrivialOffsetCalculatorILi1EjESG_NS9_15LoadWithoutCastENS9_16StoreWithoutCastELi8ELi1EEEEEvT0_T1_.has_indirect_call)
	.section	.AMDGPU.csdata,"",@progbits
; Kernel info:
; codeLenInByte = 212
; TotalNumSgprs: 35
; NumVgprs: 82
; ScratchSize: 0
; MemoryBound: 0
; FloatMode: 240
; IeeeMode: 1
; LDSByteSize: 0 bytes/workgroup (compile time only)
; SGPRBlocks: 0
; VGPRBlocks: 5
; NumSGPRsForWavesPerEU: 35
; NumVGPRsForWavesPerEU: 82
; NamedBarCnt: 0
; Occupancy: 10
; WaveLimiterHint : 0
; COMPUTE_PGM_RSRC2:SCRATCH_EN: 0
; COMPUTE_PGM_RSRC2:USER_SGPR: 2
; COMPUTE_PGM_RSRC2:TRAP_HANDLER: 0
; COMPUTE_PGM_RSRC2:TGID_X_EN: 1
; COMPUTE_PGM_RSRC2:TGID_Y_EN: 0
; COMPUTE_PGM_RSRC2:TGID_Z_EN: 0
; COMPUTE_PGM_RSRC2:TIDIG_COMP_CNT: 0
	.section	.text._ZN2at6native29vectorized_elementwise_kernelILi8EZZZNS0_15sin_kernel_cudaERNS_18TensorIteratorBaseEENKUlvE0_clEvENKUlvE2_clEvEUlN3c108BFloat16EE_St5arrayIPcLm2EEEEviT0_T1_,"axG",@progbits,_ZN2at6native29vectorized_elementwise_kernelILi8EZZZNS0_15sin_kernel_cudaERNS_18TensorIteratorBaseEENKUlvE0_clEvENKUlvE2_clEvEUlN3c108BFloat16EE_St5arrayIPcLm2EEEEviT0_T1_,comdat
	.globl	_ZN2at6native29vectorized_elementwise_kernelILi8EZZZNS0_15sin_kernel_cudaERNS_18TensorIteratorBaseEENKUlvE0_clEvENKUlvE2_clEvEUlN3c108BFloat16EE_St5arrayIPcLm2EEEEviT0_T1_ ; -- Begin function _ZN2at6native29vectorized_elementwise_kernelILi8EZZZNS0_15sin_kernel_cudaERNS_18TensorIteratorBaseEENKUlvE0_clEvENKUlvE2_clEvEUlN3c108BFloat16EE_St5arrayIPcLm2EEEEviT0_T1_
	.p2align	8
	.type	_ZN2at6native29vectorized_elementwise_kernelILi8EZZZNS0_15sin_kernel_cudaERNS_18TensorIteratorBaseEENKUlvE0_clEvENKUlvE2_clEvEUlN3c108BFloat16EE_St5arrayIPcLm2EEEEviT0_T1_,@function
_ZN2at6native29vectorized_elementwise_kernelILi8EZZZNS0_15sin_kernel_cudaERNS_18TensorIteratorBaseEENKUlvE0_clEvENKUlvE2_clEvEUlN3c108BFloat16EE_St5arrayIPcLm2EEEEviT0_T1_: ; @_ZN2at6native29vectorized_elementwise_kernelILi8EZZZNS0_15sin_kernel_cudaERNS_18TensorIteratorBaseEENKUlvE0_clEvENKUlvE2_clEvEUlN3c108BFloat16EE_St5arrayIPcLm2EEEEviT0_T1_
; %bb.0:
	s_clause 0x1
	s_load_b32 s2, s[0:1], 0x0
	s_load_b128 s[16:19], s[0:1], 0x8
	s_wait_xcnt 0x0
	s_bfe_u32 s0, ttmp6, 0x4000c
	s_and_b32 s1, ttmp6, 15
	s_add_co_i32 s0, s0, 1
	s_getreg_b32 s3, hwreg(HW_REG_IB_STS2, 6, 4)
	s_mul_i32 s0, ttmp9, s0
	v_mov_b32_e32 v40, v0
	s_add_co_i32 s1, s1, s0
	s_cmp_eq_u32 s3, 0
	s_mov_b32 s32, 0
	s_cselect_b32 s0, ttmp9, s1
	s_delay_alu instid0(SALU_CYCLE_1)
	s_lshl_b32 s0, s0, 11
	s_wait_kmcnt 0x0
	s_sub_co_i32 s5, s2, s0
	s_mov_b32 s0, -1
	s_cmp_gt_i32 s5, 0x7ff
	s_cbranch_scc1 .LBB29_3
; %bb.1:
	s_and_not1_b32 vcc_lo, exec_lo, s0
	s_cbranch_vccz .LBB29_4
.LBB29_2:
	s_endpgm
.LBB29_3:
	v_dual_mov_b32 v31, v40 :: v_dual_mov_b32 v0, s16
	v_dual_mov_b32 v1, s17 :: v_dual_mov_b32 v2, s18
	v_mov_b32_e32 v3, s19
	s_get_pc_i64 s[0:1]
	s_add_nc_u64 s[0:1], s[0:1], _ZN2at6native25elementwise_kernel_helperILb0EZZZNS0_15sin_kernel_cudaERNS_18TensorIteratorBaseEENKUlvE0_clEvENKUlvE2_clEvEUlN3c108BFloat16EE_NS0_6memory8policies10vectorizedILi8ESt5arrayIPcLm2EELi8EEEEEvT0_T1_@rel64+4
	s_delay_alu instid0(SALU_CYCLE_1)
	s_swap_pc_i64 s[30:31], s[0:1]
	s_cbranch_execnz .LBB29_2
.LBB29_4:
	v_dual_mov_b32 v31, v40 :: v_dual_mov_b32 v0, s16
	v_dual_mov_b32 v1, s17 :: v_dual_mov_b32 v2, s18
	;; [unrolled: 1-line block ×3, first 2 shown]
	s_get_pc_i64 s[0:1]
	s_add_nc_u64 s[0:1], s[0:1], _ZN2at6native25elementwise_kernel_helperILb0EZZZNS0_15sin_kernel_cudaERNS_18TensorIteratorBaseEENKUlvE0_clEvENKUlvE2_clEvEUlN3c108BFloat16EE_NS0_6memory8policies11unroll_baseILi256ESt5arrayIPcLm2EE23TrivialOffsetCalculatorILi1EjESG_NS9_15LoadWithoutCastENS9_16StoreWithoutCastELi8ELi1EEEEEvT0_T1_@rel64+4
	s_delay_alu instid0(SALU_CYCLE_1)
	s_swap_pc_i64 s[30:31], s[0:1]
	s_endpgm
	.section	.rodata,"a",@progbits
	.p2align	6, 0x0
	.amdhsa_kernel _ZN2at6native29vectorized_elementwise_kernelILi8EZZZNS0_15sin_kernel_cudaERNS_18TensorIteratorBaseEENKUlvE0_clEvENKUlvE2_clEvEUlN3c108BFloat16EE_St5arrayIPcLm2EEEEviT0_T1_
		.amdhsa_group_segment_fixed_size 0
		.amdhsa_private_segment_fixed_size 0
		.amdhsa_kernarg_size 24
		.amdhsa_user_sgpr_count 2
		.amdhsa_user_sgpr_dispatch_ptr 0
		.amdhsa_user_sgpr_queue_ptr 0
		.amdhsa_user_sgpr_kernarg_segment_ptr 1
		.amdhsa_user_sgpr_dispatch_id 0
		.amdhsa_user_sgpr_kernarg_preload_length 0
		.amdhsa_user_sgpr_kernarg_preload_offset 0
		.amdhsa_user_sgpr_private_segment_size 0
		.amdhsa_wavefront_size32 1
		.amdhsa_uses_dynamic_stack 0
		.amdhsa_enable_private_segment 0
		.amdhsa_system_sgpr_workgroup_id_x 1
		.amdhsa_system_sgpr_workgroup_id_y 0
		.amdhsa_system_sgpr_workgroup_id_z 0
		.amdhsa_system_sgpr_workgroup_info 0
		.amdhsa_system_vgpr_workitem_id 0
		.amdhsa_next_free_vgpr 82
		.amdhsa_next_free_sgpr 33
		.amdhsa_named_barrier_count 0
		.amdhsa_reserve_vcc 1
		.amdhsa_float_round_mode_32 0
		.amdhsa_float_round_mode_16_64 0
		.amdhsa_float_denorm_mode_32 3
		.amdhsa_float_denorm_mode_16_64 3
		.amdhsa_fp16_overflow 0
		.amdhsa_memory_ordered 1
		.amdhsa_forward_progress 1
		.amdhsa_inst_pref_size 2
		.amdhsa_round_robin_scheduling 0
		.amdhsa_exception_fp_ieee_invalid_op 0
		.amdhsa_exception_fp_denorm_src 0
		.amdhsa_exception_fp_ieee_div_zero 0
		.amdhsa_exception_fp_ieee_overflow 0
		.amdhsa_exception_fp_ieee_underflow 0
		.amdhsa_exception_fp_ieee_inexact 0
		.amdhsa_exception_int_div_zero 0
	.end_amdhsa_kernel
	.section	.text._ZN2at6native29vectorized_elementwise_kernelILi8EZZZNS0_15sin_kernel_cudaERNS_18TensorIteratorBaseEENKUlvE0_clEvENKUlvE2_clEvEUlN3c108BFloat16EE_St5arrayIPcLm2EEEEviT0_T1_,"axG",@progbits,_ZN2at6native29vectorized_elementwise_kernelILi8EZZZNS0_15sin_kernel_cudaERNS_18TensorIteratorBaseEENKUlvE0_clEvENKUlvE2_clEvEUlN3c108BFloat16EE_St5arrayIPcLm2EEEEviT0_T1_,comdat
.Lfunc_end29:
	.size	_ZN2at6native29vectorized_elementwise_kernelILi8EZZZNS0_15sin_kernel_cudaERNS_18TensorIteratorBaseEENKUlvE0_clEvENKUlvE2_clEvEUlN3c108BFloat16EE_St5arrayIPcLm2EEEEviT0_T1_, .Lfunc_end29-_ZN2at6native29vectorized_elementwise_kernelILi8EZZZNS0_15sin_kernel_cudaERNS_18TensorIteratorBaseEENKUlvE0_clEvENKUlvE2_clEvEUlN3c108BFloat16EE_St5arrayIPcLm2EEEEviT0_T1_
                                        ; -- End function
	.set _ZN2at6native29vectorized_elementwise_kernelILi8EZZZNS0_15sin_kernel_cudaERNS_18TensorIteratorBaseEENKUlvE0_clEvENKUlvE2_clEvEUlN3c108BFloat16EE_St5arrayIPcLm2EEEEviT0_T1_.num_vgpr, max(41, .L_ZN2at6native25elementwise_kernel_helperILb0EZZZNS0_15sin_kernel_cudaERNS_18TensorIteratorBaseEENKUlvE0_clEvENKUlvE2_clEvEUlN3c108BFloat16EE_NS0_6memory8policies10vectorizedILi8ESt5arrayIPcLm2EELi8EEEEEvT0_T1_.num_vgpr, .L_ZN2at6native25elementwise_kernel_helperILb0EZZZNS0_15sin_kernel_cudaERNS_18TensorIteratorBaseEENKUlvE0_clEvENKUlvE2_clEvEUlN3c108BFloat16EE_NS0_6memory8policies11unroll_baseILi256ESt5arrayIPcLm2EE23TrivialOffsetCalculatorILi1EjESG_NS9_15LoadWithoutCastENS9_16StoreWithoutCastELi8ELi1EEEEEvT0_T1_.num_vgpr)
	.set _ZN2at6native29vectorized_elementwise_kernelILi8EZZZNS0_15sin_kernel_cudaERNS_18TensorIteratorBaseEENKUlvE0_clEvENKUlvE2_clEvEUlN3c108BFloat16EE_St5arrayIPcLm2EEEEviT0_T1_.num_agpr, max(0, .L_ZN2at6native25elementwise_kernel_helperILb0EZZZNS0_15sin_kernel_cudaERNS_18TensorIteratorBaseEENKUlvE0_clEvENKUlvE2_clEvEUlN3c108BFloat16EE_NS0_6memory8policies10vectorizedILi8ESt5arrayIPcLm2EELi8EEEEEvT0_T1_.num_agpr, .L_ZN2at6native25elementwise_kernel_helperILb0EZZZNS0_15sin_kernel_cudaERNS_18TensorIteratorBaseEENKUlvE0_clEvENKUlvE2_clEvEUlN3c108BFloat16EE_NS0_6memory8policies11unroll_baseILi256ESt5arrayIPcLm2EE23TrivialOffsetCalculatorILi1EjESG_NS9_15LoadWithoutCastENS9_16StoreWithoutCastELi8ELi1EEEEEvT0_T1_.num_agpr)
	.set _ZN2at6native29vectorized_elementwise_kernelILi8EZZZNS0_15sin_kernel_cudaERNS_18TensorIteratorBaseEENKUlvE0_clEvENKUlvE2_clEvEUlN3c108BFloat16EE_St5arrayIPcLm2EEEEviT0_T1_.numbered_sgpr, max(33, .L_ZN2at6native25elementwise_kernel_helperILb0EZZZNS0_15sin_kernel_cudaERNS_18TensorIteratorBaseEENKUlvE0_clEvENKUlvE2_clEvEUlN3c108BFloat16EE_NS0_6memory8policies10vectorizedILi8ESt5arrayIPcLm2EELi8EEEEEvT0_T1_.numbered_sgpr, .L_ZN2at6native25elementwise_kernel_helperILb0EZZZNS0_15sin_kernel_cudaERNS_18TensorIteratorBaseEENKUlvE0_clEvENKUlvE2_clEvEUlN3c108BFloat16EE_NS0_6memory8policies11unroll_baseILi256ESt5arrayIPcLm2EE23TrivialOffsetCalculatorILi1EjESG_NS9_15LoadWithoutCastENS9_16StoreWithoutCastELi8ELi1EEEEEvT0_T1_.numbered_sgpr)
	.set _ZN2at6native29vectorized_elementwise_kernelILi8EZZZNS0_15sin_kernel_cudaERNS_18TensorIteratorBaseEENKUlvE0_clEvENKUlvE2_clEvEUlN3c108BFloat16EE_St5arrayIPcLm2EEEEviT0_T1_.num_named_barrier, max(0, .L_ZN2at6native25elementwise_kernel_helperILb0EZZZNS0_15sin_kernel_cudaERNS_18TensorIteratorBaseEENKUlvE0_clEvENKUlvE2_clEvEUlN3c108BFloat16EE_NS0_6memory8policies10vectorizedILi8ESt5arrayIPcLm2EELi8EEEEEvT0_T1_.num_named_barrier, .L_ZN2at6native25elementwise_kernel_helperILb0EZZZNS0_15sin_kernel_cudaERNS_18TensorIteratorBaseEENKUlvE0_clEvENKUlvE2_clEvEUlN3c108BFloat16EE_NS0_6memory8policies11unroll_baseILi256ESt5arrayIPcLm2EE23TrivialOffsetCalculatorILi1EjESG_NS9_15LoadWithoutCastENS9_16StoreWithoutCastELi8ELi1EEEEEvT0_T1_.num_named_barrier)
	.set _ZN2at6native29vectorized_elementwise_kernelILi8EZZZNS0_15sin_kernel_cudaERNS_18TensorIteratorBaseEENKUlvE0_clEvENKUlvE2_clEvEUlN3c108BFloat16EE_St5arrayIPcLm2EEEEviT0_T1_.private_seg_size, 0+max(.L_ZN2at6native25elementwise_kernel_helperILb0EZZZNS0_15sin_kernel_cudaERNS_18TensorIteratorBaseEENKUlvE0_clEvENKUlvE2_clEvEUlN3c108BFloat16EE_NS0_6memory8policies10vectorizedILi8ESt5arrayIPcLm2EELi8EEEEEvT0_T1_.private_seg_size, .L_ZN2at6native25elementwise_kernel_helperILb0EZZZNS0_15sin_kernel_cudaERNS_18TensorIteratorBaseEENKUlvE0_clEvENKUlvE2_clEvEUlN3c108BFloat16EE_NS0_6memory8policies11unroll_baseILi256ESt5arrayIPcLm2EE23TrivialOffsetCalculatorILi1EjESG_NS9_15LoadWithoutCastENS9_16StoreWithoutCastELi8ELi1EEEEEvT0_T1_.private_seg_size)
	.set _ZN2at6native29vectorized_elementwise_kernelILi8EZZZNS0_15sin_kernel_cudaERNS_18TensorIteratorBaseEENKUlvE0_clEvENKUlvE2_clEvEUlN3c108BFloat16EE_St5arrayIPcLm2EEEEviT0_T1_.uses_vcc, or(1, .L_ZN2at6native25elementwise_kernel_helperILb0EZZZNS0_15sin_kernel_cudaERNS_18TensorIteratorBaseEENKUlvE0_clEvENKUlvE2_clEvEUlN3c108BFloat16EE_NS0_6memory8policies10vectorizedILi8ESt5arrayIPcLm2EELi8EEEEEvT0_T1_.uses_vcc, .L_ZN2at6native25elementwise_kernel_helperILb0EZZZNS0_15sin_kernel_cudaERNS_18TensorIteratorBaseEENKUlvE0_clEvENKUlvE2_clEvEUlN3c108BFloat16EE_NS0_6memory8policies11unroll_baseILi256ESt5arrayIPcLm2EE23TrivialOffsetCalculatorILi1EjESG_NS9_15LoadWithoutCastENS9_16StoreWithoutCastELi8ELi1EEEEEvT0_T1_.uses_vcc)
	.set _ZN2at6native29vectorized_elementwise_kernelILi8EZZZNS0_15sin_kernel_cudaERNS_18TensorIteratorBaseEENKUlvE0_clEvENKUlvE2_clEvEUlN3c108BFloat16EE_St5arrayIPcLm2EEEEviT0_T1_.uses_flat_scratch, or(0, .L_ZN2at6native25elementwise_kernel_helperILb0EZZZNS0_15sin_kernel_cudaERNS_18TensorIteratorBaseEENKUlvE0_clEvENKUlvE2_clEvEUlN3c108BFloat16EE_NS0_6memory8policies10vectorizedILi8ESt5arrayIPcLm2EELi8EEEEEvT0_T1_.uses_flat_scratch, .L_ZN2at6native25elementwise_kernel_helperILb0EZZZNS0_15sin_kernel_cudaERNS_18TensorIteratorBaseEENKUlvE0_clEvENKUlvE2_clEvEUlN3c108BFloat16EE_NS0_6memory8policies11unroll_baseILi256ESt5arrayIPcLm2EE23TrivialOffsetCalculatorILi1EjESG_NS9_15LoadWithoutCastENS9_16StoreWithoutCastELi8ELi1EEEEEvT0_T1_.uses_flat_scratch)
	.set _ZN2at6native29vectorized_elementwise_kernelILi8EZZZNS0_15sin_kernel_cudaERNS_18TensorIteratorBaseEENKUlvE0_clEvENKUlvE2_clEvEUlN3c108BFloat16EE_St5arrayIPcLm2EEEEviT0_T1_.has_dyn_sized_stack, or(0, .L_ZN2at6native25elementwise_kernel_helperILb0EZZZNS0_15sin_kernel_cudaERNS_18TensorIteratorBaseEENKUlvE0_clEvENKUlvE2_clEvEUlN3c108BFloat16EE_NS0_6memory8policies10vectorizedILi8ESt5arrayIPcLm2EELi8EEEEEvT0_T1_.has_dyn_sized_stack, .L_ZN2at6native25elementwise_kernel_helperILb0EZZZNS0_15sin_kernel_cudaERNS_18TensorIteratorBaseEENKUlvE0_clEvENKUlvE2_clEvEUlN3c108BFloat16EE_NS0_6memory8policies11unroll_baseILi256ESt5arrayIPcLm2EE23TrivialOffsetCalculatorILi1EjESG_NS9_15LoadWithoutCastENS9_16StoreWithoutCastELi8ELi1EEEEEvT0_T1_.has_dyn_sized_stack)
	.set _ZN2at6native29vectorized_elementwise_kernelILi8EZZZNS0_15sin_kernel_cudaERNS_18TensorIteratorBaseEENKUlvE0_clEvENKUlvE2_clEvEUlN3c108BFloat16EE_St5arrayIPcLm2EEEEviT0_T1_.has_recursion, or(0, .L_ZN2at6native25elementwise_kernel_helperILb0EZZZNS0_15sin_kernel_cudaERNS_18TensorIteratorBaseEENKUlvE0_clEvENKUlvE2_clEvEUlN3c108BFloat16EE_NS0_6memory8policies10vectorizedILi8ESt5arrayIPcLm2EELi8EEEEEvT0_T1_.has_recursion, .L_ZN2at6native25elementwise_kernel_helperILb0EZZZNS0_15sin_kernel_cudaERNS_18TensorIteratorBaseEENKUlvE0_clEvENKUlvE2_clEvEUlN3c108BFloat16EE_NS0_6memory8policies11unroll_baseILi256ESt5arrayIPcLm2EE23TrivialOffsetCalculatorILi1EjESG_NS9_15LoadWithoutCastENS9_16StoreWithoutCastELi8ELi1EEEEEvT0_T1_.has_recursion)
	.set _ZN2at6native29vectorized_elementwise_kernelILi8EZZZNS0_15sin_kernel_cudaERNS_18TensorIteratorBaseEENKUlvE0_clEvENKUlvE2_clEvEUlN3c108BFloat16EE_St5arrayIPcLm2EEEEviT0_T1_.has_indirect_call, or(0, .L_ZN2at6native25elementwise_kernel_helperILb0EZZZNS0_15sin_kernel_cudaERNS_18TensorIteratorBaseEENKUlvE0_clEvENKUlvE2_clEvEUlN3c108BFloat16EE_NS0_6memory8policies10vectorizedILi8ESt5arrayIPcLm2EELi8EEEEEvT0_T1_.has_indirect_call, .L_ZN2at6native25elementwise_kernel_helperILb0EZZZNS0_15sin_kernel_cudaERNS_18TensorIteratorBaseEENKUlvE0_clEvENKUlvE2_clEvEUlN3c108BFloat16EE_NS0_6memory8policies11unroll_baseILi256ESt5arrayIPcLm2EE23TrivialOffsetCalculatorILi1EjESG_NS9_15LoadWithoutCastENS9_16StoreWithoutCastELi8ELi1EEEEEvT0_T1_.has_indirect_call)
	.section	.AMDGPU.csdata,"",@progbits
; Kernel info:
; codeLenInByte = 212
; TotalNumSgprs: 35
; NumVgprs: 82
; ScratchSize: 0
; MemoryBound: 0
; FloatMode: 240
; IeeeMode: 1
; LDSByteSize: 0 bytes/workgroup (compile time only)
; SGPRBlocks: 0
; VGPRBlocks: 5
; NumSGPRsForWavesPerEU: 35
; NumVGPRsForWavesPerEU: 82
; NamedBarCnt: 0
; Occupancy: 10
; WaveLimiterHint : 0
; COMPUTE_PGM_RSRC2:SCRATCH_EN: 0
; COMPUTE_PGM_RSRC2:USER_SGPR: 2
; COMPUTE_PGM_RSRC2:TRAP_HANDLER: 0
; COMPUTE_PGM_RSRC2:TGID_X_EN: 1
; COMPUTE_PGM_RSRC2:TGID_Y_EN: 0
; COMPUTE_PGM_RSRC2:TGID_Z_EN: 0
; COMPUTE_PGM_RSRC2:TIDIG_COMP_CNT: 0
	.section	.text._ZN2at6native29vectorized_elementwise_kernelILi4EZZZNS0_15sin_kernel_cudaERNS_18TensorIteratorBaseEENKUlvE0_clEvENKUlvE2_clEvEUlN3c108BFloat16EE_St5arrayIPcLm2EEEEviT0_T1_,"axG",@progbits,_ZN2at6native29vectorized_elementwise_kernelILi4EZZZNS0_15sin_kernel_cudaERNS_18TensorIteratorBaseEENKUlvE0_clEvENKUlvE2_clEvEUlN3c108BFloat16EE_St5arrayIPcLm2EEEEviT0_T1_,comdat
	.globl	_ZN2at6native29vectorized_elementwise_kernelILi4EZZZNS0_15sin_kernel_cudaERNS_18TensorIteratorBaseEENKUlvE0_clEvENKUlvE2_clEvEUlN3c108BFloat16EE_St5arrayIPcLm2EEEEviT0_T1_ ; -- Begin function _ZN2at6native29vectorized_elementwise_kernelILi4EZZZNS0_15sin_kernel_cudaERNS_18TensorIteratorBaseEENKUlvE0_clEvENKUlvE2_clEvEUlN3c108BFloat16EE_St5arrayIPcLm2EEEEviT0_T1_
	.p2align	8
	.type	_ZN2at6native29vectorized_elementwise_kernelILi4EZZZNS0_15sin_kernel_cudaERNS_18TensorIteratorBaseEENKUlvE0_clEvENKUlvE2_clEvEUlN3c108BFloat16EE_St5arrayIPcLm2EEEEviT0_T1_,@function
_ZN2at6native29vectorized_elementwise_kernelILi4EZZZNS0_15sin_kernel_cudaERNS_18TensorIteratorBaseEENKUlvE0_clEvENKUlvE2_clEvEUlN3c108BFloat16EE_St5arrayIPcLm2EEEEviT0_T1_: ; @_ZN2at6native29vectorized_elementwise_kernelILi4EZZZNS0_15sin_kernel_cudaERNS_18TensorIteratorBaseEENKUlvE0_clEvENKUlvE2_clEvEUlN3c108BFloat16EE_St5arrayIPcLm2EEEEviT0_T1_
; %bb.0:
	s_clause 0x1
	s_load_b32 s2, s[0:1], 0x0
	s_load_b128 s[4:7], s[0:1], 0x8
	s_wait_xcnt 0x0
	s_bfe_u32 s0, ttmp6, 0x4000c
	s_and_b32 s1, ttmp6, 15
	s_add_co_i32 s0, s0, 1
	s_getreg_b32 s3, hwreg(HW_REG_IB_STS2, 6, 4)
	s_mul_i32 s0, ttmp9, s0
	s_mov_b32 s32, 0
	s_add_co_i32 s1, s1, s0
	s_cmp_eq_u32 s3, 0
	s_cselect_b32 s0, ttmp9, s1
	s_mov_b32 s1, -1
	s_lshl_b32 s0, s0, 11
	s_wait_kmcnt 0x0
	s_sub_co_i32 s9, s2, s0
	s_delay_alu instid0(SALU_CYCLE_1)
	s_cmp_gt_i32 s9, 0x7ff
	s_cbranch_scc1 .LBB30_3
; %bb.1:
	s_and_b32 vcc_lo, exec_lo, s1
	s_cbranch_vccnz .LBB30_36
.LBB30_2:
	s_sendmsg sendmsg(MSG_DEALLOC_VGPRS)
	s_endpgm
.LBB30_3:
	s_ashr_i32 s1, s0, 31
                                        ; implicit-def: $vgpr15
                                        ; implicit-def: $vgpr2
	v_mov_b32_e32 v3, 0
	s_lshl_b64 s[2:3], s[0:1], 1
	s_delay_alu instid0(SALU_CYCLE_1)
	s_add_nc_u64 s[0:1], s[6:7], s[2:3]
	s_clause 0x1
	global_load_b64 v[8:9], v0, s[0:1] scale_offset
	global_load_b64 v[6:7], v0, s[0:1] offset:2048 scale_offset
	s_wait_xcnt 0x0
	s_mov_b32 s1, exec_lo
	s_wait_loadcnt 0x1
	v_lshlrev_b32_e32 v1, 16, v8
	s_delay_alu instid0(VALU_DEP_1)
	v_and_b32_e32 v12, 0x7fffffff, v1
	v_cmpx_ngt_f32_e64 0x48000000, |v1|
	s_xor_b32 s8, exec_lo, s1
	s_cbranch_execz .LBB30_5
; %bb.4:
	s_mov_b32 s0, 0x7fffff
	v_mov_b32_e32 v21, v3
	v_and_or_b32 v2, v12, s0, 0x800000
	s_mov_b64 s[0:1], 0xfe5163ab
	s_delay_alu instid0(VALU_DEP_1) | instid1(SALU_CYCLE_1)
	v_mul_u64_e32 v[4:5], s[0:1], v[2:3]
	s_delay_alu instid0(VALU_DEP_1) | instskip(SKIP_1) | instid1(VALU_DEP_2)
	v_dual_mov_b32 v11, v3 :: v_dual_mov_b32 v10, v5
	v_lshrrev_b32_e32 v5, 23, v12
	v_mad_nc_u64_u32 v[10:11], 0x3c439041, v2, v[10:11]
	v_mov_b32_e32 v15, v3
	s_delay_alu instid0(VALU_DEP_3) | instskip(NEXT) | instid1(VALU_DEP_1)
	v_add_nc_u32_e32 v5, 0xffffff88, v5
	v_cmp_lt_u32_e32 vcc_lo, 63, v5
	s_delay_alu instid0(VALU_DEP_4) | instskip(SKIP_1) | instid1(VALU_DEP_2)
	v_mov_b32_e32 v14, v11
	v_cndmask_b32_e64 v11, 0, 0xffffffc0, vcc_lo
	v_mad_nc_u64_u32 v[14:15], 0xdb629599, v2, v[14:15]
	s_delay_alu instid0(VALU_DEP_1) | instskip(NEXT) | instid1(VALU_DEP_2)
	v_dual_mov_b32 v17, v3 :: v_dual_mov_b32 v16, v15
	v_cndmask_b32_e32 v4, v14, v4, vcc_lo
	s_delay_alu instid0(VALU_DEP_2) | instskip(NEXT) | instid1(VALU_DEP_1)
	v_mad_nc_u64_u32 v[16:17], 0xf534ddc0, v2, v[16:17]
	v_dual_mov_b32 v19, v3 :: v_dual_mov_b32 v18, v17
	s_delay_alu instid0(VALU_DEP_2) | instskip(NEXT) | instid1(VALU_DEP_2)
	v_cndmask_b32_e32 v10, v16, v10, vcc_lo
	v_mad_nc_u64_u32 v[18:19], 0xfc2757d1, v2, v[18:19]
	s_delay_alu instid0(VALU_DEP_1) | instskip(NEXT) | instid1(VALU_DEP_1)
	v_dual_mov_b32 v20, v19 :: v_dual_cndmask_b32 v15, v18, v14
	v_mad_nc_u64_u32 v[20:21], 0x4e441529, v2, v[20:21]
	v_add_nc_u32_e32 v5, v11, v5
	s_delay_alu instid0(VALU_DEP_2) | instskip(NEXT) | instid1(VALU_DEP_3)
	v_dual_mov_b32 v23, v3 :: v_dual_cndmask_b32 v13, v20, v16, vcc_lo
	v_mov_b32_e32 v22, v21
	s_delay_alu instid0(VALU_DEP_3) | instskip(NEXT) | instid1(VALU_DEP_2)
	v_cmp_lt_u32_e64 s0, 31, v5
	v_mad_nc_u64_u32 v[2:3], 0xa2f9836e, v2, v[22:23]
	s_delay_alu instid0(VALU_DEP_2) | instskip(NEXT) | instid1(VALU_DEP_1)
	v_cndmask_b32_e64 v11, 0, 0xffffffe0, s0
	v_dual_cndmask_b32 v4, v10, v4, s0 :: v_dual_add_nc_u32 v5, v11, v5
	s_delay_alu instid0(VALU_DEP_3) | instskip(NEXT) | instid1(VALU_DEP_2)
	v_cndmask_b32_e32 v2, v2, v18, vcc_lo
	v_cmp_lt_u32_e64 s1, 31, v5
	v_cndmask_b32_e32 v3, v3, v20, vcc_lo
	s_delay_alu instid0(VALU_DEP_2) | instskip(NEXT) | instid1(VALU_DEP_1)
	v_cndmask_b32_e64 v11, 0, 0xffffffe0, s1
	v_add_nc_u32_e32 v5, v11, v5
	s_delay_alu instid0(VALU_DEP_3) | instskip(SKIP_1) | instid1(VALU_DEP_3)
	v_dual_cndmask_b32 v11, v2, v13, s0 :: v_dual_cndmask_b32 v2, v3, v2, s0
	v_dual_cndmask_b32 v3, v13, v15, s0 :: v_dual_cndmask_b32 v15, v15, v10, s0
	v_sub_nc_u32_e32 v13, 32, v5
	v_cmp_eq_u32_e32 vcc_lo, 0, v5
	s_delay_alu instid0(VALU_DEP_4) | instskip(NEXT) | instid1(VALU_DEP_4)
	v_cndmask_b32_e64 v2, v2, v11, s1
	v_cndmask_b32_e64 v11, v11, v3, s1
	s_delay_alu instid0(VALU_DEP_1) | instskip(NEXT) | instid1(VALU_DEP_1)
	v_alignbit_b32 v16, v2, v11, v13
	v_dual_cndmask_b32 v3, v3, v15, s1 :: v_dual_cndmask_b32 v2, v16, v2, vcc_lo
	s_delay_alu instid0(VALU_DEP_1) | instskip(NEXT) | instid1(VALU_DEP_2)
	v_alignbit_b32 v14, v11, v3, v13
	v_bfe_u32 v10, v2, 29, 1
	s_delay_alu instid0(VALU_DEP_1) | instskip(SKIP_1) | instid1(VALU_DEP_2)
	v_dual_cndmask_b32 v5, v14, v11 :: v_dual_sub_nc_u32 v14, 0, v10
	v_cndmask_b32_e64 v4, v15, v4, s1
	v_alignbit_b32 v11, v2, v5, 30
	s_delay_alu instid0(VALU_DEP_2) | instskip(NEXT) | instid1(VALU_DEP_1)
	v_alignbit_b32 v13, v3, v4, v13
	v_dual_cndmask_b32 v3, v13, v3, vcc_lo :: v_dual_bitop2_b32 v11, v11, v14 bitop3:0x14
	s_delay_alu instid0(VALU_DEP_1) | instskip(NEXT) | instid1(VALU_DEP_2)
	v_clz_i32_u32_e32 v13, v11
	v_alignbit_b32 v5, v5, v3, 30
	s_delay_alu instid0(VALU_DEP_2) | instskip(SKIP_1) | instid1(VALU_DEP_2)
	v_min_u32_e32 v13, 32, v13
	v_alignbit_b32 v3, v3, v4, 30
	v_dual_sub_nc_u32 v5, 31, v13 :: v_dual_bitop2_b32 v4, v5, v14 bitop3:0x14
	s_delay_alu instid0(VALU_DEP_2) | instskip(SKIP_1) | instid1(VALU_DEP_3)
	v_xor_b32_e32 v3, v3, v14
	v_dual_lshrrev_b32 v14, 29, v2 :: v_dual_lshlrev_b32 v15, 23, v13
	v_alignbit_b32 v11, v11, v4, v5
	s_delay_alu instid0(VALU_DEP_3) | instskip(NEXT) | instid1(VALU_DEP_3)
	v_alignbit_b32 v3, v4, v3, v5
	v_lshlrev_b32_e32 v4, 31, v14
	s_delay_alu instid0(VALU_DEP_2) | instskip(NEXT) | instid1(VALU_DEP_2)
	v_alignbit_b32 v5, v11, v3, 9
	v_dual_lshrrev_b32 v11, 9, v11 :: v_dual_bitop2_b32 v14, 0.5, v4 bitop3:0x54
	v_or_b32_e32 v4, 0x33000000, v4
	s_delay_alu instid0(VALU_DEP_3) | instskip(NEXT) | instid1(VALU_DEP_3)
	v_clz_i32_u32_e32 v16, v5
	v_sub_nc_u32_e32 v14, v14, v15
	s_delay_alu instid0(VALU_DEP_2) | instskip(NEXT) | instid1(VALU_DEP_1)
	v_min_u32_e32 v15, 32, v16
	v_add_lshl_u32 v13, v15, v13, 23
	s_delay_alu instid0(VALU_DEP_1) | instskip(SKIP_1) | instid1(VALU_DEP_1)
	v_dual_sub_nc_u32 v4, v4, v13 :: v_dual_bitop2_b32 v11, v11, v14 bitop3:0x54
	v_not_b32_e32 v14, v15
	v_alignbit_b32 v3, v5, v3, v14
	s_delay_alu instid0(VALU_DEP_1) | instskip(NEXT) | instid1(VALU_DEP_4)
	v_lshrrev_b32_e32 v3, 9, v3
	v_mul_f32_e32 v16, 0x3fc90fda, v11
	s_delay_alu instid0(VALU_DEP_2) | instskip(NEXT) | instid1(VALU_DEP_2)
	v_or_b32_e32 v3, v4, v3
	v_fma_f32 v5, 0x3fc90fda, v11, -v16
	s_delay_alu instid0(VALU_DEP_1) | instskip(NEXT) | instid1(VALU_DEP_1)
	v_fmamk_f32 v5, v11, 0x33a22168, v5
	v_fmac_f32_e32 v5, 0x3fc90fda, v3
	s_delay_alu instid0(VALU_DEP_1) | instskip(NEXT) | instid1(VALU_DEP_1)
	v_dual_add_f32 v2, v16, v5 :: v_dual_lshrrev_b32 v3, 30, v2
	v_add_nc_u32_e32 v15, v10, v3
.LBB30_5:
	s_and_not1_saveexec_b32 s0, s8
; %bb.6:
	v_mul_f32_e64 v2, 0x3f22f983, |v1|
	s_delay_alu instid0(VALU_DEP_1) | instskip(NEXT) | instid1(VALU_DEP_1)
	v_rndne_f32_e32 v3, v2
	v_fma_f32 v2, 0xbfc90fda, v3, |v1|
	v_cvt_i32_f32_e32 v15, v3
	s_delay_alu instid0(VALU_DEP_2) | instskip(NEXT) | instid1(VALU_DEP_1)
	v_fmamk_f32 v2, v3, 0xb3a22168, v2
	v_fmamk_f32 v2, v3, 0xa7c234c4, v2
; %bb.7:
	s_or_b32 exec_lo, exec_lo, s0
	v_and_b32_e32 v13, 0xffff0000, v8
                                        ; implicit-def: $vgpr18
                                        ; implicit-def: $vgpr5
	s_mov_b32 s1, exec_lo
	s_delay_alu instid0(VALU_DEP_1)
	v_and_b32_e32 v14, 0x7fffffff, v13
	v_cmpx_ngt_f32_e64 0x48000000, |v13|
	s_xor_b32 s8, exec_lo, s1
	s_cbranch_execz .LBB30_9
; %bb.8:
	s_mov_b32 s0, 0x7fffff
	v_mov_b32_e32 v5, 0
	v_and_or_b32 v4, v14, s0, 0x800000
	s_mov_b64 s[0:1], 0xfe5163ab
	v_lshrrev_b32_e32 v3, 23, v14
	s_delay_alu instid0(VALU_DEP_2) | instskip(NEXT) | instid1(VALU_DEP_1)
	v_mul_u64_e32 v[10:11], s[0:1], v[4:5]
	v_dual_mov_b32 v16, v11 :: v_dual_mov_b32 v17, v5
	v_dual_mov_b32 v19, v5 :: v_dual_mov_b32 v21, v5
	;; [unrolled: 1-line block ×3, first 2 shown]
	s_delay_alu instid0(VALU_DEP_3) | instskip(NEXT) | instid1(VALU_DEP_1)
	v_mad_nc_u64_u32 v[16:17], 0x3c439041, v4, v[16:17]
	v_mov_b32_e32 v18, v17
	s_delay_alu instid0(VALU_DEP_1) | instskip(NEXT) | instid1(VALU_DEP_1)
	v_mad_nc_u64_u32 v[18:19], 0xdb629599, v4, v[18:19]
	v_mov_b32_e32 v20, v19
	s_delay_alu instid0(VALU_DEP_1) | instskip(NEXT) | instid1(VALU_DEP_1)
	;; [unrolled: 3-line block ×3, first 2 shown]
	v_mad_nc_u64_u32 v[22:23], 0xfc2757d1, v4, v[22:23]
	v_dual_mov_b32 v25, v5 :: v_dual_mov_b32 v24, v23
	s_delay_alu instid0(VALU_DEP_1) | instskip(NEXT) | instid1(VALU_DEP_1)
	v_mad_nc_u64_u32 v[24:25], 0x4e441529, v4, v[24:25]
	v_dual_mov_b32 v26, v25 :: v_dual_add_nc_u32 v3, 0xffffff88, v3
	s_delay_alu instid0(VALU_DEP_1) | instskip(NEXT) | instid1(VALU_DEP_2)
	v_cmp_lt_u32_e32 vcc_lo, 63, v3
	v_mad_nc_u64_u32 v[4:5], 0xa2f9836e, v4, v[26:27]
	v_cndmask_b32_e64 v8, 0, 0xffffffc0, vcc_lo
	v_dual_cndmask_b32 v11, v24, v20, vcc_lo :: v_dual_cndmask_b32 v17, v22, v18, vcc_lo
	s_delay_alu instid0(VALU_DEP_2) | instskip(NEXT) | instid1(VALU_DEP_1)
	v_dual_cndmask_b32 v10, v18, v10 :: v_dual_add_nc_u32 v3, v8, v3
	v_cmp_lt_u32_e64 s0, 31, v3
	v_dual_cndmask_b32 v5, v5, v24 :: v_dual_cndmask_b32 v4, v4, v22
	s_delay_alu instid0(VALU_DEP_2) | instskip(NEXT) | instid1(VALU_DEP_1)
	v_cndmask_b32_e64 v8, 0, 0xffffffe0, s0
	v_add_nc_u32_e32 v3, v8, v3
	s_delay_alu instid0(VALU_DEP_1) | instskip(NEXT) | instid1(VALU_DEP_1)
	v_cmp_lt_u32_e64 s1, 31, v3
	v_cndmask_b32_e64 v8, 0, 0xffffffe0, s1
	s_delay_alu instid0(VALU_DEP_1) | instskip(SKIP_2) | instid1(VALU_DEP_3)
	v_add_nc_u32_e32 v3, v8, v3
	v_cndmask_b32_e32 v8, v20, v16, vcc_lo
	v_dual_cndmask_b32 v16, v4, v11, s0 :: v_dual_cndmask_b32 v4, v5, v4, s0
	v_dual_cndmask_b32 v5, v11, v17, s0 :: v_dual_sub_nc_u32 v11, 32, v3
	s_delay_alu instid0(VALU_DEP_3) | instskip(SKIP_1) | instid1(VALU_DEP_4)
	v_cndmask_b32_e64 v17, v17, v8, s0
	v_cmp_eq_u32_e32 vcc_lo, 0, v3
	v_cndmask_b32_e64 v4, v4, v16, s1
	s_delay_alu instid0(VALU_DEP_4) | instskip(NEXT) | instid1(VALU_DEP_4)
	v_cndmask_b32_e64 v16, v16, v5, s1
	v_cndmask_b32_e64 v5, v5, v17, s1
	s_delay_alu instid0(VALU_DEP_2) | instskip(NEXT) | instid1(VALU_DEP_2)
	v_alignbit_b32 v19, v4, v16, v11
	v_alignbit_b32 v18, v16, v5, v11
	s_delay_alu instid0(VALU_DEP_2) | instskip(NEXT) | instid1(VALU_DEP_1)
	v_dual_cndmask_b32 v3, v19, v4, vcc_lo :: v_dual_cndmask_b32 v4, v8, v10, s0
	v_bfe_u32 v10, v3, 29, 1
	s_delay_alu instid0(VALU_DEP_3) | instskip(NEXT) | instid1(VALU_DEP_2)
	v_cndmask_b32_e32 v8, v18, v16, vcc_lo
	v_dual_cndmask_b32 v4, v17, v4, s1 :: v_dual_sub_nc_u32 v17, 0, v10
	s_delay_alu instid0(VALU_DEP_2) | instskip(NEXT) | instid1(VALU_DEP_1)
	v_alignbit_b32 v16, v3, v8, 30
	v_xor_b32_e32 v16, v16, v17
	s_delay_alu instid0(VALU_DEP_3) | instskip(NEXT) | instid1(VALU_DEP_1)
	v_alignbit_b32 v11, v5, v4, v11
	v_cndmask_b32_e32 v5, v11, v5, vcc_lo
	s_delay_alu instid0(VALU_DEP_3) | instskip(NEXT) | instid1(VALU_DEP_2)
	v_clz_i32_u32_e32 v11, v16
	v_alignbit_b32 v8, v8, v5, 30
	s_delay_alu instid0(VALU_DEP_2) | instskip(SKIP_1) | instid1(VALU_DEP_2)
	v_min_u32_e32 v11, 32, v11
	v_alignbit_b32 v4, v5, v4, 30
	v_dual_sub_nc_u32 v8, 31, v11 :: v_dual_bitop2_b32 v5, v8, v17 bitop3:0x14
	s_delay_alu instid0(VALU_DEP_2) | instskip(SKIP_2) | instid1(VALU_DEP_4)
	v_dual_lshrrev_b32 v17, 29, v3 :: v_dual_bitop2_b32 v4, v4, v17 bitop3:0x14
	v_lshlrev_b32_e32 v18, 23, v11
	v_lshrrev_b32_e32 v3, 30, v3
	v_alignbit_b32 v16, v16, v5, v8
	s_delay_alu instid0(VALU_DEP_4) | instskip(SKIP_1) | instid1(VALU_DEP_2)
	v_alignbit_b32 v4, v5, v4, v8
	v_lshlrev_b32_e32 v5, 31, v17
	v_alignbit_b32 v8, v16, v4, 9
	s_delay_alu instid0(VALU_DEP_2) | instskip(SKIP_1) | instid1(VALU_DEP_3)
	v_dual_lshrrev_b32 v16, 9, v16 :: v_dual_bitop2_b32 v17, 0.5, v5 bitop3:0x54
	v_or_b32_e32 v5, 0x33000000, v5
	v_clz_i32_u32_e32 v19, v8
	s_delay_alu instid0(VALU_DEP_3) | instskip(NEXT) | instid1(VALU_DEP_2)
	v_sub_nc_u32_e32 v17, v17, v18
	v_min_u32_e32 v18, 32, v19
	s_delay_alu instid0(VALU_DEP_1) | instskip(NEXT) | instid1(VALU_DEP_3)
	v_add_lshl_u32 v11, v18, v11, 23
	v_or_b32_e32 v16, v16, v17
	v_not_b32_e32 v17, v18
	v_add_nc_u32_e32 v18, v10, v3
	s_delay_alu instid0(VALU_DEP_4) | instskip(NEXT) | instid1(VALU_DEP_4)
	v_sub_nc_u32_e32 v5, v5, v11
	v_mul_f32_e32 v19, 0x3fc90fda, v16
	s_delay_alu instid0(VALU_DEP_4) | instskip(NEXT) | instid1(VALU_DEP_2)
	v_alignbit_b32 v4, v8, v4, v17
	v_fma_f32 v8, 0x3fc90fda, v16, -v19
	s_delay_alu instid0(VALU_DEP_2) | instskip(NEXT) | instid1(VALU_DEP_2)
	v_lshrrev_b32_e32 v4, 9, v4
	v_fmamk_f32 v8, v16, 0x33a22168, v8
	s_delay_alu instid0(VALU_DEP_2) | instskip(NEXT) | instid1(VALU_DEP_1)
	v_or_b32_e32 v4, v5, v4
	v_fmac_f32_e32 v8, 0x3fc90fda, v4
	s_delay_alu instid0(VALU_DEP_1)
	v_add_f32_e32 v5, v19, v8
.LBB30_9:
	s_and_not1_saveexec_b32 s0, s8
; %bb.10:
	v_mul_f32_e64 v3, 0x3f22f983, |v13|
	s_delay_alu instid0(VALU_DEP_1) | instskip(NEXT) | instid1(VALU_DEP_1)
	v_rndne_f32_e32 v3, v3
	v_fma_f32 v4, 0xbfc90fda, v3, |v13|
	v_cvt_i32_f32_e32 v18, v3
	s_delay_alu instid0(VALU_DEP_2) | instskip(NEXT) | instid1(VALU_DEP_1)
	v_fmamk_f32 v4, v3, 0xb3a22168, v4
	v_fmamk_f32 v5, v3, 0xa7c234c4, v4
; %bb.11:
	s_or_b32 exec_lo, exec_lo, s0
	v_lshlrev_b32_e32 v16, 16, v9
                                        ; implicit-def: $vgpr21
	s_mov_b32 s1, exec_lo
	s_delay_alu instid0(VALU_DEP_1)
	v_and_b32_e32 v17, 0x7fffffff, v16
	v_cmpx_ngt_f32_e64 0x48000000, |v16|
	s_xor_b32 s8, exec_lo, s1
	s_cbranch_execz .LBB30_13
; %bb.12:
	s_mov_b32 s0, 0x7fffff
	v_mov_b32_e32 v11, 0
	v_and_or_b32 v10, v17, s0, 0x800000
	s_mov_b64 s[0:1], 0xfe5163ab
	v_lshrrev_b32_e32 v3, 23, v17
	s_delay_alu instid0(VALU_DEP_2) | instskip(NEXT) | instid1(VALU_DEP_1)
	v_mul_u64_e32 v[20:21], s[0:1], v[10:11]
	v_dual_mov_b32 v22, v21 :: v_dual_mov_b32 v23, v11
	v_dual_mov_b32 v25, v11 :: v_dual_mov_b32 v27, v11
	;; [unrolled: 1-line block ×3, first 2 shown]
	s_delay_alu instid0(VALU_DEP_3) | instskip(NEXT) | instid1(VALU_DEP_1)
	v_mad_nc_u64_u32 v[22:23], 0x3c439041, v10, v[22:23]
	v_mov_b32_e32 v24, v23
	s_delay_alu instid0(VALU_DEP_1) | instskip(NEXT) | instid1(VALU_DEP_1)
	v_mad_nc_u64_u32 v[24:25], 0xdb629599, v10, v[24:25]
	v_mov_b32_e32 v26, v25
	s_delay_alu instid0(VALU_DEP_1) | instskip(NEXT) | instid1(VALU_DEP_1)
	;; [unrolled: 3-line block ×3, first 2 shown]
	v_mad_nc_u64_u32 v[28:29], 0xfc2757d1, v10, v[28:29]
	v_dual_mov_b32 v31, v11 :: v_dual_mov_b32 v30, v29
	s_delay_alu instid0(VALU_DEP_1) | instskip(NEXT) | instid1(VALU_DEP_1)
	v_mad_nc_u64_u32 v[30:31], 0x4e441529, v10, v[30:31]
	v_dual_mov_b32 v32, v31 :: v_dual_add_nc_u32 v3, 0xffffff88, v3
	s_delay_alu instid0(VALU_DEP_1) | instskip(NEXT) | instid1(VALU_DEP_2)
	v_cmp_lt_u32_e32 vcc_lo, 63, v3
	v_mad_nc_u64_u32 v[10:11], 0xa2f9836e, v10, v[32:33]
	v_cndmask_b32_e64 v4, 0, 0xffffffc0, vcc_lo
	v_dual_cndmask_b32 v19, v28, v24 :: v_dual_cndmask_b32 v8, v30, v26
	s_delay_alu instid0(VALU_DEP_2) | instskip(NEXT) | instid1(VALU_DEP_1)
	v_add_nc_u32_e32 v3, v4, v3
	v_cmp_lt_u32_e64 s0, 31, v3
	v_dual_cndmask_b32 v10, v10, v28 :: v_dual_cndmask_b32 v11, v11, v30
	s_delay_alu instid0(VALU_DEP_2) | instskip(NEXT) | instid1(VALU_DEP_1)
	v_cndmask_b32_e64 v4, 0, 0xffffffe0, s0
	v_dual_cndmask_b32 v21, v10, v8, s0 :: v_dual_add_nc_u32 v3, v4, v3
	s_delay_alu instid0(VALU_DEP_1) | instskip(NEXT) | instid1(VALU_DEP_1)
	v_cmp_lt_u32_e64 s1, 31, v3
	v_cndmask_b32_e64 v4, 0, 0xffffffe0, s1
	s_delay_alu instid0(VALU_DEP_1) | instskip(SKIP_1) | instid1(VALU_DEP_2)
	v_dual_cndmask_b32 v4, v26, v22 :: v_dual_add_nc_u32 v3, v4, v3
	v_dual_cndmask_b32 v10, v11, v10, s0 :: v_dual_cndmask_b32 v8, v8, v19, s0
	v_dual_sub_nc_u32 v11, 32, v3 :: v_dual_cndmask_b32 v19, v19, v4, s0
	s_delay_alu instid0(VALU_DEP_2) | instskip(SKIP_2) | instid1(VALU_DEP_3)
	v_dual_cndmask_b32 v10, v10, v21, s1 :: v_dual_cndmask_b32 v21, v21, v8, s1
	v_cndmask_b32_e32 v20, v24, v20, vcc_lo
	v_cmp_eq_u32_e32 vcc_lo, 0, v3
	v_alignbit_b32 v22, v10, v21, v11
	s_delay_alu instid0(VALU_DEP_1) | instskip(NEXT) | instid1(VALU_DEP_1)
	v_dual_cndmask_b32 v8, v8, v19, s1 :: v_dual_cndmask_b32 v3, v22, v10, vcc_lo
	v_alignbit_b32 v23, v21, v8, v11
	s_delay_alu instid0(VALU_DEP_1) | instskip(NEXT) | instid1(VALU_DEP_3)
	v_dual_cndmask_b32 v10, v23, v21, vcc_lo :: v_dual_cndmask_b32 v4, v4, v20, s0
	v_bfe_u32 v20, v3, 29, 1
	s_delay_alu instid0(VALU_DEP_1) | instskip(NEXT) | instid1(VALU_DEP_3)
	v_sub_nc_u32_e32 v21, 0, v20
	v_cndmask_b32_e64 v4, v19, v4, s1
	s_delay_alu instid0(VALU_DEP_4) | instskip(NEXT) | instid1(VALU_DEP_1)
	v_alignbit_b32 v19, v3, v10, 30
	v_xor_b32_e32 v19, v19, v21
	s_delay_alu instid0(VALU_DEP_3) | instskip(NEXT) | instid1(VALU_DEP_1)
	v_alignbit_b32 v11, v8, v4, v11
	v_cndmask_b32_e32 v8, v11, v8, vcc_lo
	s_delay_alu instid0(VALU_DEP_3) | instskip(NEXT) | instid1(VALU_DEP_2)
	v_clz_i32_u32_e32 v11, v19
	v_alignbit_b32 v10, v10, v8, 30
	s_delay_alu instid0(VALU_DEP_2) | instskip(SKIP_1) | instid1(VALU_DEP_2)
	v_min_u32_e32 v11, 32, v11
	v_alignbit_b32 v4, v8, v4, 30
	v_dual_sub_nc_u32 v10, 31, v11 :: v_dual_bitop2_b32 v8, v10, v21 bitop3:0x14
	s_delay_alu instid0(VALU_DEP_2) | instskip(SKIP_2) | instid1(VALU_DEP_4)
	v_dual_lshrrev_b32 v21, 29, v3 :: v_dual_bitop2_b32 v4, v4, v21 bitop3:0x14
	v_lshlrev_b32_e32 v22, 23, v11
	v_lshrrev_b32_e32 v3, 30, v3
	v_alignbit_b32 v19, v19, v8, v10
	s_delay_alu instid0(VALU_DEP_4) | instskip(SKIP_1) | instid1(VALU_DEP_2)
	v_alignbit_b32 v4, v8, v4, v10
	v_lshlrev_b32_e32 v8, 31, v21
	v_alignbit_b32 v10, v19, v4, 9
	s_delay_alu instid0(VALU_DEP_2) | instskip(SKIP_1) | instid1(VALU_DEP_3)
	v_dual_lshrrev_b32 v19, 9, v19 :: v_dual_bitop2_b32 v21, 0.5, v8 bitop3:0x54
	v_or_b32_e32 v8, 0x33000000, v8
	v_clz_i32_u32_e32 v23, v10
	s_delay_alu instid0(VALU_DEP_3) | instskip(NEXT) | instid1(VALU_DEP_2)
	v_sub_nc_u32_e32 v21, v21, v22
	v_min_u32_e32 v22, 32, v23
	s_delay_alu instid0(VALU_DEP_1) | instskip(NEXT) | instid1(VALU_DEP_3)
	v_add_lshl_u32 v11, v22, v11, 23
	v_or_b32_e32 v19, v19, v21
	v_not_b32_e32 v21, v22
	s_delay_alu instid0(VALU_DEP_3) | instskip(NEXT) | instid1(VALU_DEP_2)
	v_sub_nc_u32_e32 v8, v8, v11
	v_alignbit_b32 v4, v10, v4, v21
	s_delay_alu instid0(VALU_DEP_4) | instskip(NEXT) | instid1(VALU_DEP_2)
	v_mul_f32_e32 v23, 0x3fc90fda, v19
	v_dual_add_nc_u32 v21, v20, v3 :: v_dual_lshrrev_b32 v4, 9, v4
	s_delay_alu instid0(VALU_DEP_2) | instskip(NEXT) | instid1(VALU_DEP_2)
	v_fma_f32 v10, 0x3fc90fda, v19, -v23
	v_or_b32_e32 v4, v8, v4
	s_delay_alu instid0(VALU_DEP_2) | instskip(NEXT) | instid1(VALU_DEP_1)
	v_fmamk_f32 v10, v19, 0x33a22168, v10
	v_fmac_f32_e32 v10, 0x3fc90fda, v4
	s_delay_alu instid0(VALU_DEP_1)
	v_add_f32_e32 v4, v23, v10
.LBB30_13:
	s_and_not1_saveexec_b32 s0, s8
; %bb.14:
	v_mul_f32_e64 v3, 0x3f22f983, |v16|
	s_delay_alu instid0(VALU_DEP_1) | instskip(NEXT) | instid1(VALU_DEP_1)
	v_rndne_f32_e32 v3, v3
	v_fma_f32 v4, 0xbfc90fda, v3, |v16|
	v_cvt_i32_f32_e32 v21, v3
	s_delay_alu instid0(VALU_DEP_2) | instskip(NEXT) | instid1(VALU_DEP_1)
	v_fmamk_f32 v4, v3, 0xb3a22168, v4
	v_fmamk_f32 v4, v3, 0xa7c234c4, v4
; %bb.15:
	s_or_b32 exec_lo, exec_lo, s0
	v_and_b32_e32 v19, 0xffff0000, v9
                                        ; implicit-def: $vgpr22
                                        ; implicit-def: $vgpr9
	s_mov_b32 s1, exec_lo
	s_delay_alu instid0(VALU_DEP_1)
	v_and_b32_e32 v20, 0x7fffffff, v19
	v_cmpx_ngt_f32_e64 0x48000000, |v19|
	s_xor_b32 s8, exec_lo, s1
	s_cbranch_execz .LBB30_17
; %bb.16:
	s_mov_b32 s0, 0x7fffff
	v_mov_b32_e32 v9, 0
	v_and_or_b32 v8, v20, s0, 0x800000
	s_mov_b64 s[0:1], 0xfe5163ab
	v_lshrrev_b32_e32 v3, 23, v20
	s_delay_alu instid0(VALU_DEP_2) | instskip(NEXT) | instid1(VALU_DEP_1)
	v_mul_u64_e32 v[10:11], s[0:1], v[8:9]
	v_dual_mov_b32 v22, v11 :: v_dual_mov_b32 v23, v9
	v_dual_mov_b32 v25, v9 :: v_dual_mov_b32 v27, v9
	;; [unrolled: 1-line block ×3, first 2 shown]
	s_delay_alu instid0(VALU_DEP_3) | instskip(NEXT) | instid1(VALU_DEP_1)
	v_mad_nc_u64_u32 v[22:23], 0x3c439041, v8, v[22:23]
	v_mov_b32_e32 v24, v23
	s_delay_alu instid0(VALU_DEP_1) | instskip(NEXT) | instid1(VALU_DEP_1)
	v_mad_nc_u64_u32 v[24:25], 0xdb629599, v8, v[24:25]
	v_mov_b32_e32 v26, v25
	s_delay_alu instid0(VALU_DEP_1) | instskip(NEXT) | instid1(VALU_DEP_1)
	;; [unrolled: 3-line block ×3, first 2 shown]
	v_mad_nc_u64_u32 v[28:29], 0xfc2757d1, v8, v[28:29]
	v_dual_mov_b32 v31, v9 :: v_dual_mov_b32 v30, v29
	s_delay_alu instid0(VALU_DEP_1) | instskip(NEXT) | instid1(VALU_DEP_1)
	v_mad_nc_u64_u32 v[30:31], 0x4e441529, v8, v[30:31]
	v_dual_mov_b32 v32, v31 :: v_dual_add_nc_u32 v3, 0xffffff88, v3
	s_delay_alu instid0(VALU_DEP_1) | instskip(NEXT) | instid1(VALU_DEP_2)
	v_cmp_lt_u32_e32 vcc_lo, 63, v3
	v_mad_nc_u64_u32 v[8:9], 0xa2f9836e, v8, v[32:33]
	v_cndmask_b32_e64 v11, 0, 0xffffffc0, vcc_lo
	v_cndmask_b32_e32 v23, v30, v26, vcc_lo
	s_delay_alu instid0(VALU_DEP_2) | instskip(NEXT) | instid1(VALU_DEP_1)
	v_dual_cndmask_b32 v10, v24, v10 :: v_dual_add_nc_u32 v3, v11, v3
	v_cmp_lt_u32_e64 s0, 31, v3
	v_dual_cndmask_b32 v8, v8, v28 :: v_dual_cndmask_b32 v9, v9, v30
	s_delay_alu instid0(VALU_DEP_2) | instskip(NEXT) | instid1(VALU_DEP_1)
	v_cndmask_b32_e64 v11, 0, 0xffffffe0, s0
	v_add_nc_u32_e32 v3, v11, v3
	s_delay_alu instid0(VALU_DEP_1) | instskip(NEXT) | instid1(VALU_DEP_1)
	v_cmp_lt_u32_e64 s1, 31, v3
	v_cndmask_b32_e64 v11, 0, 0xffffffe0, s1
	s_delay_alu instid0(VALU_DEP_1) | instskip(SKIP_1) | instid1(VALU_DEP_2)
	v_dual_cndmask_b32 v25, v28, v24, vcc_lo :: v_dual_add_nc_u32 v3, v11, v3
	v_dual_cndmask_b32 v11, v26, v22, vcc_lo :: v_dual_cndmask_b32 v22, v8, v23, s0
	v_dual_cndmask_b32 v8, v9, v8, s0 :: v_dual_cndmask_b32 v9, v23, v25, s0
	s_delay_alu instid0(VALU_DEP_3) | instskip(NEXT) | instid1(VALU_DEP_3)
	v_sub_nc_u32_e32 v23, 32, v3
	v_cndmask_b32_e64 v25, v25, v11, s0
	v_cmp_eq_u32_e32 vcc_lo, 0, v3
	s_delay_alu instid0(VALU_DEP_4) | instskip(NEXT) | instid1(VALU_DEP_3)
	v_dual_cndmask_b32 v8, v8, v22, s1 :: v_dual_cndmask_b32 v22, v22, v9, s1
	v_cndmask_b32_e64 v9, v9, v25, s1
	s_delay_alu instid0(VALU_DEP_2) | instskip(NEXT) | instid1(VALU_DEP_2)
	v_alignbit_b32 v26, v8, v22, v23
	v_alignbit_b32 v24, v22, v9, v23
	s_delay_alu instid0(VALU_DEP_2) | instskip(NEXT) | instid1(VALU_DEP_2)
	v_dual_cndmask_b32 v3, v26, v8, vcc_lo :: v_dual_cndmask_b32 v8, v11, v10, s0
	v_cndmask_b32_e32 v10, v24, v22, vcc_lo
	s_delay_alu instid0(VALU_DEP_2) | instskip(NEXT) | instid1(VALU_DEP_3)
	v_bfe_u32 v11, v3, 29, 1
	v_cndmask_b32_e64 v8, v25, v8, s1
	s_delay_alu instid0(VALU_DEP_3) | instskip(NEXT) | instid1(VALU_DEP_2)
	v_alignbit_b32 v22, v3, v10, 30
	v_alignbit_b32 v23, v9, v8, v23
	s_delay_alu instid0(VALU_DEP_1) | instskip(NEXT) | instid1(VALU_DEP_1)
	v_dual_cndmask_b32 v9, v23, v9 :: v_dual_sub_nc_u32 v24, 0, v11
	v_xor_b32_e32 v22, v22, v24
	s_delay_alu instid0(VALU_DEP_2) | instskip(NEXT) | instid1(VALU_DEP_2)
	v_alignbit_b32 v10, v10, v9, 30
	v_clz_i32_u32_e32 v23, v22
	v_alignbit_b32 v8, v9, v8, 30
	s_delay_alu instid0(VALU_DEP_3) | instskip(NEXT) | instid1(VALU_DEP_3)
	v_xor_b32_e32 v9, v10, v24
	v_min_u32_e32 v23, 32, v23
	s_delay_alu instid0(VALU_DEP_3) | instskip(SKIP_1) | instid1(VALU_DEP_3)
	v_dual_lshrrev_b32 v24, 29, v3 :: v_dual_bitop2_b32 v8, v8, v24 bitop3:0x14
	v_lshrrev_b32_e32 v3, 30, v3
	v_dual_sub_nc_u32 v10, 31, v23 :: v_dual_lshlrev_b32 v25, 23, v23
	s_delay_alu instid0(VALU_DEP_1) | instskip(NEXT) | instid1(VALU_DEP_4)
	v_alignbit_b32 v22, v22, v9, v10
	v_alignbit_b32 v8, v9, v8, v10
	v_lshlrev_b32_e32 v9, 31, v24
	s_delay_alu instid0(VALU_DEP_2) | instskip(NEXT) | instid1(VALU_DEP_2)
	v_alignbit_b32 v10, v22, v8, 9
	v_dual_lshrrev_b32 v22, 9, v22 :: v_dual_bitop2_b32 v24, 0.5, v9 bitop3:0x54
	v_or_b32_e32 v9, 0x33000000, v9
	s_delay_alu instid0(VALU_DEP_3) | instskip(NEXT) | instid1(VALU_DEP_3)
	v_clz_i32_u32_e32 v26, v10
	v_sub_nc_u32_e32 v24, v24, v25
	s_delay_alu instid0(VALU_DEP_2) | instskip(NEXT) | instid1(VALU_DEP_1)
	v_min_u32_e32 v25, 32, v26
	v_add_lshl_u32 v23, v25, v23, 23
	s_delay_alu instid0(VALU_DEP_3) | instskip(SKIP_1) | instid1(VALU_DEP_2)
	v_or_b32_e32 v22, v22, v24
	v_not_b32_e32 v24, v25
	v_dual_mul_f32 v26, 0x3fc90fda, v22 :: v_dual_sub_nc_u32 v9, v9, v23
	s_delay_alu instid0(VALU_DEP_2) | instskip(NEXT) | instid1(VALU_DEP_2)
	v_alignbit_b32 v8, v10, v8, v24
	v_fma_f32 v10, 0x3fc90fda, v22, -v26
	s_delay_alu instid0(VALU_DEP_2) | instskip(NEXT) | instid1(VALU_DEP_2)
	v_lshrrev_b32_e32 v8, 9, v8
	v_fmamk_f32 v10, v22, 0x33a22168, v10
	s_delay_alu instid0(VALU_DEP_2) | instskip(NEXT) | instid1(VALU_DEP_1)
	v_dual_add_nc_u32 v22, v11, v3 :: v_dual_bitop2_b32 v8, v9, v8 bitop3:0x54
	v_fmac_f32_e32 v10, 0x3fc90fda, v8
	s_delay_alu instid0(VALU_DEP_1)
	v_add_f32_e32 v9, v26, v10
.LBB30_17:
	s_and_not1_saveexec_b32 s0, s8
; %bb.18:
	v_mul_f32_e64 v3, 0x3f22f983, |v19|
	s_delay_alu instid0(VALU_DEP_1) | instskip(NEXT) | instid1(VALU_DEP_1)
	v_rndne_f32_e32 v3, v3
	v_fma_f32 v8, 0xbfc90fda, v3, |v19|
	v_cvt_i32_f32_e32 v22, v3
	s_delay_alu instid0(VALU_DEP_2) | instskip(NEXT) | instid1(VALU_DEP_1)
	v_fmamk_f32 v8, v3, 0xb3a22168, v8
	v_fmamk_f32 v9, v3, 0xa7c234c4, v8
; %bb.19:
	s_or_b32 exec_lo, exec_lo, s0
	s_wait_loadcnt 0x0
	v_lshlrev_b32_e32 v23, 16, v6
                                        ; implicit-def: $vgpr26
                                        ; implicit-def: $vgpr11
	s_mov_b32 s1, exec_lo
	s_delay_alu instid0(VALU_DEP_1)
	v_and_b32_e32 v24, 0x7fffffff, v23
	v_cmpx_ngt_f32_e64 0x48000000, |v23|
	s_xor_b32 s8, exec_lo, s1
	s_cbranch_execz .LBB30_21
; %bb.20:
	s_mov_b32 s0, 0x7fffff
	v_mov_b32_e32 v11, 0
	v_and_or_b32 v10, v24, s0, 0x800000
	s_mov_b64 s[0:1], 0xfe5163ab
	v_lshrrev_b32_e32 v3, 23, v24
	s_delay_alu instid0(VALU_DEP_2) | instskip(NEXT) | instid1(VALU_DEP_1)
	v_mul_u64_e32 v[26:27], s[0:1], v[10:11]
	v_dual_mov_b32 v28, v27 :: v_dual_mov_b32 v29, v11
	v_dual_mov_b32 v31, v11 :: v_dual_mov_b32 v33, v11
	v_dual_mov_b32 v35, v11 :: v_dual_mov_b32 v39, v11
	s_delay_alu instid0(VALU_DEP_3) | instskip(NEXT) | instid1(VALU_DEP_1)
	v_mad_nc_u64_u32 v[28:29], 0x3c439041, v10, v[28:29]
	v_mov_b32_e32 v30, v29
	s_delay_alu instid0(VALU_DEP_1) | instskip(NEXT) | instid1(VALU_DEP_1)
	v_mad_nc_u64_u32 v[30:31], 0xdb629599, v10, v[30:31]
	v_mov_b32_e32 v32, v31
	s_delay_alu instid0(VALU_DEP_1) | instskip(NEXT) | instid1(VALU_DEP_1)
	;; [unrolled: 3-line block ×3, first 2 shown]
	v_mad_nc_u64_u32 v[34:35], 0xfc2757d1, v10, v[34:35]
	v_dual_mov_b32 v37, v11 :: v_dual_mov_b32 v36, v35
	s_delay_alu instid0(VALU_DEP_1) | instskip(NEXT) | instid1(VALU_DEP_1)
	v_mad_nc_u64_u32 v[36:37], 0x4e441529, v10, v[36:37]
	v_dual_mov_b32 v38, v37 :: v_dual_add_nc_u32 v3, 0xffffff88, v3
	s_delay_alu instid0(VALU_DEP_1) | instskip(NEXT) | instid1(VALU_DEP_2)
	v_cmp_lt_u32_e32 vcc_lo, 63, v3
	v_mad_nc_u64_u32 v[10:11], 0xa2f9836e, v10, v[38:39]
	v_cndmask_b32_e64 v8, 0, 0xffffffc0, vcc_lo
	v_dual_cndmask_b32 v25, v36, v32, vcc_lo :: v_dual_cndmask_b32 v27, v34, v30, vcc_lo
	s_delay_alu instid0(VALU_DEP_2) | instskip(NEXT) | instid1(VALU_DEP_1)
	v_dual_cndmask_b32 v26, v30, v26 :: v_dual_add_nc_u32 v3, v8, v3
	v_cmp_lt_u32_e64 s0, 31, v3
	v_cndmask_b32_e32 v10, v10, v34, vcc_lo
	s_delay_alu instid0(VALU_DEP_2) | instskip(NEXT) | instid1(VALU_DEP_1)
	v_cndmask_b32_e64 v8, 0, 0xffffffe0, s0
	v_add_nc_u32_e32 v3, v8, v3
	s_delay_alu instid0(VALU_DEP_1) | instskip(NEXT) | instid1(VALU_DEP_1)
	v_cmp_lt_u32_e64 s1, 31, v3
	v_cndmask_b32_e64 v8, 0, 0xffffffe0, s1
	s_delay_alu instid0(VALU_DEP_1) | instskip(SKIP_1) | instid1(VALU_DEP_2)
	v_dual_cndmask_b32 v11, v11, v36, vcc_lo :: v_dual_add_nc_u32 v3, v8, v3
	v_dual_cndmask_b32 v8, v32, v28, vcc_lo :: v_dual_cndmask_b32 v28, v10, v25, s0
	v_dual_cndmask_b32 v10, v11, v10, s0 :: v_dual_cndmask_b32 v11, v25, v27, s0
	s_delay_alu instid0(VALU_DEP_2) | instskip(SKIP_1) | instid1(VALU_DEP_3)
	v_dual_sub_nc_u32 v25, 32, v3 :: v_dual_cndmask_b32 v27, v27, v8, s0
	v_cmp_eq_u32_e32 vcc_lo, 0, v3
	v_dual_cndmask_b32 v10, v10, v28, s1 :: v_dual_cndmask_b32 v28, v28, v11, s1
	s_delay_alu instid0(VALU_DEP_3) | instskip(NEXT) | instid1(VALU_DEP_2)
	v_dual_cndmask_b32 v8, v8, v26, s0 :: v_dual_cndmask_b32 v11, v11, v27, s1
	v_alignbit_b32 v29, v10, v28, v25
	s_delay_alu instid0(VALU_DEP_2) | instskip(NEXT) | instid1(VALU_DEP_1)
	v_alignbit_b32 v30, v28, v11, v25
	v_dual_cndmask_b32 v3, v29, v10 :: v_dual_cndmask_b32 v10, v30, v28
	s_delay_alu instid0(VALU_DEP_1) | instskip(NEXT) | instid1(VALU_DEP_1)
	v_bfe_u32 v26, v3, 29, 1
	v_dual_sub_nc_u32 v28, 0, v26 :: v_dual_cndmask_b32 v8, v27, v8, s1
	s_delay_alu instid0(VALU_DEP_3) | instskip(NEXT) | instid1(VALU_DEP_2)
	v_alignbit_b32 v27, v3, v10, 30
	v_alignbit_b32 v25, v11, v8, v25
	s_delay_alu instid0(VALU_DEP_1) | instskip(NEXT) | instid1(VALU_DEP_1)
	v_dual_cndmask_b32 v11, v25, v11, vcc_lo :: v_dual_bitop2_b32 v27, v27, v28 bitop3:0x14
	v_clz_i32_u32_e32 v25, v27
	s_delay_alu instid0(VALU_DEP_2) | instskip(NEXT) | instid1(VALU_DEP_2)
	v_alignbit_b32 v10, v10, v11, 30
	v_min_u32_e32 v25, 32, v25
	v_alignbit_b32 v8, v11, v8, 30
	s_delay_alu instid0(VALU_DEP_2) | instskip(NEXT) | instid1(VALU_DEP_2)
	v_dual_sub_nc_u32 v11, 31, v25 :: v_dual_bitop2_b32 v10, v10, v28 bitop3:0x14
	v_dual_lshrrev_b32 v28, 29, v3 :: v_dual_bitop2_b32 v8, v8, v28 bitop3:0x14
	v_dual_lshlrev_b32 v29, 23, v25 :: v_dual_lshrrev_b32 v3, 30, v3
	s_delay_alu instid0(VALU_DEP_3) | instskip(NEXT) | instid1(VALU_DEP_3)
	v_alignbit_b32 v27, v27, v10, v11
	v_alignbit_b32 v8, v10, v8, v11
	s_delay_alu instid0(VALU_DEP_3) | instskip(NEXT) | instid1(VALU_DEP_2)
	v_dual_lshlrev_b32 v10, 31, v28 :: v_dual_add_nc_u32 v26, v26, v3
	v_alignbit_b32 v11, v27, v8, 9
	s_delay_alu instid0(VALU_DEP_2) | instskip(SKIP_1) | instid1(VALU_DEP_3)
	v_dual_lshrrev_b32 v27, 9, v27 :: v_dual_bitop2_b32 v28, 0.5, v10 bitop3:0x54
	v_or_b32_e32 v10, 0x33000000, v10
	v_clz_i32_u32_e32 v30, v11
	s_delay_alu instid0(VALU_DEP_3) | instskip(NEXT) | instid1(VALU_DEP_2)
	v_sub_nc_u32_e32 v28, v28, v29
	v_min_u32_e32 v29, 32, v30
	s_delay_alu instid0(VALU_DEP_1) | instskip(NEXT) | instid1(VALU_DEP_3)
	v_add_lshl_u32 v25, v29, v25, 23
	v_or_b32_e32 v27, v27, v28
	v_not_b32_e32 v28, v29
	s_delay_alu instid0(VALU_DEP_3) | instskip(NEXT) | instid1(VALU_DEP_2)
	v_sub_nc_u32_e32 v10, v10, v25
	v_alignbit_b32 v8, v11, v8, v28
	s_delay_alu instid0(VALU_DEP_1) | instskip(NEXT) | instid1(VALU_DEP_1)
	v_lshrrev_b32_e32 v8, 9, v8
	v_or_b32_e32 v8, v10, v8
	v_mul_f32_e32 v30, 0x3fc90fda, v27
	s_delay_alu instid0(VALU_DEP_1) | instskip(NEXT) | instid1(VALU_DEP_1)
	v_fma_f32 v11, 0x3fc90fda, v27, -v30
	v_fmamk_f32 v11, v27, 0x33a22168, v11
	s_delay_alu instid0(VALU_DEP_1) | instskip(NEXT) | instid1(VALU_DEP_1)
	v_fmac_f32_e32 v11, 0x3fc90fda, v8
	v_add_f32_e32 v11, v30, v11
.LBB30_21:
	s_and_not1_saveexec_b32 s0, s8
; %bb.22:
	v_mul_f32_e64 v3, 0x3f22f983, |v23|
	s_delay_alu instid0(VALU_DEP_1) | instskip(NEXT) | instid1(VALU_DEP_1)
	v_rndne_f32_e32 v3, v3
	v_fma_f32 v8, 0xbfc90fda, v3, |v23|
	v_cvt_i32_f32_e32 v26, v3
	s_delay_alu instid0(VALU_DEP_2) | instskip(NEXT) | instid1(VALU_DEP_1)
	v_fmamk_f32 v8, v3, 0xb3a22168, v8
	v_fmamk_f32 v11, v3, 0xa7c234c4, v8
; %bb.23:
	s_or_b32 exec_lo, exec_lo, s0
	v_and_b32_e32 v6, 0xffff0000, v6
                                        ; implicit-def: $vgpr29
	s_mov_b32 s1, exec_lo
	s_delay_alu instid0(VALU_DEP_1)
	v_and_b32_e32 v25, 0x7fffffff, v6
	v_cmpx_ngt_f32_e64 0x48000000, |v6|
	s_xor_b32 s8, exec_lo, s1
	s_cbranch_execz .LBB30_25
; %bb.24:
	s_mov_b32 s0, 0x7fffff
	v_mov_b32_e32 v29, 0
	v_and_or_b32 v28, v25, s0, 0x800000
	s_mov_b64 s[0:1], 0xfe5163ab
	v_lshrrev_b32_e32 v3, 23, v25
	s_delay_alu instid0(VALU_DEP_2) | instskip(NEXT) | instid1(VALU_DEP_1)
	v_mul_u64_e32 v[30:31], s[0:1], v[28:29]
	v_dual_mov_b32 v32, v31 :: v_dual_mov_b32 v33, v29
	v_dual_mov_b32 v35, v29 :: v_dual_mov_b32 v37, v29
	;; [unrolled: 1-line block ×3, first 2 shown]
	s_delay_alu instid0(VALU_DEP_3) | instskip(NEXT) | instid1(VALU_DEP_1)
	v_mad_nc_u64_u32 v[32:33], 0x3c439041, v28, v[32:33]
	v_mov_b32_e32 v34, v33
	s_delay_alu instid0(VALU_DEP_1) | instskip(NEXT) | instid1(VALU_DEP_1)
	v_mad_nc_u64_u32 v[34:35], 0xdb629599, v28, v[34:35]
	v_mov_b32_e32 v36, v35
	s_delay_alu instid0(VALU_DEP_1) | instskip(NEXT) | instid1(VALU_DEP_1)
	;; [unrolled: 3-line block ×3, first 2 shown]
	v_mad_nc_u64_u32 v[38:39], 0xfc2757d1, v28, v[38:39]
	v_dual_mov_b32 v41, v29 :: v_dual_mov_b32 v40, v39
	s_delay_alu instid0(VALU_DEP_1) | instskip(NEXT) | instid1(VALU_DEP_1)
	v_mad_nc_u64_u32 v[40:41], 0x4e441529, v28, v[40:41]
	v_dual_mov_b32 v42, v41 :: v_dual_add_nc_u32 v3, 0xffffff88, v3
	s_delay_alu instid0(VALU_DEP_1) | instskip(NEXT) | instid1(VALU_DEP_2)
	v_cmp_lt_u32_e32 vcc_lo, 63, v3
	v_mad_nc_u64_u32 v[28:29], 0xa2f9836e, v28, v[42:43]
	v_cndmask_b32_e64 v8, 0, 0xffffffc0, vcc_lo
	v_dual_cndmask_b32 v10, v40, v36, vcc_lo :: v_dual_cndmask_b32 v30, v34, v30, vcc_lo
	s_delay_alu instid0(VALU_DEP_2) | instskip(NEXT) | instid1(VALU_DEP_1)
	v_add_nc_u32_e32 v3, v8, v3
	v_cmp_lt_u32_e64 s0, 31, v3
	v_dual_cndmask_b32 v27, v28, v38 :: v_dual_cndmask_b32 v28, v29, v40
	v_cndmask_b32_e32 v29, v38, v34, vcc_lo
	s_delay_alu instid0(VALU_DEP_3) | instskip(NEXT) | instid1(VALU_DEP_2)
	v_cndmask_b32_e64 v8, 0, 0xffffffe0, s0
	v_dual_cndmask_b32 v31, v27, v10, s0 :: v_dual_cndmask_b32 v10, v10, v29, s0
	s_delay_alu instid0(VALU_DEP_2) | instskip(NEXT) | instid1(VALU_DEP_1)
	v_add_nc_u32_e32 v3, v8, v3
	v_cmp_lt_u32_e64 s1, 31, v3
	s_delay_alu instid0(VALU_DEP_1) | instskip(NEXT) | instid1(VALU_DEP_1)
	v_cndmask_b32_e64 v8, 0, 0xffffffe0, s1
	v_add_nc_u32_e32 v3, v8, v3
	v_cndmask_b32_e32 v8, v36, v32, vcc_lo
	v_cndmask_b32_e64 v27, v28, v27, s0
	s_delay_alu instid0(VALU_DEP_2) | instskip(NEXT) | instid1(VALU_DEP_2)
	v_dual_sub_nc_u32 v28, 32, v3 :: v_dual_cndmask_b32 v29, v29, v8, s0
	v_cndmask_b32_e64 v27, v27, v31, s1
	v_cmp_eq_u32_e32 vcc_lo, 0, v3
	s_delay_alu instid0(VALU_DEP_3) | instskip(NEXT) | instid1(VALU_DEP_1)
	v_dual_cndmask_b32 v31, v31, v10, s1 :: v_dual_cndmask_b32 v10, v10, v29, s1
	v_alignbit_b32 v32, v27, v31, v28
	s_delay_alu instid0(VALU_DEP_1) | instskip(NEXT) | instid1(VALU_DEP_3)
	v_cndmask_b32_e32 v3, v32, v27, vcc_lo
	v_alignbit_b32 v33, v31, v10, v28
	s_delay_alu instid0(VALU_DEP_1) | instskip(NEXT) | instid1(VALU_DEP_3)
	v_dual_cndmask_b32 v27, v33, v31, vcc_lo :: v_dual_cndmask_b32 v8, v8, v30, s0
	v_bfe_u32 v30, v3, 29, 1
	s_delay_alu instid0(VALU_DEP_1) | instskip(NEXT) | instid1(VALU_DEP_3)
	v_dual_sub_nc_u32 v31, 0, v30 :: v_dual_cndmask_b32 v8, v29, v8, s1
	v_alignbit_b32 v29, v3, v27, 30
	s_delay_alu instid0(VALU_DEP_1) | instskip(NEXT) | instid1(VALU_DEP_3)
	v_xor_b32_e32 v29, v29, v31
	v_alignbit_b32 v28, v10, v8, v28
	s_delay_alu instid0(VALU_DEP_1) | instskip(NEXT) | instid1(VALU_DEP_3)
	v_cndmask_b32_e32 v10, v28, v10, vcc_lo
	v_clz_i32_u32_e32 v28, v29
	s_delay_alu instid0(VALU_DEP_2) | instskip(NEXT) | instid1(VALU_DEP_2)
	v_alignbit_b32 v27, v27, v10, 30
	v_min_u32_e32 v28, 32, v28
	v_alignbit_b32 v8, v10, v8, 30
	s_delay_alu instid0(VALU_DEP_2) | instskip(NEXT) | instid1(VALU_DEP_2)
	v_dual_lshlrev_b32 v32, 23, v28 :: v_dual_bitop2_b32 v10, v27, v31 bitop3:0x14
	v_dual_sub_nc_u32 v27, 31, v28 :: v_dual_bitop2_b32 v8, v8, v31 bitop3:0x14
	s_delay_alu instid0(VALU_DEP_1) | instskip(SKIP_1) | instid1(VALU_DEP_3)
	v_alignbit_b32 v29, v29, v10, v27
	v_lshrrev_b32_e32 v31, 29, v3
	v_alignbit_b32 v8, v10, v8, v27
	v_lshrrev_b32_e32 v3, 30, v3
	s_delay_alu instid0(VALU_DEP_2) | instskip(NEXT) | instid1(VALU_DEP_4)
	v_alignbit_b32 v27, v29, v8, 9
	v_dual_lshrrev_b32 v29, 9, v29 :: v_dual_lshlrev_b32 v10, 31, v31
	s_delay_alu instid0(VALU_DEP_2) | instskip(NEXT) | instid1(VALU_DEP_2)
	v_clz_i32_u32_e32 v33, v27
	v_or_b32_e32 v31, 0.5, v10
	v_or_b32_e32 v10, 0x33000000, v10
	s_delay_alu instid0(VALU_DEP_2) | instskip(NEXT) | instid1(VALU_DEP_4)
	v_sub_nc_u32_e32 v31, v31, v32
	v_min_u32_e32 v32, 32, v33
	s_delay_alu instid0(VALU_DEP_2) | instskip(NEXT) | instid1(VALU_DEP_2)
	v_or_b32_e32 v29, v29, v31
	v_not_b32_e32 v31, v32
	v_add_lshl_u32 v28, v32, v28, 23
	s_delay_alu instid0(VALU_DEP_2) | instskip(NEXT) | instid1(VALU_DEP_2)
	v_alignbit_b32 v8, v27, v8, v31
	v_sub_nc_u32_e32 v10, v10, v28
	s_delay_alu instid0(VALU_DEP_2) | instskip(NEXT) | instid1(VALU_DEP_1)
	v_dual_mul_f32 v33, 0x3fc90fda, v29 :: v_dual_lshrrev_b32 v8, 9, v8
	v_or_b32_e32 v8, v10, v8
	s_delay_alu instid0(VALU_DEP_2) | instskip(NEXT) | instid1(VALU_DEP_1)
	v_fma_f32 v27, 0x3fc90fda, v29, -v33
	v_fmamk_f32 v27, v29, 0x33a22168, v27
	v_add_nc_u32_e32 v29, v30, v3
	s_delay_alu instid0(VALU_DEP_2) | instskip(NEXT) | instid1(VALU_DEP_1)
	v_fmac_f32_e32 v27, 0x3fc90fda, v8
	v_add_f32_e32 v10, v33, v27
.LBB30_25:
	s_and_not1_saveexec_b32 s0, s8
; %bb.26:
	v_mul_f32_e64 v3, 0x3f22f983, |v6|
	s_delay_alu instid0(VALU_DEP_1) | instskip(NEXT) | instid1(VALU_DEP_1)
	v_rndne_f32_e32 v3, v3
	v_fma_f32 v8, 0xbfc90fda, v3, |v6|
	v_cvt_i32_f32_e32 v29, v3
	s_delay_alu instid0(VALU_DEP_2) | instskip(NEXT) | instid1(VALU_DEP_1)
	v_fmamk_f32 v8, v3, 0xb3a22168, v8
	v_fmamk_f32 v10, v3, 0xa7c234c4, v8
; %bb.27:
	s_or_b32 exec_lo, exec_lo, s0
	v_lshlrev_b32_e32 v27, 16, v7
                                        ; implicit-def: $vgpr31
	s_mov_b32 s1, exec_lo
	s_delay_alu instid0(VALU_DEP_1)
	v_and_b32_e32 v28, 0x7fffffff, v27
	v_cmpx_ngt_f32_e64 0x48000000, |v27|
	s_xor_b32 s8, exec_lo, s1
	s_cbranch_execz .LBB30_29
; %bb.28:
	s_mov_b32 s0, 0x7fffff
	v_mov_b32_e32 v31, 0
	v_and_or_b32 v30, v28, s0, 0x800000
	s_mov_b64 s[0:1], 0xfe5163ab
	v_lshrrev_b32_e32 v3, 23, v28
	s_delay_alu instid0(VALU_DEP_2) | instskip(NEXT) | instid1(VALU_DEP_1)
	v_mul_u64_e32 v[32:33], s[0:1], v[30:31]
	v_dual_mov_b32 v34, v33 :: v_dual_mov_b32 v35, v31
	v_dual_mov_b32 v37, v31 :: v_dual_mov_b32 v39, v31
	;; [unrolled: 1-line block ×3, first 2 shown]
	s_delay_alu instid0(VALU_DEP_3) | instskip(NEXT) | instid1(VALU_DEP_1)
	v_mad_nc_u64_u32 v[34:35], 0x3c439041, v30, v[34:35]
	v_mov_b32_e32 v36, v35
	s_delay_alu instid0(VALU_DEP_1) | instskip(NEXT) | instid1(VALU_DEP_1)
	v_mad_nc_u64_u32 v[36:37], 0xdb629599, v30, v[36:37]
	v_mov_b32_e32 v38, v37
	s_delay_alu instid0(VALU_DEP_1) | instskip(NEXT) | instid1(VALU_DEP_1)
	v_mad_nc_u64_u32 v[38:39], 0xf534ddc0, v30, v[38:39]
	v_mov_b32_e32 v40, v39
	s_delay_alu instid0(VALU_DEP_1) | instskip(NEXT) | instid1(VALU_DEP_1)
	v_mad_nc_u64_u32 v[40:41], 0xfc2757d1, v30, v[40:41]
	v_dual_mov_b32 v43, v31 :: v_dual_mov_b32 v42, v41
	s_delay_alu instid0(VALU_DEP_1) | instskip(NEXT) | instid1(VALU_DEP_1)
	v_mad_nc_u64_u32 v[42:43], 0x4e441529, v30, v[42:43]
	v_dual_mov_b32 v44, v43 :: v_dual_add_nc_u32 v3, 0xffffff88, v3
	s_delay_alu instid0(VALU_DEP_1) | instskip(NEXT) | instid1(VALU_DEP_2)
	v_cmp_lt_u32_e32 vcc_lo, 63, v3
	v_mad_nc_u64_u32 v[30:31], 0xa2f9836e, v30, v[44:45]
	v_cndmask_b32_e64 v8, 0, 0xffffffc0, vcc_lo
	v_dual_cndmask_b32 v35, v40, v36, vcc_lo :: v_dual_cndmask_b32 v33, v42, v38, vcc_lo
	v_cndmask_b32_e32 v32, v36, v32, vcc_lo
	s_delay_alu instid0(VALU_DEP_3) | instskip(NEXT) | instid1(VALU_DEP_1)
	v_add_nc_u32_e32 v3, v8, v3
	v_cmp_lt_u32_e64 s0, 31, v3
	v_dual_cndmask_b32 v30, v30, v40 :: v_dual_cndmask_b32 v31, v31, v42
	s_delay_alu instid0(VALU_DEP_2) | instskip(NEXT) | instid1(VALU_DEP_1)
	v_cndmask_b32_e64 v8, 0, 0xffffffe0, s0
	v_add_nc_u32_e32 v3, v8, v3
	s_delay_alu instid0(VALU_DEP_1) | instskip(NEXT) | instid1(VALU_DEP_1)
	v_cmp_lt_u32_e64 s1, 31, v3
	v_cndmask_b32_e64 v8, 0, 0xffffffe0, s1
	s_delay_alu instid0(VALU_DEP_1) | instskip(SKIP_2) | instid1(VALU_DEP_3)
	v_dual_cndmask_b32 v8, v38, v34 :: v_dual_add_nc_u32 v3, v8, v3
	v_dual_cndmask_b32 v34, v30, v33, s0 :: v_dual_cndmask_b32 v30, v31, v30, s0
	v_cndmask_b32_e64 v31, v33, v35, s0
	v_dual_sub_nc_u32 v33, 32, v3 :: v_dual_cndmask_b32 v35, v35, v8, s0
	v_cmp_eq_u32_e32 vcc_lo, 0, v3
	s_delay_alu instid0(VALU_DEP_4) | instskip(NEXT) | instid1(VALU_DEP_4)
	v_cndmask_b32_e64 v30, v30, v34, s1
	v_dual_cndmask_b32 v34, v34, v31, s1 :: v_dual_cndmask_b32 v8, v8, v32, s0
	s_delay_alu instid0(VALU_DEP_4) | instskip(NEXT) | instid1(VALU_DEP_2)
	v_cndmask_b32_e64 v31, v31, v35, s1
	v_alignbit_b32 v37, v30, v34, v33
	s_delay_alu instid0(VALU_DEP_3) | instskip(NEXT) | instid1(VALU_DEP_3)
	v_cndmask_b32_e64 v8, v35, v8, s1
	v_alignbit_b32 v36, v34, v31, v33
	s_delay_alu instid0(VALU_DEP_3) | instskip(NEXT) | instid1(VALU_DEP_3)
	v_cndmask_b32_e32 v3, v37, v30, vcc_lo
	v_alignbit_b32 v33, v31, v8, v33
	s_delay_alu instid0(VALU_DEP_3) | instskip(NEXT) | instid1(VALU_DEP_3)
	v_cndmask_b32_e32 v30, v36, v34, vcc_lo
	v_bfe_u32 v32, v3, 29, 1
	s_delay_alu instid0(VALU_DEP_3) | instskip(NEXT) | instid1(VALU_DEP_3)
	v_cndmask_b32_e32 v31, v33, v31, vcc_lo
	v_alignbit_b32 v34, v3, v30, 30
	s_delay_alu instid0(VALU_DEP_3) | instskip(NEXT) | instid1(VALU_DEP_3)
	v_sub_nc_u32_e32 v35, 0, v32
	v_alignbit_b32 v30, v30, v31, 30
	v_alignbit_b32 v8, v31, v8, 30
	s_delay_alu instid0(VALU_DEP_3) | instskip(NEXT) | instid1(VALU_DEP_2)
	v_xor_b32_e32 v34, v34, v35
	v_xor_b32_e32 v8, v8, v35
	s_delay_alu instid0(VALU_DEP_2) | instskip(NEXT) | instid1(VALU_DEP_1)
	v_clz_i32_u32_e32 v33, v34
	v_min_u32_e32 v33, 32, v33
	s_delay_alu instid0(VALU_DEP_1) | instskip(SKIP_1) | instid1(VALU_DEP_1)
	v_dual_lshlrev_b32 v36, 23, v33 :: v_dual_bitop2_b32 v30, v30, v35 bitop3:0x14
	v_sub_nc_u32_e32 v31, 31, v33
	v_alignbit_b32 v34, v34, v30, v31
	v_lshrrev_b32_e32 v35, 29, v3
	v_alignbit_b32 v8, v30, v8, v31
	s_delay_alu instid0(VALU_DEP_1) | instskip(NEXT) | instid1(VALU_DEP_3)
	v_alignbit_b32 v31, v34, v8, 9
	v_dual_lshrrev_b32 v34, 9, v34 :: v_dual_lshlrev_b32 v30, 31, v35
	s_delay_alu instid0(VALU_DEP_2) | instskip(NEXT) | instid1(VALU_DEP_2)
	v_clz_i32_u32_e32 v37, v31
	v_or_b32_e32 v35, 0.5, v30
	v_or_b32_e32 v30, 0x33000000, v30
	s_delay_alu instid0(VALU_DEP_2) | instskip(NEXT) | instid1(VALU_DEP_4)
	v_sub_nc_u32_e32 v35, v35, v36
	v_min_u32_e32 v36, 32, v37
	s_delay_alu instid0(VALU_DEP_2) | instskip(NEXT) | instid1(VALU_DEP_2)
	v_or_b32_e32 v34, v34, v35
	v_not_b32_e32 v35, v36
	v_add_lshl_u32 v33, v36, v33, 23
	s_delay_alu instid0(VALU_DEP_2) | instskip(NEXT) | instid1(VALU_DEP_1)
	v_alignbit_b32 v8, v31, v8, v35
	v_dual_sub_nc_u32 v30, v30, v33 :: v_dual_lshrrev_b32 v8, 9, v8
	v_mul_f32_e32 v37, 0x3fc90fda, v34
	s_delay_alu instid0(VALU_DEP_2) | instskip(NEXT) | instid1(VALU_DEP_2)
	v_or_b32_e32 v8, v30, v8
	v_fma_f32 v31, 0x3fc90fda, v34, -v37
	s_delay_alu instid0(VALU_DEP_1) | instskip(NEXT) | instid1(VALU_DEP_1)
	v_fmamk_f32 v31, v34, 0x33a22168, v31
	v_dual_fmac_f32 v31, 0x3fc90fda, v8 :: v_dual_lshrrev_b32 v8, 30, v3
	s_delay_alu instid0(VALU_DEP_1)
	v_dual_add_f32 v3, v37, v31 :: v_dual_add_nc_u32 v31, v32, v8
.LBB30_29:
	s_and_not1_saveexec_b32 s0, s8
; %bb.30:
	v_mul_f32_e64 v3, 0x3f22f983, |v27|
	s_delay_alu instid0(VALU_DEP_1) | instskip(NEXT) | instid1(VALU_DEP_1)
	v_rndne_f32_e32 v8, v3
	v_fma_f32 v3, 0xbfc90fda, v8, |v27|
	v_cvt_i32_f32_e32 v31, v8
	s_delay_alu instid0(VALU_DEP_2) | instskip(NEXT) | instid1(VALU_DEP_1)
	v_fmamk_f32 v3, v8, 0xb3a22168, v3
	v_fmamk_f32 v3, v8, 0xa7c234c4, v3
; %bb.31:
	s_or_b32 exec_lo, exec_lo, s0
	v_and_b32_e32 v7, 0xffff0000, v7
                                        ; implicit-def: $vgpr32
	s_mov_b32 s1, exec_lo
	s_delay_alu instid0(VALU_DEP_1)
	v_and_b32_e32 v30, 0x7fffffff, v7
	v_cmpx_ngt_f32_e64 0x48000000, |v7|
	s_xor_b32 s8, exec_lo, s1
	s_cbranch_execz .LBB30_33
; %bb.32:
	s_mov_b32 s0, 0x7fffff
	v_mov_b32_e32 v33, 0
	v_and_or_b32 v32, v30, s0, 0x800000
	s_mov_b64 s[0:1], 0xfe5163ab
	v_lshrrev_b32_e32 v8, 23, v30
	s_delay_alu instid0(VALU_DEP_2) | instskip(NEXT) | instid1(VALU_DEP_1)
	v_mul_u64_e32 v[34:35], s[0:1], v[32:33]
	v_dual_mov_b32 v36, v35 :: v_dual_mov_b32 v37, v33
	v_dual_mov_b32 v39, v33 :: v_dual_mov_b32 v41, v33
	s_delay_alu instid0(VALU_DEP_4) | instskip(SKIP_1) | instid1(VALU_DEP_4)
	v_dual_mov_b32 v43, v33 :: v_dual_add_nc_u32 v8, 0xffffff88, v8
	v_mov_b32_e32 v47, v33
	v_mad_nc_u64_u32 v[36:37], 0x3c439041, v32, v[36:37]
	s_delay_alu instid0(VALU_DEP_3) | instskip(SKIP_1) | instid1(VALU_DEP_3)
	v_cmp_lt_u32_e32 vcc_lo, 63, v8
	v_cndmask_b32_e64 v35, 0, 0xffffffc0, vcc_lo
	v_mov_b32_e32 v38, v37
	s_delay_alu instid0(VALU_DEP_1) | instskip(NEXT) | instid1(VALU_DEP_1)
	v_mad_nc_u64_u32 v[38:39], 0xdb629599, v32, v[38:39]
	v_dual_mov_b32 v40, v39 :: v_dual_cndmask_b32 v34, v38, v34, vcc_lo
	s_delay_alu instid0(VALU_DEP_1) | instskip(NEXT) | instid1(VALU_DEP_1)
	v_mad_nc_u64_u32 v[40:41], 0xf534ddc0, v32, v[40:41]
	v_mov_b32_e32 v42, v41
	s_delay_alu instid0(VALU_DEP_1) | instskip(NEXT) | instid1(VALU_DEP_1)
	v_mad_nc_u64_u32 v[42:43], 0xfc2757d1, v32, v[42:43]
	v_dual_mov_b32 v45, v33 :: v_dual_mov_b32 v44, v43
	s_delay_alu instid0(VALU_DEP_2) | instskip(NEXT) | instid1(VALU_DEP_2)
	v_cndmask_b32_e32 v39, v42, v38, vcc_lo
	v_mad_nc_u64_u32 v[44:45], 0x4e441529, v32, v[44:45]
	s_delay_alu instid0(VALU_DEP_1) | instskip(NEXT) | instid1(VALU_DEP_1)
	v_dual_add_nc_u32 v8, v35, v8 :: v_dual_mov_b32 v46, v45
	v_cmp_lt_u32_e64 s0, 31, v8
	s_delay_alu instid0(VALU_DEP_3) | instskip(NEXT) | instid1(VALU_DEP_3)
	v_cndmask_b32_e32 v37, v44, v40, vcc_lo
	v_mad_nc_u64_u32 v[32:33], 0xa2f9836e, v32, v[46:47]
	s_delay_alu instid0(VALU_DEP_3) | instskip(NEXT) | instid1(VALU_DEP_1)
	v_cndmask_b32_e64 v35, 0, 0xffffffe0, s0
	v_dual_add_nc_u32 v8, v35, v8 :: v_dual_cndmask_b32 v32, v32, v42, vcc_lo
	s_delay_alu instid0(VALU_DEP_1) | instskip(NEXT) | instid1(VALU_DEP_4)
	v_cmp_lt_u32_e64 s1, 31, v8
	v_cndmask_b32_e32 v33, v33, v44, vcc_lo
	s_delay_alu instid0(VALU_DEP_2) | instskip(NEXT) | instid1(VALU_DEP_1)
	v_cndmask_b32_e64 v35, 0, 0xffffffe0, s1
	v_add_nc_u32_e32 v8, v35, v8
	v_cndmask_b32_e32 v35, v40, v36, vcc_lo
	s_delay_alu instid0(VALU_DEP_4) | instskip(NEXT) | instid1(VALU_DEP_3)
	v_dual_cndmask_b32 v36, v32, v37, s0 :: v_dual_cndmask_b32 v32, v33, v32, s0
	v_dual_cndmask_b32 v33, v37, v39, s0 :: v_dual_sub_nc_u32 v37, 32, v8
	s_delay_alu instid0(VALU_DEP_3) | instskip(SKIP_1) | instid1(VALU_DEP_4)
	v_cndmask_b32_e64 v39, v39, v35, s0
	v_cmp_eq_u32_e32 vcc_lo, 0, v8
	v_cndmask_b32_e64 v32, v32, v36, s1
	s_delay_alu instid0(VALU_DEP_3) | instskip(NEXT) | instid1(VALU_DEP_1)
	v_dual_cndmask_b32 v36, v36, v33, s1 :: v_dual_cndmask_b32 v33, v33, v39, s1
	v_alignbit_b32 v40, v32, v36, v37
	s_delay_alu instid0(VALU_DEP_2) | instskip(NEXT) | instid1(VALU_DEP_2)
	v_alignbit_b32 v38, v36, v33, v37
	v_dual_cndmask_b32 v8, v40, v32, vcc_lo :: v_dual_cndmask_b32 v32, v35, v34, s0
	s_delay_alu instid0(VALU_DEP_1) | instskip(NEXT) | instid1(VALU_DEP_1)
	v_bfe_u32 v35, v8, 29, 1
	v_dual_cndmask_b32 v34, v38, v36, vcc_lo :: v_dual_sub_nc_u32 v38, 0, v35
	s_delay_alu instid0(VALU_DEP_1) | instskip(NEXT) | instid1(VALU_DEP_1)
	v_alignbit_b32 v36, v8, v34, 30
	v_dual_cndmask_b32 v32, v39, v32, s1 :: v_dual_bitop2_b32 v36, v36, v38 bitop3:0x14
	s_delay_alu instid0(VALU_DEP_1) | instskip(NEXT) | instid1(VALU_DEP_1)
	v_alignbit_b32 v37, v33, v32, v37
	v_cndmask_b32_e32 v33, v37, v33, vcc_lo
	s_delay_alu instid0(VALU_DEP_3) | instskip(NEXT) | instid1(VALU_DEP_2)
	v_clz_i32_u32_e32 v37, v36
	v_alignbit_b32 v32, v33, v32, 30
	s_delay_alu instid0(VALU_DEP_2) | instskip(NEXT) | instid1(VALU_DEP_2)
	v_min_u32_e32 v37, 32, v37
	v_xor_b32_e32 v32, v32, v38
	v_alignbit_b32 v34, v34, v33, 30
	s_delay_alu instid0(VALU_DEP_1) | instskip(SKIP_1) | instid1(VALU_DEP_1)
	v_dual_lshlrev_b32 v39, 23, v37 :: v_dual_bitop2_b32 v33, v34, v38 bitop3:0x14
	v_dual_sub_nc_u32 v34, 31, v37 :: v_dual_lshrrev_b32 v38, 29, v8
	v_alignbit_b32 v36, v36, v33, v34
	v_alignbit_b32 v32, v33, v32, v34
	s_delay_alu instid0(VALU_DEP_3) | instskip(NEXT) | instid1(VALU_DEP_2)
	v_lshlrev_b32_e32 v33, 31, v38
	v_alignbit_b32 v34, v36, v32, 9
	s_delay_alu instid0(VALU_DEP_2) | instskip(NEXT) | instid1(VALU_DEP_2)
	v_dual_lshrrev_b32 v36, 9, v36 :: v_dual_bitop2_b32 v38, 0.5, v33 bitop3:0x54
	v_clz_i32_u32_e32 v40, v34
	s_delay_alu instid0(VALU_DEP_2) | instskip(SKIP_1) | instid1(VALU_DEP_3)
	v_sub_nc_u32_e32 v38, v38, v39
	v_or_b32_e32 v33, 0x33000000, v33
	v_min_u32_e32 v39, 32, v40
	s_delay_alu instid0(VALU_DEP_1) | instskip(NEXT) | instid1(VALU_DEP_4)
	v_add_lshl_u32 v37, v39, v37, 23
	v_or_b32_e32 v36, v36, v38
	v_not_b32_e32 v38, v39
	s_delay_alu instid0(VALU_DEP_2) | instskip(NEXT) | instid1(VALU_DEP_2)
	v_dual_mul_f32 v40, 0x3fc90fda, v36 :: v_dual_sub_nc_u32 v33, v33, v37
	v_alignbit_b32 v32, v34, v32, v38
	s_delay_alu instid0(VALU_DEP_2) | instskip(NEXT) | instid1(VALU_DEP_2)
	v_fma_f32 v34, 0x3fc90fda, v36, -v40
	v_lshrrev_b32_e32 v32, 9, v32
	s_delay_alu instid0(VALU_DEP_2) | instskip(NEXT) | instid1(VALU_DEP_2)
	v_fmamk_f32 v34, v36, 0x33a22168, v34
	v_or_b32_e32 v32, v33, v32
	s_delay_alu instid0(VALU_DEP_1) | instskip(NEXT) | instid1(VALU_DEP_1)
	v_fmac_f32_e32 v34, 0x3fc90fda, v32
	v_dual_lshrrev_b32 v32, 30, v8 :: v_dual_add_f32 v8, v40, v34
	s_delay_alu instid0(VALU_DEP_1)
	v_add_nc_u32_e32 v32, v35, v32
.LBB30_33:
	s_and_not1_saveexec_b32 s0, s8
; %bb.34:
	v_mul_f32_e64 v8, 0x3f22f983, |v7|
	s_delay_alu instid0(VALU_DEP_1) | instskip(NEXT) | instid1(VALU_DEP_1)
	v_rndne_f32_e32 v32, v8
	v_fma_f32 v8, 0xbfc90fda, v32, |v7|
	s_delay_alu instid0(VALU_DEP_1) | instskip(NEXT) | instid1(VALU_DEP_1)
	v_fmamk_f32 v8, v32, 0xb3a22168, v8
	v_fmamk_f32 v8, v32, 0xa7c234c4, v8
	v_cvt_i32_f32_e32 v32, v32
; %bb.35:
	s_or_b32 exec_lo, exec_lo, s0
	v_pk_mul_f32 v[34:35], v[10:11], v[10:11]
	s_mov_b32 s0, 0x3c0881c4
	s_mov_b32 s8, 0xb94c1982
	s_mov_b32 s10, 0xbab64f3b
	s_mov_b32 s16, 0x37d75334
	v_pk_fma_f32 v[36:37], v[34:35], s[8:9], s[0:1] op_sel_hi:[1,0,0]
	v_pk_fma_f32 v[38:39], v[34:35], s[16:17], s[10:11] op_sel_hi:[1,0,0]
	s_mov_b32 s12, 0xbe2aaa9d
	s_mov_b32 s14, 0x3d2aabf7
	;; [unrolled: 1-line block ×3, first 2 shown]
	v_pk_fma_f32 v[36:37], v[34:35], v[36:37], s[12:13] op_sel_hi:[1,1,0]
	v_pk_fma_f32 v[38:39], v[34:35], v[38:39], s[14:15] op_sel_hi:[1,1,0]
	v_dual_lshlrev_b32 v33, 30, v26 :: v_dual_lshlrev_b32 v40, 30, v29
	v_and_b32_e32 v26, 1, v26
	s_delay_alu instid0(VALU_DEP_4) | instskip(NEXT) | instid1(VALU_DEP_4)
	v_pk_mul_f32 v[36:37], v[34:35], v[36:37]
	v_pk_fma_f32 v[38:39], v[34:35], v[38:39], s[18:19] op_sel_hi:[1,1,0]
	s_delay_alu instid0(VALU_DEP_4) | instskip(SKIP_1) | instid1(VALU_DEP_3)
	v_and_b32_e32 v33, 0x80000000, v33
	s_add_nc_u64 s[2:3], s[4:5], s[2:3]
	v_pk_fma_f32 v[10:11], v[10:11], v[36:37], v[10:11]
	s_delay_alu instid0(VALU_DEP_3) | instskip(SKIP_3) | instid1(VALU_DEP_3)
	v_pk_fma_f32 v[34:35], v[34:35], v[38:39], 1.0 op_sel_hi:[1,1,0]
	v_and_b32_e32 v29, 1, v29
	v_and_b32_e32 v38, 0x80000000, v40
	v_pk_mul_f32 v[36:37], v[2:3], v[2:3]
	v_cmp_eq_u32_e32 vcc_lo, 0, v29
	s_delay_alu instid0(VALU_DEP_3) | instskip(SKIP_4) | instid1(VALU_DEP_4)
	v_xor_b32_e32 v29, v25, v38
	v_cndmask_b32_e32 v10, v34, v10, vcc_lo
	v_cmp_eq_u32_e32 vcc_lo, 0, v26
	v_xor_b32_e32 v33, v24, v33
	v_pk_fma_f32 v[24:25], v[36:37], s[8:9], s[0:1] op_sel_hi:[1,0,0]
	v_dual_cndmask_b32 v26, v35, v11, vcc_lo :: v_dual_bitop2_b32 v29, v29, v10 bitop3:0x14
	v_pk_fma_f32 v[10:11], v[36:37], s[16:17], s[10:11] op_sel_hi:[1,0,0]
	s_delay_alu instid0(VALU_DEP_3) | instskip(SKIP_1) | instid1(VALU_DEP_4)
	v_pk_fma_f32 v[24:25], v[36:37], v[24:25], s[12:13] op_sel_hi:[1,1,0]
	v_cmp_class_f32_e64 vcc_lo, v6, 0x1f8
	v_xor_b32_e32 v29, v29, v6
	v_xor_b32_e32 v26, v33, v26
	v_pk_fma_f32 v[10:11], v[36:37], v[10:11], s[14:15] op_sel_hi:[1,1,0]
	v_pk_mul_f32 v[24:25], v[36:37], v[24:25]
	s_delay_alu instid0(VALU_DEP_4) | instskip(SKIP_1) | instid1(VALU_DEP_4)
	v_dual_cndmask_b32 v6, 0x7fc00000, v29 :: v_dual_lshlrev_b32 v33, 30, v31
	v_cmp_class_f32_e64 vcc_lo, v23, 0x1f8
	v_pk_fma_f32 v[10:11], v[36:37], v[10:11], s[18:19] op_sel_hi:[1,1,0]
	v_lshlrev_b32_e32 v29, 30, v15
	v_xor_b32_e32 v26, v26, v23
	v_pk_fma_f32 v[2:3], v[2:3], v[24:25], v[2:3]
	v_and_b32_e32 v24, 0x80000000, v33
	v_pk_fma_f32 v[10:11], v[36:37], v[10:11], 1.0 op_sel_hi:[1,1,0]
	v_and_b32_e32 v15, 1, v15
	v_cndmask_b32_e32 v23, 0x7fc00000, v26, vcc_lo
	v_and_b32_e32 v26, 1, v31
	s_delay_alu instid0(VALU_DEP_1)
	v_cmp_eq_u32_e32 vcc_lo, 0, v26
	v_bfe_u32 v26, v6, 16, 1
	v_dual_cndmask_b32 v3, v11, v3, vcc_lo :: v_dual_bitop2_b32 v11, v28, v24 bitop3:0x14
	v_lshlrev_b32_e32 v28, 30, v21
	v_bfe_u32 v25, v23, 16, 1
	v_cmp_eq_u32_e32 vcc_lo, 0, v15
	v_and_b32_e32 v21, 1, v21
	v_xor_b32_e32 v3, v11, v3
	v_and_b32_e32 v28, 0x80000000, v28
	v_add3_u32 v24, v23, v25, 0x7fff
	v_and_b32_e32 v25, 0x80000000, v29
	s_delay_alu instid0(VALU_DEP_4) | instskip(SKIP_1) | instid1(VALU_DEP_3)
	v_dual_cndmask_b32 v2, v10, v2, vcc_lo :: v_dual_bitop2_b32 v3, v3, v27 bitop3:0x14
	v_cmp_class_f32_e64 vcc_lo, v27, 0x1f8
	v_dual_lshrrev_b32 v11, 16, v24 :: v_dual_bitop2_b32 v10, v12, v25 bitop3:0x14
	v_add3_u32 v12, v6, v26, 0x7fff
	v_xor_b32_e32 v17, v17, v28
	v_cndmask_b32_e32 v26, 0x7fc00000, v3, vcc_lo
	v_cmp_o_f32_e32 vcc_lo, v23, v23
	v_xor_b32_e32 v2, v10, v2
	v_and_b32_e32 v12, 0xffff0000, v12
	s_delay_alu instid0(VALU_DEP_4) | instskip(SKIP_1) | instid1(VALU_DEP_4)
	v_bfe_u32 v15, v26, 16, 1
	v_cndmask_b32_e32 v23, 0x7fc0, v11, vcc_lo
	v_xor_b32_e32 v10, v2, v1
	v_pk_mul_f32 v[2:3], v[4:5], v[4:5]
	v_cmp_class_f32_e64 vcc_lo, v1, 0x1f8
	v_add3_u32 v15, v26, v15, 0x7fff
	s_delay_alu instid0(VALU_DEP_3) | instskip(SKIP_3) | instid1(VALU_DEP_4)
	v_pk_fma_f32 v[24:25], v[2:3], s[16:17], s[10:11] op_sel_hi:[1,0,0]
	v_cndmask_b32_e32 v1, 0x7fc00000, v10, vcc_lo
	v_pk_fma_f32 v[10:11], v[2:3], s[8:9], s[0:1] op_sel_hi:[1,0,0]
	v_cmp_o_f32_e32 vcc_lo, v6, v6
	v_pk_fma_f32 v[24:25], v[2:3], v[24:25], s[14:15] op_sel_hi:[1,1,0]
	s_delay_alu instid0(VALU_DEP_4) | instskip(NEXT) | instid1(VALU_DEP_4)
	v_bfe_u32 v27, v1, 16, 1
	v_pk_fma_f32 v[10:11], v[2:3], v[10:11], s[12:13] op_sel_hi:[1,1,0]
	v_cndmask_b32_e32 v6, 0x7fc00000, v12, vcc_lo
	v_dual_lshrrev_b32 v12, 16, v15 :: v_dual_lshlrev_b32 v15, 30, v18
	v_pk_fma_f32 v[24:25], v[2:3], v[24:25], s[18:19] op_sel_hi:[1,1,0]
	s_delay_alu instid0(VALU_DEP_4) | instskip(SKIP_1) | instid1(VALU_DEP_4)
	v_pk_mul_f32 v[10:11], v[2:3], v[10:11]
	v_and_b32_e32 v18, 1, v18
	v_and_b32_e32 v15, 0x80000000, v15
	s_delay_alu instid0(VALU_DEP_4) | instskip(NEXT) | instid1(VALU_DEP_4)
	v_pk_fma_f32 v[2:3], v[2:3], v[24:25], 1.0 op_sel_hi:[1,1,0]
	v_pk_fma_f32 v[4:5], v[4:5], v[10:11], v[4:5]
	v_pk_mul_f32 v[10:11], v[8:9], v[8:9]
	v_cmp_eq_u32_e32 vcc_lo, 0, v18
	s_delay_alu instid0(VALU_DEP_2) | instskip(NEXT) | instid1(VALU_DEP_4)
	v_pk_fma_f32 v[24:25], v[10:11], s[16:17], s[10:11] op_sel_hi:[1,0,0]
	v_dual_cndmask_b32 v3, v3, v5, vcc_lo :: v_dual_bitop2_b32 v5, v14, v15 bitop3:0x14
	v_pk_fma_f32 v[14:15], v[10:11], s[8:9], s[0:1] op_sel_hi:[1,0,0]
	v_cmp_eq_u32_e32 vcc_lo, 0, v21
	s_delay_alu instid0(VALU_DEP_3) | instskip(NEXT) | instid1(VALU_DEP_3)
	v_dual_cndmask_b32 v18, v2, v4, vcc_lo :: v_dual_bitop2_b32 v21, v5, v3 bitop3:0x14
	v_pk_fma_f32 v[2:3], v[10:11], v[14:15], s[12:13] op_sel_hi:[1,1,0]
	v_pk_fma_f32 v[4:5], v[10:11], v[24:25], s[14:15] op_sel_hi:[1,1,0]
	v_and_b32_e32 v24, 1, v32
	v_add3_u32 v14, v1, v27, 0x7fff
	v_xor_b32_e32 v15, v17, v18
	v_pk_mul_f32 v[2:3], v[10:11], v[2:3]
	v_pk_fma_f32 v[4:5], v[10:11], v[4:5], s[18:19] op_sel_hi:[1,1,0]
	v_lshlrev_b32_e32 v18, 30, v32
	v_cmp_eq_u32_e32 vcc_lo, 0, v24
	v_xor_b32_e32 v17, v21, v13
	v_pk_fma_f32 v[2:3], v[8:9], v[2:3], v[8:9]
	v_pk_fma_f32 v[4:5], v[10:11], v[4:5], 1.0 op_sel_hi:[1,1,0]
	v_dual_lshlrev_b32 v21, 30, v22 :: v_dual_bitop2_b32 v9, 1, v22 bitop3:0x40
	v_and_b32_e32 v8, 0x80000000, v18
	s_delay_alu instid0(VALU_DEP_3) | instskip(NEXT) | instid1(VALU_DEP_3)
	v_cndmask_b32_e32 v2, v4, v2, vcc_lo
	v_cmp_eq_u32_e32 vcc_lo, 0, v9
	s_delay_alu instid0(VALU_DEP_4) | instskip(NEXT) | instid1(VALU_DEP_4)
	v_and_b32_e32 v10, 0x80000000, v21
	v_xor_b32_e32 v4, v30, v8
	v_dual_cndmask_b32 v3, v5, v3, vcc_lo :: v_dual_bitop2_b32 v9, v15, v16 bitop3:0x14
	v_cmp_class_f32_e64 vcc_lo, v13, 0x1f8
	s_delay_alu instid0(VALU_DEP_4) | instskip(NEXT) | instid1(VALU_DEP_4)
	v_xor_b32_e32 v5, v20, v10
	v_xor_b32_e32 v2, v4, v2
	v_dual_lshrrev_b32 v4, 16, v14 :: v_dual_bitop2_b32 v6, v6, v23 bitop3:0x54
	v_cndmask_b32_e32 v8, 0x7fc00000, v17, vcc_lo
	v_cmp_class_f32_e64 vcc_lo, v16, 0x1f8
	v_xor_b32_e32 v3, v5, v3
	v_xor_b32_e32 v2, v2, v7
	s_delay_alu instid0(VALU_DEP_4) | instskip(SKIP_3) | instid1(VALU_DEP_4)
	v_bfe_u32 v5, v8, 16, 1
	v_cndmask_b32_e32 v9, 0x7fc00000, v9, vcc_lo
	v_cmp_class_f32_e64 vcc_lo, v7, 0x1f8
	v_xor_b32_e32 v3, v3, v19
	v_add3_u32 v5, v8, v5, 0x7fff
	v_cndmask_b32_e32 v2, 0x7fc00000, v2, vcc_lo
	v_cmp_class_f32_e64 vcc_lo, v19, 0x1f8
	s_delay_alu instid0(VALU_DEP_2) | instskip(SKIP_2) | instid1(VALU_DEP_2)
	v_bfe_u32 v10, v2, 16, 1
	v_cndmask_b32_e32 v3, 0x7fc00000, v3, vcc_lo
	v_cmp_o_f32_e32 vcc_lo, v1, v1
	v_bfe_u32 v7, v3, 16, 1
	v_cndmask_b32_e32 v1, 0x7fc0, v4, vcc_lo
	v_and_b32_e32 v4, 0xffff0000, v5
	v_bfe_u32 v5, v9, 16, 1
	v_cmp_o_f32_e32 vcc_lo, v8, v8
	v_add3_u32 v7, v3, v7, 0x7fff
	v_add3_u32 v8, v2, v10, 0x7fff
	s_delay_alu instid0(VALU_DEP_4) | instskip(SKIP_2) | instid1(VALU_DEP_3)
	v_add3_u32 v5, v9, v5, 0x7fff
	v_cndmask_b32_e32 v4, 0x7fc00000, v4, vcc_lo
	v_cmp_o_f32_e32 vcc_lo, v26, v26
	v_lshrrev_b32_e32 v5, 16, v5
	s_delay_alu instid0(VALU_DEP_3)
	v_or_b32_e32 v1, v4, v1
	v_cndmask_b32_e32 v10, 0x7fc0, v12, vcc_lo
	v_cmp_o_f32_e32 vcc_lo, v9, v9
	v_and_b32_e32 v4, 0xffff0000, v7
	v_and_b32_e32 v7, 0xffff0000, v8
	v_cndmask_b32_e32 v5, 0x7fc0, v5, vcc_lo
	v_cmp_o_f32_e32 vcc_lo, v3, v3
	s_delay_alu instid0(VALU_DEP_4) | instskip(SKIP_2) | instid1(VALU_DEP_3)
	v_cndmask_b32_e32 v3, 0x7fc00000, v4, vcc_lo
	v_cmp_o_f32_e32 vcc_lo, v2, v2
	v_or3_b32 v2, v1, 0, 0
	v_or3_b32 v3, 0, v5, v3
	v_cndmask_b32_e32 v4, 0x7fc00000, v7, vcc_lo
	s_delay_alu instid0(VALU_DEP_1)
	v_or3_b32 v5, 0, v10, v4
	v_or3_b32 v4, v6, 0, 0
	s_clause 0x1
	global_store_b64 v0, v[2:3], s[2:3] scale_offset
	global_store_b64 v0, v[4:5], s[2:3] offset:2048 scale_offset
	s_branch .LBB30_2
.LBB30_36:
	s_wait_xcnt 0x0
	v_dual_mov_b32 v31, v0 :: v_dual_mov_b32 v0, s4
	v_dual_mov_b32 v1, s5 :: v_dual_mov_b32 v2, s6
	;; [unrolled: 1-line block ×3, first 2 shown]
	s_get_pc_i64 s[0:1]
	s_add_nc_u64 s[0:1], s[0:1], _ZN2at6native25elementwise_kernel_helperILb0EZZZNS0_15sin_kernel_cudaERNS_18TensorIteratorBaseEENKUlvE0_clEvENKUlvE2_clEvEUlN3c108BFloat16EE_NS0_6memory8policies11unroll_baseILi256ESt5arrayIPcLm2EE23TrivialOffsetCalculatorILi1EjESG_NS9_15LoadWithoutCastENS9_16StoreWithoutCastELi8ELi1EEEEEvT0_T1_@rel64+4
	s_delay_alu instid0(SALU_CYCLE_1)
	s_swap_pc_i64 s[30:31], s[0:1]
	s_endpgm
	.section	.rodata,"a",@progbits
	.p2align	6, 0x0
	.amdhsa_kernel _ZN2at6native29vectorized_elementwise_kernelILi4EZZZNS0_15sin_kernel_cudaERNS_18TensorIteratorBaseEENKUlvE0_clEvENKUlvE2_clEvEUlN3c108BFloat16EE_St5arrayIPcLm2EEEEviT0_T1_
		.amdhsa_group_segment_fixed_size 0
		.amdhsa_private_segment_fixed_size 0
		.amdhsa_kernarg_size 24
		.amdhsa_user_sgpr_count 2
		.amdhsa_user_sgpr_dispatch_ptr 0
		.amdhsa_user_sgpr_queue_ptr 0
		.amdhsa_user_sgpr_kernarg_segment_ptr 1
		.amdhsa_user_sgpr_dispatch_id 0
		.amdhsa_user_sgpr_kernarg_preload_length 0
		.amdhsa_user_sgpr_kernarg_preload_offset 0
		.amdhsa_user_sgpr_private_segment_size 0
		.amdhsa_wavefront_size32 1
		.amdhsa_uses_dynamic_stack 0
		.amdhsa_enable_private_segment 0
		.amdhsa_system_sgpr_workgroup_id_x 1
		.amdhsa_system_sgpr_workgroup_id_y 0
		.amdhsa_system_sgpr_workgroup_id_z 0
		.amdhsa_system_sgpr_workgroup_info 0
		.amdhsa_system_vgpr_workitem_id 0
		.amdhsa_next_free_vgpr 48
		.amdhsa_next_free_sgpr 33
		.amdhsa_named_barrier_count 0
		.amdhsa_reserve_vcc 1
		.amdhsa_float_round_mode_32 0
		.amdhsa_float_round_mode_16_64 0
		.amdhsa_float_denorm_mode_32 3
		.amdhsa_float_denorm_mode_16_64 3
		.amdhsa_fp16_overflow 0
		.amdhsa_memory_ordered 1
		.amdhsa_forward_progress 1
		.amdhsa_inst_pref_size 64
		.amdhsa_round_robin_scheduling 0
		.amdhsa_exception_fp_ieee_invalid_op 0
		.amdhsa_exception_fp_denorm_src 0
		.amdhsa_exception_fp_ieee_div_zero 0
		.amdhsa_exception_fp_ieee_overflow 0
		.amdhsa_exception_fp_ieee_underflow 0
		.amdhsa_exception_fp_ieee_inexact 0
		.amdhsa_exception_int_div_zero 0
	.end_amdhsa_kernel
	.section	.text._ZN2at6native29vectorized_elementwise_kernelILi4EZZZNS0_15sin_kernel_cudaERNS_18TensorIteratorBaseEENKUlvE0_clEvENKUlvE2_clEvEUlN3c108BFloat16EE_St5arrayIPcLm2EEEEviT0_T1_,"axG",@progbits,_ZN2at6native29vectorized_elementwise_kernelILi4EZZZNS0_15sin_kernel_cudaERNS_18TensorIteratorBaseEENKUlvE0_clEvENKUlvE2_clEvEUlN3c108BFloat16EE_St5arrayIPcLm2EEEEviT0_T1_,comdat
.Lfunc_end30:
	.size	_ZN2at6native29vectorized_elementwise_kernelILi4EZZZNS0_15sin_kernel_cudaERNS_18TensorIteratorBaseEENKUlvE0_clEvENKUlvE2_clEvEUlN3c108BFloat16EE_St5arrayIPcLm2EEEEviT0_T1_, .Lfunc_end30-_ZN2at6native29vectorized_elementwise_kernelILi4EZZZNS0_15sin_kernel_cudaERNS_18TensorIteratorBaseEENKUlvE0_clEvENKUlvE2_clEvEUlN3c108BFloat16EE_St5arrayIPcLm2EEEEviT0_T1_
                                        ; -- End function
	.set _ZN2at6native29vectorized_elementwise_kernelILi4EZZZNS0_15sin_kernel_cudaERNS_18TensorIteratorBaseEENKUlvE0_clEvENKUlvE2_clEvEUlN3c108BFloat16EE_St5arrayIPcLm2EEEEviT0_T1_.num_vgpr, max(48, .L_ZN2at6native25elementwise_kernel_helperILb0EZZZNS0_15sin_kernel_cudaERNS_18TensorIteratorBaseEENKUlvE0_clEvENKUlvE2_clEvEUlN3c108BFloat16EE_NS0_6memory8policies11unroll_baseILi256ESt5arrayIPcLm2EE23TrivialOffsetCalculatorILi1EjESG_NS9_15LoadWithoutCastENS9_16StoreWithoutCastELi8ELi1EEEEEvT0_T1_.num_vgpr)
	.set _ZN2at6native29vectorized_elementwise_kernelILi4EZZZNS0_15sin_kernel_cudaERNS_18TensorIteratorBaseEENKUlvE0_clEvENKUlvE2_clEvEUlN3c108BFloat16EE_St5arrayIPcLm2EEEEviT0_T1_.num_agpr, max(0, .L_ZN2at6native25elementwise_kernel_helperILb0EZZZNS0_15sin_kernel_cudaERNS_18TensorIteratorBaseEENKUlvE0_clEvENKUlvE2_clEvEUlN3c108BFloat16EE_NS0_6memory8policies11unroll_baseILi256ESt5arrayIPcLm2EE23TrivialOffsetCalculatorILi1EjESG_NS9_15LoadWithoutCastENS9_16StoreWithoutCastELi8ELi1EEEEEvT0_T1_.num_agpr)
	.set _ZN2at6native29vectorized_elementwise_kernelILi4EZZZNS0_15sin_kernel_cudaERNS_18TensorIteratorBaseEENKUlvE0_clEvENKUlvE2_clEvEUlN3c108BFloat16EE_St5arrayIPcLm2EEEEviT0_T1_.numbered_sgpr, max(33, .L_ZN2at6native25elementwise_kernel_helperILb0EZZZNS0_15sin_kernel_cudaERNS_18TensorIteratorBaseEENKUlvE0_clEvENKUlvE2_clEvEUlN3c108BFloat16EE_NS0_6memory8policies11unroll_baseILi256ESt5arrayIPcLm2EE23TrivialOffsetCalculatorILi1EjESG_NS9_15LoadWithoutCastENS9_16StoreWithoutCastELi8ELi1EEEEEvT0_T1_.numbered_sgpr)
	.set _ZN2at6native29vectorized_elementwise_kernelILi4EZZZNS0_15sin_kernel_cudaERNS_18TensorIteratorBaseEENKUlvE0_clEvENKUlvE2_clEvEUlN3c108BFloat16EE_St5arrayIPcLm2EEEEviT0_T1_.num_named_barrier, max(0, .L_ZN2at6native25elementwise_kernel_helperILb0EZZZNS0_15sin_kernel_cudaERNS_18TensorIteratorBaseEENKUlvE0_clEvENKUlvE2_clEvEUlN3c108BFloat16EE_NS0_6memory8policies11unroll_baseILi256ESt5arrayIPcLm2EE23TrivialOffsetCalculatorILi1EjESG_NS9_15LoadWithoutCastENS9_16StoreWithoutCastELi8ELi1EEEEEvT0_T1_.num_named_barrier)
	.set _ZN2at6native29vectorized_elementwise_kernelILi4EZZZNS0_15sin_kernel_cudaERNS_18TensorIteratorBaseEENKUlvE0_clEvENKUlvE2_clEvEUlN3c108BFloat16EE_St5arrayIPcLm2EEEEviT0_T1_.private_seg_size, 0+max(.L_ZN2at6native25elementwise_kernel_helperILb0EZZZNS0_15sin_kernel_cudaERNS_18TensorIteratorBaseEENKUlvE0_clEvENKUlvE2_clEvEUlN3c108BFloat16EE_NS0_6memory8policies11unroll_baseILi256ESt5arrayIPcLm2EE23TrivialOffsetCalculatorILi1EjESG_NS9_15LoadWithoutCastENS9_16StoreWithoutCastELi8ELi1EEEEEvT0_T1_.private_seg_size)
	.set _ZN2at6native29vectorized_elementwise_kernelILi4EZZZNS0_15sin_kernel_cudaERNS_18TensorIteratorBaseEENKUlvE0_clEvENKUlvE2_clEvEUlN3c108BFloat16EE_St5arrayIPcLm2EEEEviT0_T1_.uses_vcc, or(1, .L_ZN2at6native25elementwise_kernel_helperILb0EZZZNS0_15sin_kernel_cudaERNS_18TensorIteratorBaseEENKUlvE0_clEvENKUlvE2_clEvEUlN3c108BFloat16EE_NS0_6memory8policies11unroll_baseILi256ESt5arrayIPcLm2EE23TrivialOffsetCalculatorILi1EjESG_NS9_15LoadWithoutCastENS9_16StoreWithoutCastELi8ELi1EEEEEvT0_T1_.uses_vcc)
	.set _ZN2at6native29vectorized_elementwise_kernelILi4EZZZNS0_15sin_kernel_cudaERNS_18TensorIteratorBaseEENKUlvE0_clEvENKUlvE2_clEvEUlN3c108BFloat16EE_St5arrayIPcLm2EEEEviT0_T1_.uses_flat_scratch, or(0, .L_ZN2at6native25elementwise_kernel_helperILb0EZZZNS0_15sin_kernel_cudaERNS_18TensorIteratorBaseEENKUlvE0_clEvENKUlvE2_clEvEUlN3c108BFloat16EE_NS0_6memory8policies11unroll_baseILi256ESt5arrayIPcLm2EE23TrivialOffsetCalculatorILi1EjESG_NS9_15LoadWithoutCastENS9_16StoreWithoutCastELi8ELi1EEEEEvT0_T1_.uses_flat_scratch)
	.set _ZN2at6native29vectorized_elementwise_kernelILi4EZZZNS0_15sin_kernel_cudaERNS_18TensorIteratorBaseEENKUlvE0_clEvENKUlvE2_clEvEUlN3c108BFloat16EE_St5arrayIPcLm2EEEEviT0_T1_.has_dyn_sized_stack, or(0, .L_ZN2at6native25elementwise_kernel_helperILb0EZZZNS0_15sin_kernel_cudaERNS_18TensorIteratorBaseEENKUlvE0_clEvENKUlvE2_clEvEUlN3c108BFloat16EE_NS0_6memory8policies11unroll_baseILi256ESt5arrayIPcLm2EE23TrivialOffsetCalculatorILi1EjESG_NS9_15LoadWithoutCastENS9_16StoreWithoutCastELi8ELi1EEEEEvT0_T1_.has_dyn_sized_stack)
	.set _ZN2at6native29vectorized_elementwise_kernelILi4EZZZNS0_15sin_kernel_cudaERNS_18TensorIteratorBaseEENKUlvE0_clEvENKUlvE2_clEvEUlN3c108BFloat16EE_St5arrayIPcLm2EEEEviT0_T1_.has_recursion, or(0, .L_ZN2at6native25elementwise_kernel_helperILb0EZZZNS0_15sin_kernel_cudaERNS_18TensorIteratorBaseEENKUlvE0_clEvENKUlvE2_clEvEUlN3c108BFloat16EE_NS0_6memory8policies11unroll_baseILi256ESt5arrayIPcLm2EE23TrivialOffsetCalculatorILi1EjESG_NS9_15LoadWithoutCastENS9_16StoreWithoutCastELi8ELi1EEEEEvT0_T1_.has_recursion)
	.set _ZN2at6native29vectorized_elementwise_kernelILi4EZZZNS0_15sin_kernel_cudaERNS_18TensorIteratorBaseEENKUlvE0_clEvENKUlvE2_clEvEUlN3c108BFloat16EE_St5arrayIPcLm2EEEEviT0_T1_.has_indirect_call, or(0, .L_ZN2at6native25elementwise_kernel_helperILb0EZZZNS0_15sin_kernel_cudaERNS_18TensorIteratorBaseEENKUlvE0_clEvENKUlvE2_clEvEUlN3c108BFloat16EE_NS0_6memory8policies11unroll_baseILi256ESt5arrayIPcLm2EE23TrivialOffsetCalculatorILi1EjESG_NS9_15LoadWithoutCastENS9_16StoreWithoutCastELi8ELi1EEEEEvT0_T1_.has_indirect_call)
	.section	.AMDGPU.csdata,"",@progbits
; Kernel info:
; codeLenInByte = 8168
; TotalNumSgprs: 35
; NumVgprs: 48
; ScratchSize: 0
; MemoryBound: 0
; FloatMode: 240
; IeeeMode: 1
; LDSByteSize: 0 bytes/workgroup (compile time only)
; SGPRBlocks: 0
; VGPRBlocks: 2
; NumSGPRsForWavesPerEU: 35
; NumVGPRsForWavesPerEU: 48
; NamedBarCnt: 0
; Occupancy: 16
; WaveLimiterHint : 1
; COMPUTE_PGM_RSRC2:SCRATCH_EN: 0
; COMPUTE_PGM_RSRC2:USER_SGPR: 2
; COMPUTE_PGM_RSRC2:TRAP_HANDLER: 0
; COMPUTE_PGM_RSRC2:TGID_X_EN: 1
; COMPUTE_PGM_RSRC2:TGID_Y_EN: 0
; COMPUTE_PGM_RSRC2:TGID_Z_EN: 0
; COMPUTE_PGM_RSRC2:TIDIG_COMP_CNT: 0
	.section	.text._ZN2at6native29vectorized_elementwise_kernelILi2EZZZNS0_15sin_kernel_cudaERNS_18TensorIteratorBaseEENKUlvE0_clEvENKUlvE2_clEvEUlN3c108BFloat16EE_St5arrayIPcLm2EEEEviT0_T1_,"axG",@progbits,_ZN2at6native29vectorized_elementwise_kernelILi2EZZZNS0_15sin_kernel_cudaERNS_18TensorIteratorBaseEENKUlvE0_clEvENKUlvE2_clEvEUlN3c108BFloat16EE_St5arrayIPcLm2EEEEviT0_T1_,comdat
	.globl	_ZN2at6native29vectorized_elementwise_kernelILi2EZZZNS0_15sin_kernel_cudaERNS_18TensorIteratorBaseEENKUlvE0_clEvENKUlvE2_clEvEUlN3c108BFloat16EE_St5arrayIPcLm2EEEEviT0_T1_ ; -- Begin function _ZN2at6native29vectorized_elementwise_kernelILi2EZZZNS0_15sin_kernel_cudaERNS_18TensorIteratorBaseEENKUlvE0_clEvENKUlvE2_clEvEUlN3c108BFloat16EE_St5arrayIPcLm2EEEEviT0_T1_
	.p2align	8
	.type	_ZN2at6native29vectorized_elementwise_kernelILi2EZZZNS0_15sin_kernel_cudaERNS_18TensorIteratorBaseEENKUlvE0_clEvENKUlvE2_clEvEUlN3c108BFloat16EE_St5arrayIPcLm2EEEEviT0_T1_,@function
_ZN2at6native29vectorized_elementwise_kernelILi2EZZZNS0_15sin_kernel_cudaERNS_18TensorIteratorBaseEENKUlvE0_clEvENKUlvE2_clEvEUlN3c108BFloat16EE_St5arrayIPcLm2EEEEviT0_T1_: ; @_ZN2at6native29vectorized_elementwise_kernelILi2EZZZNS0_15sin_kernel_cudaERNS_18TensorIteratorBaseEENKUlvE0_clEvENKUlvE2_clEvEUlN3c108BFloat16EE_St5arrayIPcLm2EEEEviT0_T1_
; %bb.0:
	s_clause 0x1
	s_load_b32 s2, s[0:1], 0x0
	s_load_b128 s[4:7], s[0:1], 0x8
	s_wait_xcnt 0x0
	s_bfe_u32 s0, ttmp6, 0x4000c
	s_and_b32 s1, ttmp6, 15
	s_add_co_i32 s0, s0, 1
	s_getreg_b32 s3, hwreg(HW_REG_IB_STS2, 6, 4)
	s_mul_i32 s0, ttmp9, s0
	s_mov_b32 s32, 0
	s_add_co_i32 s1, s1, s0
	s_cmp_eq_u32 s3, 0
	s_cselect_b32 s0, ttmp9, s1
	s_mov_b32 s1, -1
	s_lshl_b32 s0, s0, 11
	s_wait_kmcnt 0x0
	s_sub_co_i32 s9, s2, s0
	s_delay_alu instid0(SALU_CYCLE_1)
	s_cmp_gt_i32 s9, 0x7ff
	s_cbranch_scc1 .LBB31_3
; %bb.1:
	s_and_b32 vcc_lo, exec_lo, s1
	s_cbranch_vccnz .LBB31_36
.LBB31_2:
	s_sendmsg sendmsg(MSG_DEALLOC_VGPRS)
	s_endpgm
.LBB31_3:
	s_ashr_i32 s1, s0, 31
                                        ; implicit-def: $vgpr13
                                        ; implicit-def: $vgpr2
	v_mov_b32_e32 v3, 0
	s_lshl_b64 s[2:3], s[0:1], 1
	s_delay_alu instid0(SALU_CYCLE_1)
	s_add_nc_u64 s[0:1], s[6:7], s[2:3]
	s_clause 0x3
	global_load_b32 v5, v0, s[0:1] scale_offset
	global_load_b32 v8, v0, s[0:1] offset:1024 scale_offset
	global_load_b32 v7, v0, s[0:1] offset:2048 scale_offset
	;; [unrolled: 1-line block ×3, first 2 shown]
	s_wait_xcnt 0x0
	s_mov_b32 s1, exec_lo
	s_wait_loadcnt 0x3
	v_lshlrev_b32_e32 v1, 16, v5
	s_delay_alu instid0(VALU_DEP_1)
	v_and_b32_e32 v10, 0x7fffffff, v1
	v_cmpx_ngt_f32_e64 0x48000000, |v1|
	s_xor_b32 s8, exec_lo, s1
	s_cbranch_execz .LBB31_5
; %bb.4:
	s_mov_b32 s0, 0x7fffff
	v_dual_mov_b32 v23, v3 :: v_dual_lshrrev_b32 v6, 23, v10
	v_and_or_b32 v2, v10, s0, 0x800000
	s_mov_b64 s[0:1], 0xfe5163ab
	v_mov_b32_e32 v25, v3
	s_delay_alu instid0(VALU_DEP_2) | instskip(NEXT) | instid1(VALU_DEP_1)
	v_mul_u64_e32 v[12:13], s[0:1], v[2:3]
	v_dual_mov_b32 v15, v3 :: v_dual_mov_b32 v14, v13
	s_delay_alu instid0(VALU_DEP_1) | instskip(NEXT) | instid1(VALU_DEP_1)
	v_mad_nc_u64_u32 v[14:15], 0x3c439041, v2, v[14:15]
	v_dual_mov_b32 v17, v3 :: v_dual_mov_b32 v16, v15
	s_delay_alu instid0(VALU_DEP_1) | instskip(NEXT) | instid1(VALU_DEP_1)
	v_mad_nc_u64_u32 v[16:17], 0xdb629599, v2, v[16:17]
	;; [unrolled: 3-line block ×3, first 2 shown]
	v_dual_mov_b32 v21, v3 :: v_dual_mov_b32 v20, v19
	s_delay_alu instid0(VALU_DEP_1) | instskip(SKIP_1) | instid1(VALU_DEP_1)
	v_mad_nc_u64_u32 v[20:21], 0xfc2757d1, v2, v[20:21]
	v_add_nc_u32_e32 v6, 0xffffff88, v6
	v_cmp_lt_u32_e32 vcc_lo, 63, v6
	s_delay_alu instid0(VALU_DEP_3) | instskip(SKIP_3) | instid1(VALU_DEP_4)
	v_mov_b32_e32 v22, v21
	v_cndmask_b32_e64 v9, 0, 0xffffffc0, vcc_lo
	v_cndmask_b32_e32 v13, v20, v16, vcc_lo
	v_cndmask_b32_e32 v12, v16, v12, vcc_lo
	v_mad_nc_u64_u32 v[22:23], 0x4e441529, v2, v[22:23]
	s_delay_alu instid0(VALU_DEP_1) | instskip(NEXT) | instid1(VALU_DEP_1)
	v_dual_add_nc_u32 v6, v9, v6 :: v_dual_mov_b32 v24, v23
	v_cmp_lt_u32_e64 s0, 31, v6
	s_delay_alu instid0(VALU_DEP_2) | instskip(NEXT) | instid1(VALU_DEP_2)
	v_mad_nc_u64_u32 v[2:3], 0xa2f9836e, v2, v[24:25]
	v_cndmask_b32_e64 v9, 0, 0xffffffe0, s0
	s_delay_alu instid0(VALU_DEP_1) | instskip(NEXT) | instid1(VALU_DEP_1)
	v_dual_add_nc_u32 v6, v9, v6 :: v_dual_cndmask_b32 v2, v2, v20, vcc_lo
	v_cmp_lt_u32_e64 s1, 31, v6
	s_delay_alu instid0(VALU_DEP_1) | instskip(NEXT) | instid1(VALU_DEP_1)
	v_cndmask_b32_e64 v9, 0, 0xffffffe0, s1
	v_add_nc_u32_e32 v6, v9, v6
	v_cndmask_b32_e32 v9, v18, v14, vcc_lo
	v_cndmask_b32_e32 v11, v22, v18, vcc_lo
	s_delay_alu instid0(VALU_DEP_1) | instskip(NEXT) | instid1(VALU_DEP_1)
	v_dual_cndmask_b32 v3, v3, v22, vcc_lo :: v_dual_cndmask_b32 v14, v2, v11, s0
	v_cndmask_b32_e64 v2, v3, v2, s0
	v_dual_cndmask_b32 v3, v11, v13, s0 :: v_dual_sub_nc_u32 v11, 32, v6
	v_cndmask_b32_e64 v13, v13, v9, s0
	v_cmp_eq_u32_e32 vcc_lo, 0, v6
	s_delay_alu instid0(VALU_DEP_4) | instskip(NEXT) | instid1(VALU_DEP_3)
	v_cndmask_b32_e64 v2, v2, v14, s1
	v_dual_cndmask_b32 v14, v14, v3, s1 :: v_dual_cndmask_b32 v3, v3, v13, s1
	v_cndmask_b32_e64 v6, v9, v12, s0
	s_delay_alu instid0(VALU_DEP_2) | instskip(NEXT) | instid1(VALU_DEP_3)
	v_alignbit_b32 v15, v2, v14, v11
	v_alignbit_b32 v16, v14, v3, v11
	s_delay_alu instid0(VALU_DEP_3) | instskip(NEXT) | instid1(VALU_DEP_3)
	v_cndmask_b32_e64 v6, v13, v6, s1
	v_cndmask_b32_e32 v2, v15, v2, vcc_lo
	s_delay_alu instid0(VALU_DEP_3) | instskip(NEXT) | instid1(VALU_DEP_3)
	v_cndmask_b32_e32 v9, v16, v14, vcc_lo
	v_alignbit_b32 v11, v3, v6, v11
	s_delay_alu instid0(VALU_DEP_3) | instskip(NEXT) | instid1(VALU_DEP_1)
	v_bfe_u32 v12, v2, 29, 1
	v_dual_cndmask_b32 v3, v11, v3 :: v_dual_sub_nc_u32 v14, 0, v12
	s_delay_alu instid0(VALU_DEP_4) | instskip(NEXT) | instid1(VALU_DEP_1)
	v_alignbit_b32 v13, v2, v9, 30
	v_xor_b32_e32 v13, v13, v14
	s_delay_alu instid0(VALU_DEP_3) | instskip(SKIP_1) | instid1(VALU_DEP_3)
	v_alignbit_b32 v9, v9, v3, 30
	v_alignbit_b32 v3, v3, v6, 30
	v_clz_i32_u32_e32 v11, v13
	s_delay_alu instid0(VALU_DEP_2) | instskip(NEXT) | instid1(VALU_DEP_2)
	v_xor_b32_e32 v3, v3, v14
	v_min_u32_e32 v11, 32, v11
	v_xor_b32_e32 v6, v9, v14
	s_delay_alu instid0(VALU_DEP_2) | instskip(SKIP_1) | instid1(VALU_DEP_1)
	v_dual_lshrrev_b32 v14, 29, v2 :: v_dual_lshlrev_b32 v15, 23, v11
	v_sub_nc_u32_e32 v9, 31, v11
	v_alignbit_b32 v13, v13, v6, v9
	v_alignbit_b32 v3, v6, v3, v9
	s_delay_alu instid0(VALU_DEP_4) | instskip(NEXT) | instid1(VALU_DEP_2)
	v_lshlrev_b32_e32 v6, 31, v14
	v_alignbit_b32 v9, v13, v3, 9
	s_delay_alu instid0(VALU_DEP_2) | instskip(SKIP_1) | instid1(VALU_DEP_3)
	v_dual_lshrrev_b32 v13, 9, v13 :: v_dual_bitop2_b32 v14, 0.5, v6 bitop3:0x54
	v_or_b32_e32 v6, 0x33000000, v6
	v_clz_i32_u32_e32 v16, v9
	s_delay_alu instid0(VALU_DEP_3) | instskip(NEXT) | instid1(VALU_DEP_2)
	v_sub_nc_u32_e32 v14, v14, v15
	v_min_u32_e32 v15, 32, v16
	s_delay_alu instid0(VALU_DEP_1) | instskip(NEXT) | instid1(VALU_DEP_3)
	v_add_lshl_u32 v11, v15, v11, 23
	v_or_b32_e32 v13, v13, v14
	v_not_b32_e32 v14, v15
	s_delay_alu instid0(VALU_DEP_3) | instskip(NEXT) | instid1(VALU_DEP_2)
	v_sub_nc_u32_e32 v6, v6, v11
	v_alignbit_b32 v3, v9, v3, v14
	s_delay_alu instid0(VALU_DEP_1) | instskip(NEXT) | instid1(VALU_DEP_1)
	v_dual_mul_f32 v16, 0x3fc90fda, v13 :: v_dual_lshrrev_b32 v3, 9, v3
	v_fma_f32 v9, 0x3fc90fda, v13, -v16
	s_delay_alu instid0(VALU_DEP_2) | instskip(NEXT) | instid1(VALU_DEP_2)
	v_or_b32_e32 v3, v6, v3
	v_fmamk_f32 v9, v13, 0x33a22168, v9
	s_delay_alu instid0(VALU_DEP_1) | instskip(NEXT) | instid1(VALU_DEP_1)
	v_fmac_f32_e32 v9, 0x3fc90fda, v3
	v_dual_add_f32 v2, v16, v9 :: v_dual_lshrrev_b32 v3, 30, v2
	s_delay_alu instid0(VALU_DEP_1)
	v_add_nc_u32_e32 v13, v12, v3
.LBB31_5:
	s_and_not1_saveexec_b32 s0, s8
; %bb.6:
	v_mul_f32_e64 v2, 0x3f22f983, |v1|
	s_delay_alu instid0(VALU_DEP_1) | instskip(NEXT) | instid1(VALU_DEP_1)
	v_rndne_f32_e32 v3, v2
	v_fma_f32 v2, 0xbfc90fda, v3, |v1|
	v_cvt_i32_f32_e32 v13, v3
	s_delay_alu instid0(VALU_DEP_2) | instskip(NEXT) | instid1(VALU_DEP_1)
	v_fmamk_f32 v2, v3, 0xb3a22168, v2
	v_fmamk_f32 v2, v3, 0xa7c234c4, v2
; %bb.7:
	s_or_b32 exec_lo, exec_lo, s0
	v_and_b32_e32 v11, 0xffff0000, v5
                                        ; implicit-def: $vgpr14
                                        ; implicit-def: $vgpr5
	s_mov_b32 s1, exec_lo
	s_delay_alu instid0(VALU_DEP_1)
	v_and_b32_e32 v12, 0x7fffffff, v11
	v_cmpx_ngt_f32_e64 0x48000000, |v11|
	s_xor_b32 s8, exec_lo, s1
	s_cbranch_execz .LBB31_9
; %bb.8:
	s_mov_b32 s0, 0x7fffff
	v_mov_b32_e32 v15, 0
	v_and_or_b32 v14, v12, s0, 0x800000
	s_mov_b64 s[0:1], 0xfe5163ab
	v_lshrrev_b32_e32 v3, 23, v12
	s_delay_alu instid0(VALU_DEP_2) | instskip(NEXT) | instid1(VALU_DEP_1)
	v_mul_u64_e32 v[16:17], s[0:1], v[14:15]
	v_dual_mov_b32 v18, v17 :: v_dual_mov_b32 v19, v15
	v_dual_mov_b32 v21, v15 :: v_dual_mov_b32 v23, v15
	;; [unrolled: 1-line block ×3, first 2 shown]
	s_delay_alu instid0(VALU_DEP_3) | instskip(NEXT) | instid1(VALU_DEP_1)
	v_mad_nc_u64_u32 v[18:19], 0x3c439041, v14, v[18:19]
	v_mov_b32_e32 v20, v19
	s_delay_alu instid0(VALU_DEP_1) | instskip(NEXT) | instid1(VALU_DEP_1)
	v_mad_nc_u64_u32 v[20:21], 0xdb629599, v14, v[20:21]
	v_mov_b32_e32 v22, v21
	s_delay_alu instid0(VALU_DEP_1) | instskip(NEXT) | instid1(VALU_DEP_1)
	;; [unrolled: 3-line block ×3, first 2 shown]
	v_mad_nc_u64_u32 v[24:25], 0xfc2757d1, v14, v[24:25]
	v_dual_mov_b32 v27, v15 :: v_dual_mov_b32 v26, v25
	s_delay_alu instid0(VALU_DEP_1) | instskip(NEXT) | instid1(VALU_DEP_1)
	v_mad_nc_u64_u32 v[26:27], 0x4e441529, v14, v[26:27]
	v_dual_mov_b32 v28, v27 :: v_dual_add_nc_u32 v3, 0xffffff88, v3
	s_delay_alu instid0(VALU_DEP_1) | instskip(NEXT) | instid1(VALU_DEP_2)
	v_cmp_lt_u32_e32 vcc_lo, 63, v3
	v_mad_nc_u64_u32 v[14:15], 0xa2f9836e, v14, v[28:29]
	v_cndmask_b32_e64 v5, 0, 0xffffffc0, vcc_lo
	v_dual_cndmask_b32 v6, v26, v22, vcc_lo :: v_dual_cndmask_b32 v16, v20, v16, vcc_lo
	s_delay_alu instid0(VALU_DEP_2) | instskip(NEXT) | instid1(VALU_DEP_1)
	v_add_nc_u32_e32 v3, v5, v3
	v_cmp_lt_u32_e64 s0, 31, v3
	v_dual_cndmask_b32 v9, v14, v24 :: v_dual_cndmask_b32 v14, v15, v26
	s_delay_alu instid0(VALU_DEP_2) | instskip(NEXT) | instid1(VALU_DEP_2)
	v_cndmask_b32_e64 v5, 0, 0xffffffe0, s0
	v_dual_cndmask_b32 v17, v9, v6, s0 :: v_dual_cndmask_b32 v9, v14, v9, s0
	s_delay_alu instid0(VALU_DEP_2) | instskip(NEXT) | instid1(VALU_DEP_1)
	v_add_nc_u32_e32 v3, v5, v3
	v_cmp_lt_u32_e64 s1, 31, v3
	s_delay_alu instid0(VALU_DEP_1) | instskip(NEXT) | instid1(VALU_DEP_1)
	v_cndmask_b32_e64 v5, 0, 0xffffffe0, s1
	v_dual_cndmask_b32 v15, v24, v20, vcc_lo :: v_dual_add_nc_u32 v3, v5, v3
	s_delay_alu instid0(VALU_DEP_1) | instskip(NEXT) | instid1(VALU_DEP_1)
	v_dual_cndmask_b32 v5, v22, v18 :: v_dual_sub_nc_u32 v14, 32, v3
	v_dual_cndmask_b32 v6, v6, v15, s0 :: v_dual_cndmask_b32 v15, v15, v5, s0
	v_cndmask_b32_e64 v9, v9, v17, s1
	v_cmp_eq_u32_e32 vcc_lo, 0, v3
	v_cndmask_b32_e64 v5, v5, v16, s0
	s_delay_alu instid0(VALU_DEP_4) | instskip(NEXT) | instid1(VALU_DEP_2)
	v_dual_cndmask_b32 v17, v17, v6, s1 :: v_dual_cndmask_b32 v6, v6, v15, s1
	v_cndmask_b32_e64 v5, v15, v5, s1
	s_delay_alu instid0(VALU_DEP_2) | instskip(NEXT) | instid1(VALU_DEP_3)
	v_alignbit_b32 v18, v9, v17, v14
	v_alignbit_b32 v19, v17, v6, v14
	s_delay_alu instid0(VALU_DEP_3) | instskip(NEXT) | instid1(VALU_DEP_3)
	v_alignbit_b32 v14, v6, v5, v14
	v_cndmask_b32_e32 v3, v18, v9, vcc_lo
	s_delay_alu instid0(VALU_DEP_2) | instskip(NEXT) | instid1(VALU_DEP_2)
	v_cndmask_b32_e32 v6, v14, v6, vcc_lo
	v_bfe_u32 v16, v3, 29, 1
	v_cndmask_b32_e32 v9, v19, v17, vcc_lo
	s_delay_alu instid0(VALU_DEP_3) | instskip(NEXT) | instid1(VALU_DEP_3)
	v_alignbit_b32 v5, v6, v5, 30
	v_sub_nc_u32_e32 v17, 0, v16
	s_delay_alu instid0(VALU_DEP_3) | instskip(SKIP_1) | instid1(VALU_DEP_3)
	v_alignbit_b32 v15, v3, v9, 30
	v_alignbit_b32 v9, v9, v6, 30
	v_xor_b32_e32 v5, v5, v17
	s_delay_alu instid0(VALU_DEP_3) | instskip(NEXT) | instid1(VALU_DEP_3)
	v_xor_b32_e32 v15, v15, v17
	v_dual_lshrrev_b32 v17, 29, v3 :: v_dual_bitop2_b32 v6, v9, v17 bitop3:0x14
	v_lshrrev_b32_e32 v3, 30, v3
	s_delay_alu instid0(VALU_DEP_3) | instskip(NEXT) | instid1(VALU_DEP_1)
	v_clz_i32_u32_e32 v14, v15
	v_min_u32_e32 v14, 32, v14
	s_delay_alu instid0(VALU_DEP_1) | instskip(NEXT) | instid1(VALU_DEP_1)
	v_sub_nc_u32_e32 v9, 31, v14
	v_alignbit_b32 v15, v15, v6, v9
	v_alignbit_b32 v5, v6, v5, v9
	v_lshlrev_b32_e32 v6, 31, v17
	s_delay_alu instid0(VALU_DEP_2) | instskip(NEXT) | instid1(VALU_DEP_2)
	v_alignbit_b32 v9, v15, v5, 9
	v_dual_lshrrev_b32 v15, 9, v15 :: v_dual_bitop2_b32 v17, 0.5, v6 bitop3:0x54
	v_lshlrev_b32_e32 v18, 23, v14
	v_or_b32_e32 v6, 0x33000000, v6
	s_delay_alu instid0(VALU_DEP_4) | instskip(NEXT) | instid1(VALU_DEP_3)
	v_clz_i32_u32_e32 v19, v9
	v_sub_nc_u32_e32 v17, v17, v18
	s_delay_alu instid0(VALU_DEP_2) | instskip(NEXT) | instid1(VALU_DEP_2)
	v_min_u32_e32 v18, 32, v19
	v_or_b32_e32 v15, v15, v17
	s_delay_alu instid0(VALU_DEP_2) | instskip(SKIP_1) | instid1(VALU_DEP_3)
	v_not_b32_e32 v17, v18
	v_add_lshl_u32 v14, v18, v14, 23
	v_mul_f32_e32 v19, 0x3fc90fda, v15
	s_delay_alu instid0(VALU_DEP_3) | instskip(NEXT) | instid1(VALU_DEP_3)
	v_alignbit_b32 v5, v9, v5, v17
	v_dual_sub_nc_u32 v6, v6, v14 :: v_dual_add_nc_u32 v14, v16, v3
	s_delay_alu instid0(VALU_DEP_3) | instskip(NEXT) | instid1(VALU_DEP_3)
	v_fma_f32 v9, 0x3fc90fda, v15, -v19
	v_lshrrev_b32_e32 v5, 9, v5
	s_delay_alu instid0(VALU_DEP_2) | instskip(NEXT) | instid1(VALU_DEP_2)
	v_fmamk_f32 v9, v15, 0x33a22168, v9
	v_or_b32_e32 v5, v6, v5
	s_delay_alu instid0(VALU_DEP_1) | instskip(NEXT) | instid1(VALU_DEP_1)
	v_fmac_f32_e32 v9, 0x3fc90fda, v5
	v_add_f32_e32 v5, v19, v9
.LBB31_9:
	s_and_not1_saveexec_b32 s0, s8
; %bb.10:
	v_mul_f32_e64 v3, 0x3f22f983, |v11|
	s_delay_alu instid0(VALU_DEP_1) | instskip(NEXT) | instid1(VALU_DEP_1)
	v_rndne_f32_e32 v3, v3
	v_fma_f32 v5, 0xbfc90fda, v3, |v11|
	v_cvt_i32_f32_e32 v14, v3
	s_delay_alu instid0(VALU_DEP_2) | instskip(NEXT) | instid1(VALU_DEP_1)
	v_fmamk_f32 v5, v3, 0xb3a22168, v5
	v_fmamk_f32 v5, v3, 0xa7c234c4, v5
; %bb.11:
	s_or_b32 exec_lo, exec_lo, s0
	s_wait_loadcnt 0x2
	v_lshlrev_b32_e32 v15, 16, v8
                                        ; implicit-def: $vgpr19
                                        ; implicit-def: $vgpr6
	s_mov_b32 s1, exec_lo
	s_delay_alu instid0(VALU_DEP_1)
	v_and_b32_e32 v16, 0x7fffffff, v15
	v_cmpx_ngt_f32_e64 0x48000000, |v15|
	s_xor_b32 s8, exec_lo, s1
	s_cbranch_execz .LBB31_13
; %bb.12:
	s_mov_b32 s0, 0x7fffff
	v_mov_b32_e32 v19, 0
	v_and_or_b32 v18, v16, s0, 0x800000
	s_mov_b64 s[0:1], 0xfe5163ab
	v_lshrrev_b32_e32 v3, 23, v16
	s_delay_alu instid0(VALU_DEP_2) | instskip(NEXT) | instid1(VALU_DEP_1)
	v_mul_u64_e32 v[20:21], s[0:1], v[18:19]
	v_dual_mov_b32 v22, v21 :: v_dual_mov_b32 v23, v19
	v_dual_mov_b32 v25, v19 :: v_dual_mov_b32 v27, v19
	;; [unrolled: 1-line block ×3, first 2 shown]
	s_delay_alu instid0(VALU_DEP_3) | instskip(NEXT) | instid1(VALU_DEP_1)
	v_mad_nc_u64_u32 v[22:23], 0x3c439041, v18, v[22:23]
	v_mov_b32_e32 v24, v23
	s_delay_alu instid0(VALU_DEP_1) | instskip(NEXT) | instid1(VALU_DEP_1)
	v_mad_nc_u64_u32 v[24:25], 0xdb629599, v18, v[24:25]
	v_mov_b32_e32 v26, v25
	s_delay_alu instid0(VALU_DEP_1) | instskip(NEXT) | instid1(VALU_DEP_1)
	;; [unrolled: 3-line block ×3, first 2 shown]
	v_mad_nc_u64_u32 v[28:29], 0xfc2757d1, v18, v[28:29]
	v_dual_mov_b32 v31, v19 :: v_dual_mov_b32 v30, v29
	s_delay_alu instid0(VALU_DEP_1) | instskip(NEXT) | instid1(VALU_DEP_1)
	v_mad_nc_u64_u32 v[30:31], 0x4e441529, v18, v[30:31]
	v_dual_mov_b32 v32, v31 :: v_dual_add_nc_u32 v3, 0xffffff88, v3
	s_delay_alu instid0(VALU_DEP_1) | instskip(NEXT) | instid1(VALU_DEP_2)
	v_cmp_lt_u32_e32 vcc_lo, 63, v3
	v_mad_nc_u64_u32 v[18:19], 0xa2f9836e, v18, v[32:33]
	v_cndmask_b32_e64 v6, 0, 0xffffffc0, vcc_lo
	v_dual_cndmask_b32 v9, v30, v26 :: v_dual_cndmask_b32 v20, v24, v20
	s_delay_alu instid0(VALU_DEP_2) | instskip(NEXT) | instid1(VALU_DEP_1)
	v_add_nc_u32_e32 v3, v6, v3
	v_cmp_lt_u32_e64 s0, 31, v3
	v_dual_cndmask_b32 v17, v18, v28 :: v_dual_cndmask_b32 v18, v19, v30
	v_cndmask_b32_e32 v19, v28, v24, vcc_lo
	s_delay_alu instid0(VALU_DEP_3) | instskip(NEXT) | instid1(VALU_DEP_3)
	v_cndmask_b32_e64 v6, 0, 0xffffffe0, s0
	v_cndmask_b32_e64 v21, v17, v9, s0
	s_delay_alu instid0(VALU_DEP_3) | instskip(NEXT) | instid1(VALU_DEP_3)
	v_cndmask_b32_e64 v9, v9, v19, s0
	v_add_nc_u32_e32 v3, v6, v3
	s_delay_alu instid0(VALU_DEP_1) | instskip(NEXT) | instid1(VALU_DEP_1)
	v_cmp_lt_u32_e64 s1, 31, v3
	v_cndmask_b32_e64 v6, 0, 0xffffffe0, s1
	s_delay_alu instid0(VALU_DEP_1) | instskip(SKIP_1) | instid1(VALU_DEP_2)
	v_add_nc_u32_e32 v3, v6, v3
	v_cndmask_b32_e32 v6, v26, v22, vcc_lo
	v_dual_cndmask_b32 v17, v18, v17, s0 :: v_dual_sub_nc_u32 v18, 32, v3
	s_delay_alu instid0(VALU_DEP_1) | instskip(SKIP_2) | instid1(VALU_DEP_2)
	v_dual_cndmask_b32 v19, v19, v6, s0 :: v_dual_cndmask_b32 v17, v17, v21, s1
	v_dual_cndmask_b32 v21, v21, v9, s1 :: v_dual_cndmask_b32 v6, v6, v20, s0
	v_cmp_eq_u32_e32 vcc_lo, 0, v3
	v_alignbit_b32 v22, v17, v21, v18
	s_delay_alu instid0(VALU_DEP_1) | instskip(NEXT) | instid1(VALU_DEP_1)
	v_dual_cndmask_b32 v9, v9, v19, s1 :: v_dual_cndmask_b32 v3, v22, v17, vcc_lo
	v_alignbit_b32 v23, v21, v9, v18
	s_delay_alu instid0(VALU_DEP_2) | instskip(NEXT) | instid1(VALU_DEP_1)
	v_bfe_u32 v20, v3, 29, 1
	v_dual_cndmask_b32 v17, v23, v21, vcc_lo :: v_dual_sub_nc_u32 v21, 0, v20
	v_cndmask_b32_e64 v6, v19, v6, s1
	s_delay_alu instid0(VALU_DEP_2) | instskip(NEXT) | instid1(VALU_DEP_1)
	v_alignbit_b32 v19, v3, v17, 30
	v_xor_b32_e32 v19, v19, v21
	s_delay_alu instid0(VALU_DEP_3) | instskip(NEXT) | instid1(VALU_DEP_1)
	v_alignbit_b32 v18, v9, v6, v18
	v_cndmask_b32_e32 v9, v18, v9, vcc_lo
	s_delay_alu instid0(VALU_DEP_3) | instskip(NEXT) | instid1(VALU_DEP_2)
	v_clz_i32_u32_e32 v18, v19
	v_alignbit_b32 v17, v17, v9, 30
	s_delay_alu instid0(VALU_DEP_2) | instskip(SKIP_1) | instid1(VALU_DEP_2)
	v_min_u32_e32 v18, 32, v18
	v_alignbit_b32 v6, v9, v6, 30
	v_dual_sub_nc_u32 v17, 31, v18 :: v_dual_bitop2_b32 v9, v17, v21 bitop3:0x14
	s_delay_alu instid0(VALU_DEP_2) | instskip(SKIP_1) | instid1(VALU_DEP_3)
	v_dual_lshrrev_b32 v21, 29, v3 :: v_dual_bitop2_b32 v6, v6, v21 bitop3:0x14
	v_dual_lshlrev_b32 v22, 23, v18 :: v_dual_lshrrev_b32 v3, 30, v3
	v_alignbit_b32 v19, v19, v9, v17
	s_delay_alu instid0(VALU_DEP_3) | instskip(NEXT) | instid1(VALU_DEP_4)
	v_alignbit_b32 v6, v9, v6, v17
	v_lshlrev_b32_e32 v9, 31, v21
	s_delay_alu instid0(VALU_DEP_2) | instskip(NEXT) | instid1(VALU_DEP_2)
	v_alignbit_b32 v17, v19, v6, 9
	v_dual_lshrrev_b32 v19, 9, v19 :: v_dual_bitop2_b32 v21, 0.5, v9 bitop3:0x54
	v_or_b32_e32 v9, 0x33000000, v9
	s_delay_alu instid0(VALU_DEP_3) | instskip(NEXT) | instid1(VALU_DEP_3)
	v_clz_i32_u32_e32 v23, v17
	v_sub_nc_u32_e32 v21, v21, v22
	s_delay_alu instid0(VALU_DEP_2) | instskip(NEXT) | instid1(VALU_DEP_1)
	v_min_u32_e32 v22, 32, v23
	v_add_lshl_u32 v18, v22, v18, 23
	s_delay_alu instid0(VALU_DEP_3) | instskip(SKIP_1) | instid1(VALU_DEP_3)
	v_or_b32_e32 v19, v19, v21
	v_not_b32_e32 v21, v22
	v_sub_nc_u32_e32 v9, v9, v18
	s_delay_alu instid0(VALU_DEP_2) | instskip(NEXT) | instid1(VALU_DEP_1)
	v_alignbit_b32 v6, v17, v6, v21
	v_dual_mul_f32 v23, 0x3fc90fda, v19 :: v_dual_lshrrev_b32 v6, 9, v6
	s_delay_alu instid0(VALU_DEP_1) | instskip(NEXT) | instid1(VALU_DEP_2)
	v_fma_f32 v17, 0x3fc90fda, v19, -v23
	v_or_b32_e32 v6, v9, v6
	s_delay_alu instid0(VALU_DEP_2) | instskip(SKIP_1) | instid1(VALU_DEP_2)
	v_fmamk_f32 v17, v19, 0x33a22168, v17
	v_add_nc_u32_e32 v19, v20, v3
	v_fmac_f32_e32 v17, 0x3fc90fda, v6
	s_delay_alu instid0(VALU_DEP_1)
	v_add_f32_e32 v6, v23, v17
.LBB31_13:
	s_and_not1_saveexec_b32 s0, s8
; %bb.14:
	v_mul_f32_e64 v3, 0x3f22f983, |v15|
	s_delay_alu instid0(VALU_DEP_1) | instskip(NEXT) | instid1(VALU_DEP_1)
	v_rndne_f32_e32 v3, v3
	v_fma_f32 v6, 0xbfc90fda, v3, |v15|
	v_cvt_i32_f32_e32 v19, v3
	s_delay_alu instid0(VALU_DEP_2) | instskip(NEXT) | instid1(VALU_DEP_1)
	v_fmamk_f32 v6, v3, 0xb3a22168, v6
	v_fmamk_f32 v6, v3, 0xa7c234c4, v6
; %bb.15:
	s_or_b32 exec_lo, exec_lo, s0
	v_and_b32_e32 v17, 0xffff0000, v8
                                        ; implicit-def: $vgpr20
	s_mov_b32 s1, exec_lo
	s_delay_alu instid0(VALU_DEP_1)
	v_and_b32_e32 v18, 0x7fffffff, v17
	v_cmpx_ngt_f32_e64 0x48000000, |v17|
	s_xor_b32 s8, exec_lo, s1
	s_cbranch_execz .LBB31_17
; %bb.16:
	s_mov_b32 s0, 0x7fffff
	v_mov_b32_e32 v9, 0
	v_and_or_b32 v8, v18, s0, 0x800000
	s_mov_b64 s[0:1], 0xfe5163ab
	v_lshrrev_b32_e32 v3, 23, v18
	s_delay_alu instid0(VALU_DEP_2) | instskip(NEXT) | instid1(VALU_DEP_1)
	v_mul_u64_e32 v[20:21], s[0:1], v[8:9]
	v_dual_mov_b32 v22, v21 :: v_dual_mov_b32 v23, v9
	v_dual_mov_b32 v25, v9 :: v_dual_mov_b32 v27, v9
	v_mov_b32_e32 v29, v9
	s_delay_alu instid0(VALU_DEP_3) | instskip(NEXT) | instid1(VALU_DEP_1)
	v_mad_nc_u64_u32 v[22:23], 0x3c439041, v8, v[22:23]
	v_mov_b32_e32 v24, v23
	s_delay_alu instid0(VALU_DEP_1) | instskip(NEXT) | instid1(VALU_DEP_1)
	v_mad_nc_u64_u32 v[24:25], 0xdb629599, v8, v[24:25]
	v_mov_b32_e32 v26, v25
	s_delay_alu instid0(VALU_DEP_1) | instskip(NEXT) | instid1(VALU_DEP_1)
	;; [unrolled: 3-line block ×3, first 2 shown]
	v_mad_nc_u64_u32 v[28:29], 0xfc2757d1, v8, v[28:29]
	v_dual_mov_b32 v31, v9 :: v_dual_mov_b32 v30, v29
	s_delay_alu instid0(VALU_DEP_1) | instskip(NEXT) | instid1(VALU_DEP_1)
	v_mad_nc_u64_u32 v[30:31], 0x4e441529, v8, v[30:31]
	v_dual_mov_b32 v32, v31 :: v_dual_add_nc_u32 v3, 0xffffff88, v3
	s_delay_alu instid0(VALU_DEP_1) | instskip(SKIP_2) | instid1(VALU_DEP_2)
	v_cmp_lt_u32_e32 vcc_lo, 63, v3
	v_mov_b32_e32 v33, v9
	v_cndmask_b32_e64 v21, 0, 0xffffffc0, vcc_lo
	v_mad_nc_u64_u32 v[8:9], 0xa2f9836e, v8, v[32:33]
	v_dual_cndmask_b32 v23, v30, v26, vcc_lo :: v_dual_cndmask_b32 v25, v28, v24, vcc_lo
	s_delay_alu instid0(VALU_DEP_3) | instskip(NEXT) | instid1(VALU_DEP_1)
	v_dual_cndmask_b32 v20, v24, v20 :: v_dual_add_nc_u32 v3, v21, v3
	v_cmp_lt_u32_e64 s0, 31, v3
	s_delay_alu instid0(VALU_DEP_4) | instskip(NEXT) | instid1(VALU_DEP_2)
	v_dual_cndmask_b32 v8, v8, v28 :: v_dual_cndmask_b32 v9, v9, v30
	v_cndmask_b32_e64 v21, 0, 0xffffffe0, s0
	s_delay_alu instid0(VALU_DEP_1) | instskip(NEXT) | instid1(VALU_DEP_1)
	v_add_nc_u32_e32 v3, v21, v3
	v_cmp_lt_u32_e64 s1, 31, v3
	s_delay_alu instid0(VALU_DEP_1) | instskip(NEXT) | instid1(VALU_DEP_1)
	v_cndmask_b32_e64 v21, 0, 0xffffffe0, s1
	v_dual_add_nc_u32 v3, v21, v3 :: v_dual_cndmask_b32 v21, v26, v22, vcc_lo
	v_dual_cndmask_b32 v22, v8, v23, s0 :: v_dual_cndmask_b32 v8, v9, v8, s0
	s_delay_alu instid0(VALU_DEP_2) | instskip(NEXT) | instid1(VALU_DEP_3)
	v_dual_cndmask_b32 v9, v23, v25, s0 :: v_dual_sub_nc_u32 v23, 32, v3
	v_cndmask_b32_e64 v25, v25, v21, s0
	v_cmp_eq_u32_e32 vcc_lo, 0, v3
	s_delay_alu instid0(VALU_DEP_3) | instskip(NEXT) | instid1(VALU_DEP_3)
	v_dual_cndmask_b32 v8, v8, v22, s1 :: v_dual_cndmask_b32 v22, v22, v9, s1
	v_cndmask_b32_e64 v9, v9, v25, s1
	s_delay_alu instid0(VALU_DEP_2) | instskip(NEXT) | instid1(VALU_DEP_2)
	v_alignbit_b32 v26, v8, v22, v23
	v_alignbit_b32 v24, v22, v9, v23
	s_delay_alu instid0(VALU_DEP_2) | instskip(NEXT) | instid1(VALU_DEP_2)
	v_cndmask_b32_e32 v3, v26, v8, vcc_lo
	v_dual_cndmask_b32 v8, v21, v20, s0 :: v_dual_cndmask_b32 v20, v24, v22, vcc_lo
	s_delay_alu instid0(VALU_DEP_2) | instskip(NEXT) | instid1(VALU_DEP_2)
	v_bfe_u32 v21, v3, 29, 1
	v_alignbit_b32 v22, v3, v20, 30
	s_delay_alu instid0(VALU_DEP_2) | instskip(NEXT) | instid1(VALU_DEP_1)
	v_dual_sub_nc_u32 v24, 0, v21 :: v_dual_cndmask_b32 v8, v25, v8, s1
	v_xor_b32_e32 v22, v22, v24
	s_delay_alu instid0(VALU_DEP_2) | instskip(NEXT) | instid1(VALU_DEP_1)
	v_alignbit_b32 v23, v9, v8, v23
	v_cndmask_b32_e32 v9, v23, v9, vcc_lo
	s_delay_alu instid0(VALU_DEP_3) | instskip(NEXT) | instid1(VALU_DEP_2)
	v_clz_i32_u32_e32 v23, v22
	v_alignbit_b32 v20, v20, v9, 30
	s_delay_alu instid0(VALU_DEP_2) | instskip(SKIP_1) | instid1(VALU_DEP_2)
	v_min_u32_e32 v23, 32, v23
	v_alignbit_b32 v8, v9, v8, 30
	v_dual_sub_nc_u32 v20, 31, v23 :: v_dual_bitop2_b32 v9, v20, v24 bitop3:0x14
	s_delay_alu instid0(VALU_DEP_2) | instskip(SKIP_1) | instid1(VALU_DEP_3)
	v_dual_lshrrev_b32 v24, 29, v3 :: v_dual_bitop2_b32 v8, v8, v24 bitop3:0x14
	v_lshlrev_b32_e32 v25, 23, v23
	v_alignbit_b32 v22, v22, v9, v20
	s_delay_alu instid0(VALU_DEP_3) | instskip(NEXT) | instid1(VALU_DEP_4)
	v_alignbit_b32 v8, v9, v8, v20
	v_lshlrev_b32_e32 v9, 31, v24
	s_delay_alu instid0(VALU_DEP_2) | instskip(NEXT) | instid1(VALU_DEP_2)
	v_alignbit_b32 v20, v22, v8, 9
	v_dual_lshrrev_b32 v22, 9, v22 :: v_dual_bitop2_b32 v24, 0.5, v9 bitop3:0x54
	v_or_b32_e32 v9, 0x33000000, v9
	s_delay_alu instid0(VALU_DEP_3) | instskip(NEXT) | instid1(VALU_DEP_3)
	v_clz_i32_u32_e32 v26, v20
	v_sub_nc_u32_e32 v24, v24, v25
	s_delay_alu instid0(VALU_DEP_2) | instskip(NEXT) | instid1(VALU_DEP_1)
	v_min_u32_e32 v25, 32, v26
	v_add_lshl_u32 v23, v25, v23, 23
	s_delay_alu instid0(VALU_DEP_3) | instskip(SKIP_1) | instid1(VALU_DEP_2)
	v_or_b32_e32 v22, v22, v24
	v_not_b32_e32 v24, v25
	v_dual_mul_f32 v26, 0x3fc90fda, v22 :: v_dual_sub_nc_u32 v9, v9, v23
	s_delay_alu instid0(VALU_DEP_2) | instskip(NEXT) | instid1(VALU_DEP_2)
	v_alignbit_b32 v8, v20, v8, v24
	v_fma_f32 v20, 0x3fc90fda, v22, -v26
	s_delay_alu instid0(VALU_DEP_2) | instskip(NEXT) | instid1(VALU_DEP_2)
	v_lshrrev_b32_e32 v8, 9, v8
	v_fmamk_f32 v20, v22, 0x33a22168, v20
	s_delay_alu instid0(VALU_DEP_2) | instskip(NEXT) | instid1(VALU_DEP_1)
	v_or_b32_e32 v8, v9, v8
	v_fmac_f32_e32 v20, 0x3fc90fda, v8
	s_delay_alu instid0(VALU_DEP_1) | instskip(NEXT) | instid1(VALU_DEP_1)
	v_dual_add_f32 v3, v26, v20 :: v_dual_lshrrev_b32 v8, 30, v3
	v_add_nc_u32_e32 v20, v21, v8
.LBB31_17:
	s_and_not1_saveexec_b32 s0, s8
; %bb.18:
	v_mul_f32_e64 v3, 0x3f22f983, |v17|
	s_delay_alu instid0(VALU_DEP_1) | instskip(NEXT) | instid1(VALU_DEP_1)
	v_rndne_f32_e32 v8, v3
	v_fma_f32 v3, 0xbfc90fda, v8, |v17|
	v_cvt_i32_f32_e32 v20, v8
	s_delay_alu instid0(VALU_DEP_2) | instskip(NEXT) | instid1(VALU_DEP_1)
	v_fmamk_f32 v3, v8, 0xb3a22168, v3
	v_fmamk_f32 v3, v8, 0xa7c234c4, v3
; %bb.19:
	s_or_b32 exec_lo, exec_lo, s0
	s_wait_loadcnt 0x1
	v_lshlrev_b32_e32 v21, 16, v7
                                        ; implicit-def: $vgpr24
                                        ; implicit-def: $vgpr8
	s_mov_b32 s1, exec_lo
	s_delay_alu instid0(VALU_DEP_1)
	v_and_b32_e32 v22, 0x7fffffff, v21
	v_cmpx_ngt_f32_e64 0x48000000, |v21|
	s_xor_b32 s8, exec_lo, s1
	s_cbranch_execz .LBB31_21
; %bb.20:
	s_mov_b32 s0, 0x7fffff
	v_mov_b32_e32 v9, 0
	v_and_or_b32 v8, v22, s0, 0x800000
	s_mov_b64 s[0:1], 0xfe5163ab
	v_lshrrev_b32_e32 v23, 23, v22
	s_delay_alu instid0(VALU_DEP_2) | instskip(NEXT) | instid1(VALU_DEP_1)
	v_mul_u64_e32 v[24:25], s[0:1], v[8:9]
	v_dual_mov_b32 v26, v25 :: v_dual_mov_b32 v27, v9
	v_dual_mov_b32 v29, v9 :: v_dual_mov_b32 v31, v9
	v_mov_b32_e32 v33, v9
	s_delay_alu instid0(VALU_DEP_3) | instskip(NEXT) | instid1(VALU_DEP_1)
	v_mad_nc_u64_u32 v[26:27], 0x3c439041, v8, v[26:27]
	v_mov_b32_e32 v28, v27
	s_delay_alu instid0(VALU_DEP_1) | instskip(NEXT) | instid1(VALU_DEP_1)
	v_mad_nc_u64_u32 v[28:29], 0xdb629599, v8, v[28:29]
	v_mov_b32_e32 v30, v29
	s_delay_alu instid0(VALU_DEP_1) | instskip(NEXT) | instid1(VALU_DEP_1)
	;; [unrolled: 3-line block ×3, first 2 shown]
	v_mad_nc_u64_u32 v[32:33], 0xfc2757d1, v8, v[32:33]
	v_dual_mov_b32 v35, v9 :: v_dual_mov_b32 v34, v33
	s_delay_alu instid0(VALU_DEP_1) | instskip(NEXT) | instid1(VALU_DEP_1)
	v_mad_nc_u64_u32 v[34:35], 0x4e441529, v8, v[34:35]
	v_dual_mov_b32 v36, v35 :: v_dual_add_nc_u32 v23, 0xffffff88, v23
	s_delay_alu instid0(VALU_DEP_1) | instskip(SKIP_2) | instid1(VALU_DEP_2)
	v_cmp_lt_u32_e32 vcc_lo, 63, v23
	v_mov_b32_e32 v37, v9
	v_cndmask_b32_e64 v25, 0, 0xffffffc0, vcc_lo
	v_mad_nc_u64_u32 v[8:9], 0xa2f9836e, v8, v[36:37]
	v_dual_cndmask_b32 v27, v34, v30, vcc_lo :: v_dual_cndmask_b32 v29, v32, v28, vcc_lo
	s_delay_alu instid0(VALU_DEP_3) | instskip(NEXT) | instid1(VALU_DEP_1)
	v_dual_cndmask_b32 v24, v28, v24 :: v_dual_add_nc_u32 v23, v25, v23
	v_cmp_lt_u32_e64 s0, 31, v23
	s_delay_alu instid0(VALU_DEP_4) | instskip(NEXT) | instid1(VALU_DEP_2)
	v_dual_cndmask_b32 v8, v8, v32 :: v_dual_cndmask_b32 v9, v9, v34
	v_cndmask_b32_e64 v25, 0, 0xffffffe0, s0
	s_delay_alu instid0(VALU_DEP_1) | instskip(NEXT) | instid1(VALU_DEP_1)
	v_add_nc_u32_e32 v23, v25, v23
	v_cmp_lt_u32_e64 s1, 31, v23
	s_delay_alu instid0(VALU_DEP_1) | instskip(NEXT) | instid1(VALU_DEP_1)
	v_cndmask_b32_e64 v25, 0, 0xffffffe0, s1
	v_dual_add_nc_u32 v23, v25, v23 :: v_dual_cndmask_b32 v25, v30, v26, vcc_lo
	v_dual_cndmask_b32 v26, v8, v27, s0 :: v_dual_cndmask_b32 v8, v9, v8, s0
	s_delay_alu instid0(VALU_DEP_2) | instskip(NEXT) | instid1(VALU_DEP_3)
	v_dual_cndmask_b32 v9, v27, v29, s0 :: v_dual_sub_nc_u32 v27, 32, v23
	v_cndmask_b32_e64 v29, v29, v25, s0
	v_cmp_eq_u32_e32 vcc_lo, 0, v23
	s_delay_alu instid0(VALU_DEP_3) | instskip(SKIP_1) | instid1(VALU_DEP_4)
	v_dual_cndmask_b32 v8, v8, v26, s1 :: v_dual_cndmask_b32 v26, v26, v9, s1
	v_cndmask_b32_e64 v23, v25, v24, s0
	v_cndmask_b32_e64 v9, v9, v29, s1
	s_delay_alu instid0(VALU_DEP_3) | instskip(NEXT) | instid1(VALU_DEP_2)
	v_alignbit_b32 v30, v8, v26, v27
	v_alignbit_b32 v28, v26, v9, v27
	s_delay_alu instid0(VALU_DEP_1) | instskip(NEXT) | instid1(VALU_DEP_1)
	v_dual_cndmask_b32 v8, v30, v8, vcc_lo :: v_dual_cndmask_b32 v24, v28, v26, vcc_lo
	v_bfe_u32 v25, v8, 29, 1
	s_delay_alu instid0(VALU_DEP_2) | instskip(NEXT) | instid1(VALU_DEP_2)
	v_alignbit_b32 v26, v8, v24, 30
	v_dual_sub_nc_u32 v28, 0, v25 :: v_dual_cndmask_b32 v23, v29, v23, s1
	s_delay_alu instid0(VALU_DEP_1) | instskip(NEXT) | instid1(VALU_DEP_2)
	v_xor_b32_e32 v26, v26, v28
	v_alignbit_b32 v27, v9, v23, v27
	s_delay_alu instid0(VALU_DEP_1) | instskip(NEXT) | instid1(VALU_DEP_3)
	v_cndmask_b32_e32 v9, v27, v9, vcc_lo
	v_clz_i32_u32_e32 v27, v26
	s_delay_alu instid0(VALU_DEP_2) | instskip(NEXT) | instid1(VALU_DEP_2)
	v_alignbit_b32 v24, v24, v9, 30
	v_min_u32_e32 v27, 32, v27
	v_alignbit_b32 v9, v9, v23, 30
	s_delay_alu instid0(VALU_DEP_2) | instskip(NEXT) | instid1(VALU_DEP_2)
	v_dual_sub_nc_u32 v24, 31, v27 :: v_dual_bitop2_b32 v23, v24, v28 bitop3:0x14
	v_xor_b32_e32 v9, v9, v28
	v_dual_lshrrev_b32 v28, 29, v8 :: v_dual_lshlrev_b32 v29, 23, v27
	s_delay_alu instid0(VALU_DEP_3) | instskip(NEXT) | instid1(VALU_DEP_3)
	v_alignbit_b32 v26, v26, v23, v24
	v_alignbit_b32 v9, v23, v9, v24
	s_delay_alu instid0(VALU_DEP_3) | instskip(NEXT) | instid1(VALU_DEP_2)
	v_lshlrev_b32_e32 v23, 31, v28
	v_alignbit_b32 v24, v26, v9, 9
	s_delay_alu instid0(VALU_DEP_2) | instskip(NEXT) | instid1(VALU_DEP_2)
	v_dual_lshrrev_b32 v26, 9, v26 :: v_dual_bitop2_b32 v28, 0.5, v23 bitop3:0x54
	v_clz_i32_u32_e32 v30, v24
	s_delay_alu instid0(VALU_DEP_2) | instskip(SKIP_1) | instid1(VALU_DEP_3)
	v_sub_nc_u32_e32 v28, v28, v29
	v_or_b32_e32 v23, 0x33000000, v23
	v_min_u32_e32 v29, 32, v30
	s_delay_alu instid0(VALU_DEP_1) | instskip(NEXT) | instid1(VALU_DEP_4)
	v_add_lshl_u32 v27, v29, v27, 23
	v_or_b32_e32 v26, v26, v28
	v_not_b32_e32 v28, v29
	s_delay_alu instid0(VALU_DEP_3) | instskip(NEXT) | instid1(VALU_DEP_2)
	v_sub_nc_u32_e32 v23, v23, v27
	v_alignbit_b32 v9, v24, v9, v28
	s_delay_alu instid0(VALU_DEP_1) | instskip(NEXT) | instid1(VALU_DEP_1)
	v_dual_mul_f32 v30, 0x3fc90fda, v26 :: v_dual_lshrrev_b32 v9, 9, v9
	v_fma_f32 v24, 0x3fc90fda, v26, -v30
	s_delay_alu instid0(VALU_DEP_2) | instskip(NEXT) | instid1(VALU_DEP_2)
	v_or_b32_e32 v9, v23, v9
	v_fmamk_f32 v24, v26, 0x33a22168, v24
	s_delay_alu instid0(VALU_DEP_1) | instskip(NEXT) | instid1(VALU_DEP_1)
	v_dual_fmac_f32 v24, 0x3fc90fda, v9 :: v_dual_lshrrev_b32 v9, 30, v8
	v_dual_add_f32 v8, v30, v24 :: v_dual_add_nc_u32 v24, v25, v9
.LBB31_21:
	s_and_not1_saveexec_b32 s0, s8
; %bb.22:
	v_mul_f32_e64 v8, 0x3f22f983, |v21|
	s_delay_alu instid0(VALU_DEP_1) | instskip(NEXT) | instid1(VALU_DEP_1)
	v_rndne_f32_e32 v9, v8
	v_fma_f32 v8, 0xbfc90fda, v9, |v21|
	v_cvt_i32_f32_e32 v24, v9
	s_delay_alu instid0(VALU_DEP_2) | instskip(NEXT) | instid1(VALU_DEP_1)
	v_fmamk_f32 v8, v9, 0xb3a22168, v8
	v_fmamk_f32 v8, v9, 0xa7c234c4, v8
; %bb.23:
	s_or_b32 exec_lo, exec_lo, s0
	v_and_b32_e32 v23, 0xffff0000, v7
                                        ; implicit-def: $vgpr26
	s_mov_b32 s1, exec_lo
	s_delay_alu instid0(VALU_DEP_1)
	v_and_b32_e32 v25, 0x7fffffff, v23
	v_cmpx_ngt_f32_e64 0x48000000, |v23|
	s_xor_b32 s8, exec_lo, s1
	s_cbranch_execz .LBB31_25
; %bb.24:
	s_mov_b32 s0, 0x7fffff
	v_mov_b32_e32 v27, 0
	v_and_or_b32 v26, v25, s0, 0x800000
	s_mov_b64 s[0:1], 0xfe5163ab
	v_lshrrev_b32_e32 v7, 23, v25
	s_delay_alu instid0(VALU_DEP_2) | instskip(NEXT) | instid1(VALU_DEP_1)
	v_mul_u64_e32 v[28:29], s[0:1], v[26:27]
	v_dual_mov_b32 v30, v29 :: v_dual_mov_b32 v31, v27
	v_dual_mov_b32 v33, v27 :: v_dual_mov_b32 v35, v27
	;; [unrolled: 1-line block ×3, first 2 shown]
	s_delay_alu instid0(VALU_DEP_3) | instskip(NEXT) | instid1(VALU_DEP_1)
	v_mad_nc_u64_u32 v[30:31], 0x3c439041, v26, v[30:31]
	v_mov_b32_e32 v32, v31
	s_delay_alu instid0(VALU_DEP_1) | instskip(NEXT) | instid1(VALU_DEP_1)
	v_mad_nc_u64_u32 v[32:33], 0xdb629599, v26, v[32:33]
	v_mov_b32_e32 v34, v33
	s_delay_alu instid0(VALU_DEP_1) | instskip(NEXT) | instid1(VALU_DEP_1)
	;; [unrolled: 3-line block ×3, first 2 shown]
	v_mad_nc_u64_u32 v[36:37], 0xfc2757d1, v26, v[36:37]
	v_dual_mov_b32 v39, v27 :: v_dual_mov_b32 v38, v37
	s_delay_alu instid0(VALU_DEP_1) | instskip(NEXT) | instid1(VALU_DEP_1)
	v_mad_nc_u64_u32 v[38:39], 0x4e441529, v26, v[38:39]
	v_dual_mov_b32 v40, v39 :: v_dual_add_nc_u32 v7, 0xffffff88, v7
	s_delay_alu instid0(VALU_DEP_1) | instskip(NEXT) | instid1(VALU_DEP_2)
	v_cmp_lt_u32_e32 vcc_lo, 63, v7
	v_mad_nc_u64_u32 v[26:27], 0xa2f9836e, v26, v[40:41]
	v_cndmask_b32_e64 v9, 0, 0xffffffc0, vcc_lo
	v_dual_cndmask_b32 v29, v38, v34 :: v_dual_cndmask_b32 v28, v32, v28
	s_delay_alu instid0(VALU_DEP_2) | instskip(NEXT) | instid1(VALU_DEP_1)
	v_add_nc_u32_e32 v7, v9, v7
	v_cmp_lt_u32_e64 s0, 31, v7
	v_dual_cndmask_b32 v26, v26, v36 :: v_dual_cndmask_b32 v27, v27, v38
	s_delay_alu instid0(VALU_DEP_2) | instskip(NEXT) | instid1(VALU_DEP_1)
	v_cndmask_b32_e64 v9, 0, 0xffffffe0, s0
	v_add_nc_u32_e32 v7, v9, v7
	s_delay_alu instid0(VALU_DEP_1) | instskip(NEXT) | instid1(VALU_DEP_1)
	v_cmp_lt_u32_e64 s1, 31, v7
	v_cndmask_b32_e64 v9, 0, 0xffffffe0, s1
	s_delay_alu instid0(VALU_DEP_1) | instskip(SKIP_2) | instid1(VALU_DEP_3)
	v_dual_cndmask_b32 v31, v36, v32, vcc_lo :: v_dual_add_nc_u32 v7, v9, v7
	v_cndmask_b32_e32 v9, v34, v30, vcc_lo
	v_dual_cndmask_b32 v30, v26, v29, s0 :: v_dual_cndmask_b32 v26, v27, v26, s0
	v_cndmask_b32_e64 v27, v29, v31, s0
	s_delay_alu instid0(VALU_DEP_3) | instskip(SKIP_1) | instid1(VALU_DEP_4)
	v_dual_sub_nc_u32 v29, 32, v7 :: v_dual_cndmask_b32 v31, v31, v9, s0
	v_cmp_eq_u32_e32 vcc_lo, 0, v7
	v_cndmask_b32_e64 v26, v26, v30, s1
	s_delay_alu instid0(VALU_DEP_4) | instskip(NEXT) | instid1(VALU_DEP_4)
	v_cndmask_b32_e64 v30, v30, v27, s1
	v_cndmask_b32_e64 v27, v27, v31, s1
	s_delay_alu instid0(VALU_DEP_2) | instskip(NEXT) | instid1(VALU_DEP_2)
	v_alignbit_b32 v33, v26, v30, v29
	v_alignbit_b32 v32, v30, v27, v29
	v_cndmask_b32_e64 v9, v9, v28, s0
	s_delay_alu instid0(VALU_DEP_3) | instskip(NEXT) | instid1(VALU_DEP_2)
	v_cndmask_b32_e32 v7, v33, v26, vcc_lo
	v_dual_cndmask_b32 v26, v32, v30, vcc_lo :: v_dual_cndmask_b32 v9, v31, v9, s1
	s_delay_alu instid0(VALU_DEP_2) | instskip(NEXT) | instid1(VALU_DEP_2)
	v_bfe_u32 v28, v7, 29, 1
	v_alignbit_b32 v30, v7, v26, 30
	s_delay_alu instid0(VALU_DEP_3) | instskip(NEXT) | instid1(VALU_DEP_1)
	v_alignbit_b32 v29, v27, v9, v29
	v_dual_sub_nc_u32 v31, 0, v28 :: v_dual_cndmask_b32 v27, v29, v27, vcc_lo
	s_delay_alu instid0(VALU_DEP_1) | instskip(NEXT) | instid1(VALU_DEP_2)
	v_xor_b32_e32 v30, v30, v31
	v_alignbit_b32 v26, v26, v27, 30
	v_alignbit_b32 v9, v27, v9, 30
	s_delay_alu instid0(VALU_DEP_3) | instskip(NEXT) | instid1(VALU_DEP_2)
	v_clz_i32_u32_e32 v29, v30
	v_xor_b32_e32 v9, v9, v31
	s_delay_alu instid0(VALU_DEP_2) | instskip(NEXT) | instid1(VALU_DEP_1)
	v_min_u32_e32 v29, 32, v29
	v_dual_lshlrev_b32 v32, 23, v29 :: v_dual_bitop2_b32 v26, v26, v31 bitop3:0x14
	v_sub_nc_u32_e32 v27, 31, v29
	s_delay_alu instid0(VALU_DEP_1) | instskip(SKIP_2) | instid1(VALU_DEP_1)
	v_alignbit_b32 v30, v30, v26, v27
	v_lshrrev_b32_e32 v31, 29, v7
	v_alignbit_b32 v9, v26, v9, v27
	v_alignbit_b32 v27, v30, v9, 9
	s_delay_alu instid0(VALU_DEP_3) | instskip(NEXT) | instid1(VALU_DEP_2)
	v_dual_lshrrev_b32 v30, 9, v30 :: v_dual_lshlrev_b32 v26, 31, v31
	v_clz_i32_u32_e32 v33, v27
	s_delay_alu instid0(VALU_DEP_2) | instskip(SKIP_1) | instid1(VALU_DEP_2)
	v_or_b32_e32 v31, 0.5, v26
	v_or_b32_e32 v26, 0x33000000, v26
	v_sub_nc_u32_e32 v31, v31, v32
	s_delay_alu instid0(VALU_DEP_4) | instskip(NEXT) | instid1(VALU_DEP_2)
	v_min_u32_e32 v32, 32, v33
	v_or_b32_e32 v30, v30, v31
	s_delay_alu instid0(VALU_DEP_2) | instskip(SKIP_1) | instid1(VALU_DEP_3)
	v_not_b32_e32 v31, v32
	v_add_lshl_u32 v29, v32, v29, 23
	v_mul_f32_e32 v33, 0x3fc90fda, v30
	s_delay_alu instid0(VALU_DEP_3) | instskip(NEXT) | instid1(VALU_DEP_3)
	v_alignbit_b32 v9, v27, v9, v31
	v_sub_nc_u32_e32 v26, v26, v29
	s_delay_alu instid0(VALU_DEP_3) | instskip(NEXT) | instid1(VALU_DEP_3)
	v_fma_f32 v27, 0x3fc90fda, v30, -v33
	v_lshrrev_b32_e32 v9, 9, v9
	s_delay_alu instid0(VALU_DEP_2) | instskip(NEXT) | instid1(VALU_DEP_2)
	v_fmamk_f32 v27, v30, 0x33a22168, v27
	v_or_b32_e32 v9, v26, v9
	s_delay_alu instid0(VALU_DEP_1) | instskip(SKIP_1) | instid1(VALU_DEP_1)
	v_fmac_f32_e32 v27, 0x3fc90fda, v9
	v_lshrrev_b32_e32 v9, 30, v7
	v_dual_add_f32 v7, v33, v27 :: v_dual_add_nc_u32 v26, v28, v9
.LBB31_25:
	s_and_not1_saveexec_b32 s0, s8
; %bb.26:
	v_mul_f32_e64 v7, 0x3f22f983, |v23|
	s_delay_alu instid0(VALU_DEP_1) | instskip(NEXT) | instid1(VALU_DEP_1)
	v_rndne_f32_e32 v9, v7
	v_fma_f32 v7, 0xbfc90fda, v9, |v23|
	v_cvt_i32_f32_e32 v26, v9
	s_delay_alu instid0(VALU_DEP_2) | instskip(NEXT) | instid1(VALU_DEP_1)
	v_fmamk_f32 v7, v9, 0xb3a22168, v7
	v_fmamk_f32 v7, v9, 0xa7c234c4, v7
; %bb.27:
	s_or_b32 exec_lo, exec_lo, s0
	s_wait_loadcnt 0x0
	v_lshlrev_b32_e32 v27, 16, v4
                                        ; implicit-def: $vgpr31
	s_mov_b32 s1, exec_lo
	s_delay_alu instid0(VALU_DEP_1)
	v_and_b32_e32 v28, 0x7fffffff, v27
	v_cmpx_ngt_f32_e64 0x48000000, |v27|
	s_xor_b32 s8, exec_lo, s1
	s_cbranch_execz .LBB31_29
; %bb.28:
	s_mov_b32 s0, 0x7fffff
	v_mov_b32_e32 v31, 0
	v_and_or_b32 v30, v28, s0, 0x800000
	s_mov_b64 s[0:1], 0xfe5163ab
	v_lshrrev_b32_e32 v9, 23, v28
	s_delay_alu instid0(VALU_DEP_2) | instskip(NEXT) | instid1(VALU_DEP_1)
	v_mul_u64_e32 v[32:33], s[0:1], v[30:31]
	v_dual_mov_b32 v34, v33 :: v_dual_mov_b32 v35, v31
	v_dual_mov_b32 v37, v31 :: v_dual_mov_b32 v39, v31
	;; [unrolled: 1-line block ×3, first 2 shown]
	s_delay_alu instid0(VALU_DEP_3) | instskip(NEXT) | instid1(VALU_DEP_1)
	v_mad_nc_u64_u32 v[34:35], 0x3c439041, v30, v[34:35]
	v_mov_b32_e32 v36, v35
	s_delay_alu instid0(VALU_DEP_1) | instskip(NEXT) | instid1(VALU_DEP_1)
	v_mad_nc_u64_u32 v[36:37], 0xdb629599, v30, v[36:37]
	v_mov_b32_e32 v38, v37
	s_delay_alu instid0(VALU_DEP_1) | instskip(NEXT) | instid1(VALU_DEP_1)
	;; [unrolled: 3-line block ×3, first 2 shown]
	v_mad_nc_u64_u32 v[40:41], 0xfc2757d1, v30, v[40:41]
	v_dual_mov_b32 v43, v31 :: v_dual_mov_b32 v42, v41
	s_delay_alu instid0(VALU_DEP_1) | instskip(NEXT) | instid1(VALU_DEP_1)
	v_mad_nc_u64_u32 v[42:43], 0x4e441529, v30, v[42:43]
	v_dual_mov_b32 v44, v43 :: v_dual_add_nc_u32 v9, 0xffffff88, v9
	s_delay_alu instid0(VALU_DEP_1) | instskip(NEXT) | instid1(VALU_DEP_2)
	v_cmp_lt_u32_e32 vcc_lo, 63, v9
	v_mad_nc_u64_u32 v[30:31], 0xa2f9836e, v30, v[44:45]
	v_cndmask_b32_e64 v29, 0, 0xffffffc0, vcc_lo
	v_dual_cndmask_b32 v33, v42, v38 :: v_dual_cndmask_b32 v32, v36, v32
	s_delay_alu instid0(VALU_DEP_2) | instskip(NEXT) | instid1(VALU_DEP_1)
	v_add_nc_u32_e32 v9, v29, v9
	v_cmp_lt_u32_e64 s0, 31, v9
	v_dual_cndmask_b32 v30, v30, v40 :: v_dual_cndmask_b32 v31, v31, v42
	s_delay_alu instid0(VALU_DEP_2) | instskip(NEXT) | instid1(VALU_DEP_1)
	v_cndmask_b32_e64 v29, 0, 0xffffffe0, s0
	v_add_nc_u32_e32 v9, v29, v9
	s_delay_alu instid0(VALU_DEP_1) | instskip(NEXT) | instid1(VALU_DEP_1)
	v_cmp_lt_u32_e64 s1, 31, v9
	v_cndmask_b32_e64 v29, 0, 0xffffffe0, s1
	s_delay_alu instid0(VALU_DEP_1) | instskip(SKIP_2) | instid1(VALU_DEP_3)
	v_dual_cndmask_b32 v35, v40, v36, vcc_lo :: v_dual_add_nc_u32 v9, v29, v9
	v_cndmask_b32_e32 v29, v38, v34, vcc_lo
	v_dual_cndmask_b32 v34, v30, v33, s0 :: v_dual_cndmask_b32 v30, v31, v30, s0
	v_dual_cndmask_b32 v31, v33, v35, s0 :: v_dual_sub_nc_u32 v33, 32, v9
	s_delay_alu instid0(VALU_DEP_3) | instskip(SKIP_1) | instid1(VALU_DEP_4)
	v_cndmask_b32_e64 v35, v35, v29, s0
	v_cmp_eq_u32_e32 vcc_lo, 0, v9
	v_cndmask_b32_e64 v30, v30, v34, s1
	s_delay_alu instid0(VALU_DEP_4) | instskip(NEXT) | instid1(VALU_DEP_4)
	v_cndmask_b32_e64 v34, v34, v31, s1
	v_cndmask_b32_e64 v31, v31, v35, s1
	s_delay_alu instid0(VALU_DEP_2) | instskip(NEXT) | instid1(VALU_DEP_2)
	v_alignbit_b32 v37, v30, v34, v33
	v_alignbit_b32 v36, v34, v31, v33
	v_cndmask_b32_e64 v29, v29, v32, s0
	s_delay_alu instid0(VALU_DEP_3) | instskip(NEXT) | instid1(VALU_DEP_2)
	v_cndmask_b32_e32 v9, v37, v30, vcc_lo
	v_dual_cndmask_b32 v30, v36, v34, vcc_lo :: v_dual_cndmask_b32 v29, v35, v29, s1
	s_delay_alu instid0(VALU_DEP_2) | instskip(NEXT) | instid1(VALU_DEP_2)
	v_bfe_u32 v32, v9, 29, 1
	v_alignbit_b32 v34, v9, v30, 30
	s_delay_alu instid0(VALU_DEP_3) | instskip(NEXT) | instid1(VALU_DEP_1)
	v_alignbit_b32 v33, v31, v29, v33
	v_dual_sub_nc_u32 v35, 0, v32 :: v_dual_cndmask_b32 v31, v33, v31, vcc_lo
	s_delay_alu instid0(VALU_DEP_1) | instskip(NEXT) | instid1(VALU_DEP_2)
	v_xor_b32_e32 v34, v34, v35
	v_alignbit_b32 v30, v30, v31, 30
	v_alignbit_b32 v29, v31, v29, 30
	s_delay_alu instid0(VALU_DEP_3) | instskip(NEXT) | instid1(VALU_DEP_3)
	v_clz_i32_u32_e32 v33, v34
	v_xor_b32_e32 v30, v30, v35
	s_delay_alu instid0(VALU_DEP_3) | instskip(NEXT) | instid1(VALU_DEP_3)
	v_xor_b32_e32 v29, v29, v35
	v_min_u32_e32 v33, 32, v33
	v_lshrrev_b32_e32 v35, 29, v9
	s_delay_alu instid0(VALU_DEP_2) | instskip(NEXT) | instid1(VALU_DEP_1)
	v_dual_sub_nc_u32 v31, 31, v33 :: v_dual_lshlrev_b32 v36, 23, v33
	v_alignbit_b32 v34, v34, v30, v31
	v_alignbit_b32 v29, v30, v29, v31
	s_delay_alu instid0(VALU_DEP_4) | instskip(NEXT) | instid1(VALU_DEP_2)
	v_lshlrev_b32_e32 v30, 31, v35
	v_alignbit_b32 v31, v34, v29, 9
	s_delay_alu instid0(VALU_DEP_2) | instskip(SKIP_2) | instid1(VALU_DEP_4)
	v_or_b32_e32 v35, 0.5, v30
	v_lshrrev_b32_e32 v34, 9, v34
	v_or_b32_e32 v30, 0x33000000, v30
	v_clz_i32_u32_e32 v37, v31
	s_delay_alu instid0(VALU_DEP_4) | instskip(NEXT) | instid1(VALU_DEP_2)
	v_sub_nc_u32_e32 v35, v35, v36
	v_min_u32_e32 v36, 32, v37
	s_delay_alu instid0(VALU_DEP_2) | instskip(NEXT) | instid1(VALU_DEP_2)
	v_or_b32_e32 v34, v34, v35
	v_not_b32_e32 v35, v36
	v_add_lshl_u32 v33, v36, v33, 23
	s_delay_alu instid0(VALU_DEP_2) | instskip(NEXT) | instid1(VALU_DEP_2)
	v_alignbit_b32 v29, v31, v29, v35
	v_sub_nc_u32_e32 v30, v30, v33
	s_delay_alu instid0(VALU_DEP_2) | instskip(SKIP_1) | instid1(VALU_DEP_2)
	v_lshrrev_b32_e32 v29, 9, v29
	v_mul_f32_e32 v37, 0x3fc90fda, v34
	v_or_b32_e32 v29, v30, v29
	s_delay_alu instid0(VALU_DEP_2) | instskip(NEXT) | instid1(VALU_DEP_1)
	v_fma_f32 v31, 0x3fc90fda, v34, -v37
	v_fmamk_f32 v31, v34, 0x33a22168, v31
	s_delay_alu instid0(VALU_DEP_1) | instskip(NEXT) | instid1(VALU_DEP_1)
	v_fmac_f32_e32 v31, 0x3fc90fda, v29
	v_dual_lshrrev_b32 v29, 30, v9 :: v_dual_add_f32 v9, v37, v31
	s_delay_alu instid0(VALU_DEP_1)
	v_add_nc_u32_e32 v31, v32, v29
.LBB31_29:
	s_and_not1_saveexec_b32 s0, s8
; %bb.30:
	v_mul_f32_e64 v9, 0x3f22f983, |v27|
	s_delay_alu instid0(VALU_DEP_1) | instskip(NEXT) | instid1(VALU_DEP_1)
	v_rndne_f32_e32 v29, v9
	v_fma_f32 v9, 0xbfc90fda, v29, |v27|
	v_cvt_i32_f32_e32 v31, v29
	s_delay_alu instid0(VALU_DEP_2) | instskip(NEXT) | instid1(VALU_DEP_1)
	v_fmamk_f32 v9, v29, 0xb3a22168, v9
	v_fmamk_f32 v9, v29, 0xa7c234c4, v9
; %bb.31:
	s_or_b32 exec_lo, exec_lo, s0
	v_and_b32_e32 v29, 0xffff0000, v4
                                        ; implicit-def: $vgpr32
	s_mov_b32 s1, exec_lo
	s_delay_alu instid0(VALU_DEP_1)
	v_and_b32_e32 v30, 0x7fffffff, v29
	v_cmpx_ngt_f32_e64 0x48000000, |v29|
	s_xor_b32 s8, exec_lo, s1
	s_cbranch_execz .LBB31_33
; %bb.32:
	s_mov_b32 s0, 0x7fffff
	v_mov_b32_e32 v33, 0
	v_and_or_b32 v32, v30, s0, 0x800000
	s_mov_b64 s[0:1], 0xfe5163ab
	v_lshrrev_b32_e32 v4, 23, v30
	s_delay_alu instid0(VALU_DEP_2) | instskip(NEXT) | instid1(VALU_DEP_1)
	v_mul_u64_e32 v[34:35], s[0:1], v[32:33]
	v_dual_mov_b32 v36, v35 :: v_dual_mov_b32 v37, v33
	v_dual_mov_b32 v39, v33 :: v_dual_mov_b32 v41, v33
	s_delay_alu instid0(VALU_DEP_4) | instskip(SKIP_1) | instid1(VALU_DEP_4)
	v_dual_mov_b32 v43, v33 :: v_dual_add_nc_u32 v4, 0xffffff88, v4
	v_mov_b32_e32 v47, v33
	v_mad_nc_u64_u32 v[36:37], 0x3c439041, v32, v[36:37]
	s_delay_alu instid0(VALU_DEP_3) | instskip(SKIP_1) | instid1(VALU_DEP_3)
	v_cmp_lt_u32_e32 vcc_lo, 63, v4
	v_cndmask_b32_e64 v35, 0, 0xffffffc0, vcc_lo
	v_mov_b32_e32 v38, v37
	s_delay_alu instid0(VALU_DEP_1) | instskip(NEXT) | instid1(VALU_DEP_1)
	v_mad_nc_u64_u32 v[38:39], 0xdb629599, v32, v[38:39]
	v_dual_mov_b32 v40, v39 :: v_dual_cndmask_b32 v34, v38, v34, vcc_lo
	s_delay_alu instid0(VALU_DEP_1) | instskip(NEXT) | instid1(VALU_DEP_1)
	v_mad_nc_u64_u32 v[40:41], 0xf534ddc0, v32, v[40:41]
	v_mov_b32_e32 v42, v41
	s_delay_alu instid0(VALU_DEP_1) | instskip(NEXT) | instid1(VALU_DEP_1)
	v_mad_nc_u64_u32 v[42:43], 0xfc2757d1, v32, v[42:43]
	v_dual_mov_b32 v45, v33 :: v_dual_mov_b32 v44, v43
	s_delay_alu instid0(VALU_DEP_2) | instskip(NEXT) | instid1(VALU_DEP_2)
	v_cndmask_b32_e32 v39, v42, v38, vcc_lo
	v_mad_nc_u64_u32 v[44:45], 0x4e441529, v32, v[44:45]
	s_delay_alu instid0(VALU_DEP_1) | instskip(NEXT) | instid1(VALU_DEP_1)
	v_dual_add_nc_u32 v4, v35, v4 :: v_dual_mov_b32 v46, v45
	v_cmp_lt_u32_e64 s0, 31, v4
	s_delay_alu instid0(VALU_DEP_3) | instskip(NEXT) | instid1(VALU_DEP_3)
	v_cndmask_b32_e32 v37, v44, v40, vcc_lo
	v_mad_nc_u64_u32 v[32:33], 0xa2f9836e, v32, v[46:47]
	s_delay_alu instid0(VALU_DEP_3) | instskip(NEXT) | instid1(VALU_DEP_1)
	v_cndmask_b32_e64 v35, 0, 0xffffffe0, s0
	v_dual_add_nc_u32 v4, v35, v4 :: v_dual_cndmask_b32 v32, v32, v42, vcc_lo
	s_delay_alu instid0(VALU_DEP_1) | instskip(NEXT) | instid1(VALU_DEP_4)
	v_cmp_lt_u32_e64 s1, 31, v4
	v_cndmask_b32_e32 v33, v33, v44, vcc_lo
	s_delay_alu instid0(VALU_DEP_2) | instskip(NEXT) | instid1(VALU_DEP_1)
	v_cndmask_b32_e64 v35, 0, 0xffffffe0, s1
	v_add_nc_u32_e32 v4, v35, v4
	v_cndmask_b32_e32 v35, v40, v36, vcc_lo
	s_delay_alu instid0(VALU_DEP_4) | instskip(NEXT) | instid1(VALU_DEP_3)
	v_dual_cndmask_b32 v36, v32, v37, s0 :: v_dual_cndmask_b32 v32, v33, v32, s0
	v_dual_cndmask_b32 v33, v37, v39, s0 :: v_dual_sub_nc_u32 v37, 32, v4
	s_delay_alu instid0(VALU_DEP_3) | instskip(SKIP_1) | instid1(VALU_DEP_4)
	v_cndmask_b32_e64 v39, v39, v35, s0
	v_cmp_eq_u32_e32 vcc_lo, 0, v4
	v_cndmask_b32_e64 v32, v32, v36, s1
	s_delay_alu instid0(VALU_DEP_3) | instskip(NEXT) | instid1(VALU_DEP_1)
	v_dual_cndmask_b32 v36, v36, v33, s1 :: v_dual_cndmask_b32 v33, v33, v39, s1
	v_alignbit_b32 v40, v32, v36, v37
	s_delay_alu instid0(VALU_DEP_2) | instskip(NEXT) | instid1(VALU_DEP_2)
	v_alignbit_b32 v38, v36, v33, v37
	v_dual_cndmask_b32 v4, v40, v32, vcc_lo :: v_dual_cndmask_b32 v32, v35, v34, s0
	s_delay_alu instid0(VALU_DEP_1) | instskip(NEXT) | instid1(VALU_DEP_1)
	v_bfe_u32 v35, v4, 29, 1
	v_dual_cndmask_b32 v34, v38, v36, vcc_lo :: v_dual_sub_nc_u32 v38, 0, v35
	s_delay_alu instid0(VALU_DEP_1) | instskip(NEXT) | instid1(VALU_DEP_1)
	v_alignbit_b32 v36, v4, v34, 30
	v_dual_cndmask_b32 v32, v39, v32, s1 :: v_dual_bitop2_b32 v36, v36, v38 bitop3:0x14
	s_delay_alu instid0(VALU_DEP_1) | instskip(NEXT) | instid1(VALU_DEP_1)
	v_alignbit_b32 v37, v33, v32, v37
	v_cndmask_b32_e32 v33, v37, v33, vcc_lo
	s_delay_alu instid0(VALU_DEP_3) | instskip(NEXT) | instid1(VALU_DEP_2)
	v_clz_i32_u32_e32 v37, v36
	v_alignbit_b32 v32, v33, v32, 30
	s_delay_alu instid0(VALU_DEP_2) | instskip(NEXT) | instid1(VALU_DEP_2)
	v_min_u32_e32 v37, 32, v37
	v_xor_b32_e32 v32, v32, v38
	v_alignbit_b32 v34, v34, v33, 30
	s_delay_alu instid0(VALU_DEP_1) | instskip(SKIP_1) | instid1(VALU_DEP_1)
	v_dual_lshlrev_b32 v39, 23, v37 :: v_dual_bitop2_b32 v33, v34, v38 bitop3:0x14
	v_dual_sub_nc_u32 v34, 31, v37 :: v_dual_lshrrev_b32 v38, 29, v4
	v_alignbit_b32 v36, v36, v33, v34
	v_alignbit_b32 v32, v33, v32, v34
	s_delay_alu instid0(VALU_DEP_3) | instskip(NEXT) | instid1(VALU_DEP_2)
	v_lshlrev_b32_e32 v33, 31, v38
	v_alignbit_b32 v34, v36, v32, 9
	s_delay_alu instid0(VALU_DEP_2) | instskip(NEXT) | instid1(VALU_DEP_2)
	v_dual_lshrrev_b32 v36, 9, v36 :: v_dual_bitop2_b32 v38, 0.5, v33 bitop3:0x54
	v_clz_i32_u32_e32 v40, v34
	s_delay_alu instid0(VALU_DEP_2) | instskip(SKIP_1) | instid1(VALU_DEP_3)
	v_sub_nc_u32_e32 v38, v38, v39
	v_or_b32_e32 v33, 0x33000000, v33
	v_min_u32_e32 v39, 32, v40
	s_delay_alu instid0(VALU_DEP_1) | instskip(NEXT) | instid1(VALU_DEP_4)
	v_add_lshl_u32 v37, v39, v37, 23
	v_or_b32_e32 v36, v36, v38
	v_not_b32_e32 v38, v39
	s_delay_alu instid0(VALU_DEP_2) | instskip(NEXT) | instid1(VALU_DEP_2)
	v_dual_mul_f32 v40, 0x3fc90fda, v36 :: v_dual_sub_nc_u32 v33, v33, v37
	v_alignbit_b32 v32, v34, v32, v38
	s_delay_alu instid0(VALU_DEP_2) | instskip(NEXT) | instid1(VALU_DEP_2)
	v_fma_f32 v34, 0x3fc90fda, v36, -v40
	v_lshrrev_b32_e32 v32, 9, v32
	s_delay_alu instid0(VALU_DEP_2) | instskip(NEXT) | instid1(VALU_DEP_2)
	v_fmamk_f32 v34, v36, 0x33a22168, v34
	v_or_b32_e32 v32, v33, v32
	s_delay_alu instid0(VALU_DEP_1) | instskip(NEXT) | instid1(VALU_DEP_1)
	v_fmac_f32_e32 v34, 0x3fc90fda, v32
	v_dual_lshrrev_b32 v32, 30, v4 :: v_dual_add_f32 v4, v40, v34
	s_delay_alu instid0(VALU_DEP_1)
	v_add_nc_u32_e32 v32, v35, v32
.LBB31_33:
	s_and_not1_saveexec_b32 s0, s8
; %bb.34:
	v_mul_f32_e64 v4, 0x3f22f983, |v29|
	s_delay_alu instid0(VALU_DEP_1) | instskip(NEXT) | instid1(VALU_DEP_1)
	v_rndne_f32_e32 v32, v4
	v_fma_f32 v4, 0xbfc90fda, v32, |v29|
	s_delay_alu instid0(VALU_DEP_1) | instskip(NEXT) | instid1(VALU_DEP_1)
	v_fmamk_f32 v4, v32, 0xb3a22168, v4
	v_fmamk_f32 v4, v32, 0xa7c234c4, v4
	v_cvt_i32_f32_e32 v32, v32
; %bb.35:
	s_or_b32 exec_lo, exec_lo, s0
	v_pk_mul_f32 v[34:35], v[8:9], v[8:9]
	s_mov_b32 s0, 0x3c0881c4
	s_mov_b32 s8, 0xb94c1982
	;; [unrolled: 1-line block ×4, first 2 shown]
	v_pk_fma_f32 v[36:37], v[34:35], s[8:9], s[0:1] op_sel_hi:[1,0,0]
	v_pk_fma_f32 v[38:39], v[34:35], s[16:17], s[10:11] op_sel_hi:[1,0,0]
	s_mov_b32 s12, 0xbe2aaa9d
	s_mov_b32 s14, 0x3d2aabf7
	;; [unrolled: 1-line block ×3, first 2 shown]
	v_pk_fma_f32 v[36:37], v[34:35], v[36:37], s[12:13] op_sel_hi:[1,1,0]
	v_pk_fma_f32 v[38:39], v[34:35], v[38:39], s[14:15] op_sel_hi:[1,1,0]
	v_dual_lshlrev_b32 v33, 30, v31 :: v_dual_lshlrev_b32 v42, 30, v24
	v_pk_mul_f32 v[40:41], v[6:7], v[6:7]
	s_delay_alu instid0(VALU_DEP_4) | instskip(NEXT) | instid1(VALU_DEP_4)
	v_pk_mul_f32 v[36:37], v[34:35], v[36:37]
	v_pk_fma_f32 v[38:39], v[34:35], v[38:39], s[18:19] op_sel_hi:[1,1,0]
	s_delay_alu instid0(VALU_DEP_4)
	v_and_b32_e32 v33, 0x80000000, v33
	v_and_b32_e32 v24, 1, v24
	s_add_nc_u64 s[2:3], s[4:5], s[2:3]
	v_pk_fma_f32 v[8:9], v[8:9], v[36:37], v[8:9]
	v_pk_fma_f32 v[34:35], v[34:35], v[38:39], 1.0 op_sel_hi:[1,1,0]
	v_and_b32_e32 v31, 1, v31
	v_pk_fma_f32 v[36:37], v[40:41], s[8:9], s[0:1] op_sel_hi:[1,0,0]
	v_pk_fma_f32 v[38:39], v[40:41], s[16:17], s[10:11] op_sel_hi:[1,0,0]
	s_delay_alu instid0(VALU_DEP_3) | instskip(SKIP_1) | instid1(VALU_DEP_4)
	v_cmp_eq_u32_e32 vcc_lo, 0, v31
	v_lshlrev_b32_e32 v31, 30, v26
	v_pk_fma_f32 v[36:37], v[40:41], v[36:37], s[12:13] op_sel_hi:[1,1,0]
	s_delay_alu instid0(VALU_DEP_4)
	v_pk_fma_f32 v[38:39], v[40:41], v[38:39], s[14:15] op_sel_hi:[1,1,0]
	v_cndmask_b32_e32 v9, v35, v9, vcc_lo
	v_cmp_eq_u32_e32 vcc_lo, 0, v24
	v_xor_b32_e32 v28, v28, v33
	v_pk_mul_f32 v[36:37], v[40:41], v[36:37]
	v_pk_fma_f32 v[38:39], v[40:41], v[38:39], s[18:19] op_sel_hi:[1,1,0]
	v_and_b32_e32 v33, 0x80000000, v42
	s_delay_alu instid0(VALU_DEP_4) | instskip(SKIP_3) | instid1(VALU_DEP_4)
	v_dual_cndmask_b32 v24, v34, v8, vcc_lo :: v_dual_bitop2_b32 v9, v28, v9 bitop3:0x14
	v_cmp_class_f32_e64 vcc_lo, v27, 0x1f8
	v_pk_fma_f32 v[6:7], v[6:7], v[36:37], v[6:7]
	v_and_b32_e32 v28, 0x80000000, v31
	v_xor_b32_e32 v9, v9, v27
	s_delay_alu instid0(VALU_DEP_1) | instskip(SKIP_3) | instid1(VALU_DEP_2)
	v_cndmask_b32_e32 v27, 0x7fc00000, v9, vcc_lo
	v_pk_fma_f32 v[8:9], v[40:41], v[38:39], 1.0 op_sel_hi:[1,1,0]
	v_and_b32_e32 v26, 1, v26
	v_xor_b32_e32 v22, v22, v33
	v_cmp_eq_u32_e32 vcc_lo, 0, v26
	s_delay_alu instid0(VALU_DEP_2) | instskip(SKIP_3) | instid1(VALU_DEP_4)
	v_xor_b32_e32 v22, v22, v24
	v_bfe_u32 v24, v27, 16, 1
	v_cndmask_b32_e32 v7, v9, v7, vcc_lo
	v_xor_b32_e32 v9, v25, v28
	v_xor_b32_e32 v22, v22, v21
	v_cmp_class_f32_e64 vcc_lo, v21, 0x1f8
	v_add3_u32 v24, v27, v24, 0x7fff
	v_lshlrev_b32_e32 v21, 30, v19
	v_xor_b32_e32 v7, v9, v7
	v_and_b32_e32 v19, 1, v19
	v_cndmask_b32_e32 v9, 0x7fc00000, v22, vcc_lo
	v_cmp_class_f32_e64 vcc_lo, v23, 0x1f8
	s_delay_alu instid0(VALU_DEP_4) | instskip(SKIP_1) | instid1(VALU_DEP_4)
	v_dual_lshrrev_b32 v22, 16, v24 :: v_dual_bitop2_b32 v7, v7, v23 bitop3:0x14
	v_and_b32_e32 v21, 0x80000000, v21
	v_bfe_u32 v24, v9, 16, 1
	s_delay_alu instid0(VALU_DEP_3) | instskip(SKIP_1) | instid1(VALU_DEP_3)
	v_cndmask_b32_e32 v25, 0x7fc00000, v7, vcc_lo
	v_cmp_eq_u32_e32 vcc_lo, 0, v19
	v_add3_u32 v7, v9, v24, 0x7fff
	v_cndmask_b32_e32 v6, v8, v6, vcc_lo
	v_xor_b32_e32 v8, v16, v21
	v_cmp_o_f32_e32 vcc_lo, v27, v27
	s_delay_alu instid0(VALU_DEP_4) | instskip(SKIP_1) | instid1(VALU_DEP_4)
	v_lshrrev_b32_e32 v19, 16, v7
	v_bfe_u32 v16, v25, 16, 1
	v_dual_lshlrev_b32 v21, 30, v13 :: v_dual_bitop2_b32 v8, v8, v6 bitop3:0x14
	v_cndmask_b32_e32 v24, 0x7fc0, v22, vcc_lo
	v_pk_mul_f32 v[6:7], v[2:3], v[2:3]
	v_cmp_o_f32_e32 vcc_lo, v9, v9
	v_add3_u32 v16, v25, v16, 0x7fff
	v_and_b32_e32 v13, 1, v13
	s_delay_alu instid0(VALU_DEP_4)
	v_pk_fma_f32 v[22:23], v[6:7], s[16:17], s[10:11] op_sel_hi:[1,0,0]
	v_cndmask_b32_e32 v26, 0x7fc0, v19, vcc_lo
	v_xor_b32_e32 v19, v8, v15
	v_pk_fma_f32 v[8:9], v[6:7], s[8:9], s[0:1] op_sel_hi:[1,0,0]
	v_cmp_class_f32_e64 vcc_lo, v15, 0x1f8
	v_pk_fma_f32 v[22:23], v[6:7], v[22:23], s[14:15] op_sel_hi:[1,1,0]
	v_and_b32_e32 v16, 0xffff0000, v16
	s_delay_alu instid0(VALU_DEP_4)
	v_pk_fma_f32 v[8:9], v[6:7], v[8:9], s[12:13] op_sel_hi:[1,1,0]
	v_cndmask_b32_e32 v15, 0x7fc00000, v19, vcc_lo
	v_cmp_o_f32_e32 vcc_lo, v25, v25
	v_lshlrev_b32_e32 v19, 30, v20
	v_pk_fma_f32 v[22:23], v[6:7], v[22:23], s[18:19] op_sel_hi:[1,1,0]
	v_pk_mul_f32 v[8:9], v[6:7], v[8:9]
	v_and_b32_e32 v20, 1, v20
	v_cndmask_b32_e32 v16, 0x7fc00000, v16, vcc_lo
	v_and_b32_e32 v19, 0x80000000, v19
	v_pk_fma_f32 v[6:7], v[6:7], v[22:23], 1.0 op_sel_hi:[1,1,0]
	v_pk_fma_f32 v[2:3], v[2:3], v[8:9], v[2:3]
	v_pk_mul_f32 v[8:9], v[4:5], v[4:5]
	v_cmp_eq_u32_e32 vcc_lo, 0, v20
	v_and_b32_e32 v22, 0x80000000, v21
	s_delay_alu instid0(VALU_DEP_3)
	v_pk_fma_f32 v[20:21], v[8:9], s[16:17], s[10:11] op_sel_hi:[1,0,0]
	v_cndmask_b32_e32 v3, v7, v3, vcc_lo
	v_xor_b32_e32 v7, v18, v19
	v_pk_fma_f32 v[18:19], v[8:9], s[8:9], s[0:1] op_sel_hi:[1,0,0]
	v_cmp_eq_u32_e32 vcc_lo, 0, v13
	v_xor_b32_e32 v10, v10, v22
	s_delay_alu instid0(VALU_DEP_4) | instskip(NEXT) | instid1(VALU_DEP_4)
	v_dual_cndmask_b32 v13, v6, v2, vcc_lo :: v_dual_bitop2_b32 v22, v7, v3 bitop3:0x14
	v_pk_fma_f32 v[2:3], v[8:9], v[18:19], s[12:13] op_sel_hi:[1,1,0]
	v_pk_fma_f32 v[6:7], v[8:9], v[20:21], s[14:15] op_sel_hi:[1,1,0]
	v_dual_lshlrev_b32 v19, 30, v14 :: v_dual_bitop2_b32 v14, 1, v14 bitop3:0x40
	v_lshlrev_b32_e32 v20, 30, v32
	s_delay_alu instid0(VALU_DEP_4) | instskip(NEXT) | instid1(VALU_DEP_4)
	v_pk_mul_f32 v[2:3], v[8:9], v[2:3]
	v_pk_fma_f32 v[6:7], v[8:9], v[6:7], s[18:19] op_sel_hi:[1,1,0]
	v_xor_b32_e32 v10, v10, v13
	v_cmp_eq_u32_e32 vcc_lo, 0, v14
	v_xor_b32_e32 v13, v22, v17
	v_pk_fma_f32 v[2:3], v[4:5], v[2:3], v[4:5]
	v_pk_fma_f32 v[4:5], v[8:9], v[6:7], 1.0 op_sel_hi:[1,1,0]
	v_and_b32_e32 v6, 1, v32
	v_and_b32_e32 v7, 0x80000000, v19
	;; [unrolled: 1-line block ×3, first 2 shown]
	v_bfe_u32 v18, v15, 16, 1
	v_cndmask_b32_e32 v3, v5, v3, vcc_lo
	v_cmp_eq_u32_e32 vcc_lo, 0, v6
	v_xor_b32_e32 v6, v10, v1
	v_dual_cndmask_b32 v2, v4, v2, vcc_lo :: v_dual_bitop2_b32 v5, v30, v8 bitop3:0x14
	v_xor_b32_e32 v4, v12, v7
	v_cmp_class_f32_e64 vcc_lo, v17, 0x1f8
	s_delay_alu instid0(VALU_DEP_3) | instskip(NEXT) | instid1(VALU_DEP_3)
	v_xor_b32_e32 v2, v5, v2
	v_xor_b32_e32 v3, v4, v3
	v_cndmask_b32_e32 v7, 0x7fc00000, v13, vcc_lo
	v_cmp_class_f32_e64 vcc_lo, v1, 0x1f8
	v_add3_u32 v4, v15, v18, 0x7fff
	v_xor_b32_e32 v2, v2, v29
	v_xor_b32_e32 v3, v3, v11
	v_bfe_u32 v5, v7, 16, 1
	v_cndmask_b32_e32 v1, 0x7fc00000, v6, vcc_lo
	v_cmp_class_f32_e64 vcc_lo, v11, 0x1f8
	v_lshrrev_b32_e32 v4, 16, v4
	s_delay_alu instid0(VALU_DEP_4) | instskip(NEXT) | instid1(VALU_DEP_4)
	v_add3_u32 v5, v7, v5, 0x7fff
	v_bfe_u32 v6, v1, 16, 1
	v_cndmask_b32_e32 v3, 0x7fc00000, v3, vcc_lo
	v_cmp_class_f32_e64 vcc_lo, v29, 0x1f8
	s_delay_alu instid0(VALU_DEP_4) | instskip(NEXT) | instid1(VALU_DEP_4)
	v_and_b32_e32 v5, 0xffff0000, v5
	v_add3_u32 v6, v1, v6, 0x7fff
	s_delay_alu instid0(VALU_DEP_4) | instskip(SKIP_2) | instid1(VALU_DEP_4)
	v_bfe_u32 v8, v3, 16, 1
	v_cndmask_b32_e32 v2, 0x7fc00000, v2, vcc_lo
	v_cmp_o_f32_e32 vcc_lo, v15, v15
	v_lshrrev_b32_e32 v6, 16, v6
	s_delay_alu instid0(VALU_DEP_4) | instskip(NEXT) | instid1(VALU_DEP_4)
	v_add3_u32 v8, v3, v8, 0x7fff
	v_bfe_u32 v9, v2, 16, 1
	v_cndmask_b32_e32 v4, 0x7fc0, v4, vcc_lo
	v_cmp_o_f32_e32 vcc_lo, v7, v7
	s_delay_alu instid0(VALU_DEP_4) | instskip(NEXT) | instid1(VALU_DEP_4)
	v_and_b32_e32 v7, 0xffff0000, v8
	v_add3_u32 v9, v2, v9, 0x7fff
	v_cndmask_b32_e32 v5, 0x7fc00000, v5, vcc_lo
	v_cmp_o_f32_e32 vcc_lo, v1, v1
	s_delay_alu instid0(VALU_DEP_3)
	v_and_b32_e32 v8, 0xffff0000, v9
	v_cndmask_b32_e32 v1, 0x7fc0, v6, vcc_lo
	v_cmp_o_f32_e32 vcc_lo, v3, v3
	v_or_b32_e32 v6, v16, v26
	v_cndmask_b32_e32 v3, 0x7fc00000, v7, vcc_lo
	v_cmp_o_f32_e32 vcc_lo, v2, v2
	s_delay_alu instid0(VALU_DEP_2) | instskip(SKIP_2) | instid1(VALU_DEP_2)
	v_or_b32_e32 v1, v3, v1
	v_cndmask_b32_e32 v2, 0x7fc00000, v8, vcc_lo
	v_or_b32_e32 v3, v5, v4
	v_or_b32_e32 v2, v2, v24
	s_clause 0x3
	global_store_b32 v0, v1, s[2:3] scale_offset
	global_store_b32 v0, v3, s[2:3] offset:1024 scale_offset
	global_store_b32 v0, v6, s[2:3] offset:2048 scale_offset
	;; [unrolled: 1-line block ×3, first 2 shown]
	s_branch .LBB31_2
.LBB31_36:
	s_wait_xcnt 0x0
	v_dual_mov_b32 v31, v0 :: v_dual_mov_b32 v0, s4
	v_dual_mov_b32 v1, s5 :: v_dual_mov_b32 v2, s6
	v_dual_mov_b32 v3, s7 :: v_dual_mov_b32 v4, s9
	s_get_pc_i64 s[0:1]
	s_add_nc_u64 s[0:1], s[0:1], _ZN2at6native25elementwise_kernel_helperILb0EZZZNS0_15sin_kernel_cudaERNS_18TensorIteratorBaseEENKUlvE0_clEvENKUlvE2_clEvEUlN3c108BFloat16EE_NS0_6memory8policies11unroll_baseILi256ESt5arrayIPcLm2EE23TrivialOffsetCalculatorILi1EjESG_NS9_15LoadWithoutCastENS9_16StoreWithoutCastELi8ELi1EEEEEvT0_T1_@rel64+4
	s_delay_alu instid0(SALU_CYCLE_1)
	s_swap_pc_i64 s[30:31], s[0:1]
	s_endpgm
	.section	.rodata,"a",@progbits
	.p2align	6, 0x0
	.amdhsa_kernel _ZN2at6native29vectorized_elementwise_kernelILi2EZZZNS0_15sin_kernel_cudaERNS_18TensorIteratorBaseEENKUlvE0_clEvENKUlvE2_clEvEUlN3c108BFloat16EE_St5arrayIPcLm2EEEEviT0_T1_
		.amdhsa_group_segment_fixed_size 0
		.amdhsa_private_segment_fixed_size 0
		.amdhsa_kernarg_size 24
		.amdhsa_user_sgpr_count 2
		.amdhsa_user_sgpr_dispatch_ptr 0
		.amdhsa_user_sgpr_queue_ptr 0
		.amdhsa_user_sgpr_kernarg_segment_ptr 1
		.amdhsa_user_sgpr_dispatch_id 0
		.amdhsa_user_sgpr_kernarg_preload_length 0
		.amdhsa_user_sgpr_kernarg_preload_offset 0
		.amdhsa_user_sgpr_private_segment_size 0
		.amdhsa_wavefront_size32 1
		.amdhsa_uses_dynamic_stack 0
		.amdhsa_enable_private_segment 0
		.amdhsa_system_sgpr_workgroup_id_x 1
		.amdhsa_system_sgpr_workgroup_id_y 0
		.amdhsa_system_sgpr_workgroup_id_z 0
		.amdhsa_system_sgpr_workgroup_info 0
		.amdhsa_system_vgpr_workitem_id 0
		.amdhsa_next_free_vgpr 48
		.amdhsa_next_free_sgpr 33
		.amdhsa_named_barrier_count 0
		.amdhsa_reserve_vcc 1
		.amdhsa_float_round_mode_32 0
		.amdhsa_float_round_mode_16_64 0
		.amdhsa_float_denorm_mode_32 3
		.amdhsa_float_denorm_mode_16_64 3
		.amdhsa_fp16_overflow 0
		.amdhsa_memory_ordered 1
		.amdhsa_forward_progress 1
		.amdhsa_inst_pref_size 64
		.amdhsa_round_robin_scheduling 0
		.amdhsa_exception_fp_ieee_invalid_op 0
		.amdhsa_exception_fp_denorm_src 0
		.amdhsa_exception_fp_ieee_div_zero 0
		.amdhsa_exception_fp_ieee_overflow 0
		.amdhsa_exception_fp_ieee_underflow 0
		.amdhsa_exception_fp_ieee_inexact 0
		.amdhsa_exception_int_div_zero 0
	.end_amdhsa_kernel
	.section	.text._ZN2at6native29vectorized_elementwise_kernelILi2EZZZNS0_15sin_kernel_cudaERNS_18TensorIteratorBaseEENKUlvE0_clEvENKUlvE2_clEvEUlN3c108BFloat16EE_St5arrayIPcLm2EEEEviT0_T1_,"axG",@progbits,_ZN2at6native29vectorized_elementwise_kernelILi2EZZZNS0_15sin_kernel_cudaERNS_18TensorIteratorBaseEENKUlvE0_clEvENKUlvE2_clEvEUlN3c108BFloat16EE_St5arrayIPcLm2EEEEviT0_T1_,comdat
.Lfunc_end31:
	.size	_ZN2at6native29vectorized_elementwise_kernelILi2EZZZNS0_15sin_kernel_cudaERNS_18TensorIteratorBaseEENKUlvE0_clEvENKUlvE2_clEvEUlN3c108BFloat16EE_St5arrayIPcLm2EEEEviT0_T1_, .Lfunc_end31-_ZN2at6native29vectorized_elementwise_kernelILi2EZZZNS0_15sin_kernel_cudaERNS_18TensorIteratorBaseEENKUlvE0_clEvENKUlvE2_clEvEUlN3c108BFloat16EE_St5arrayIPcLm2EEEEviT0_T1_
                                        ; -- End function
	.set _ZN2at6native29vectorized_elementwise_kernelILi2EZZZNS0_15sin_kernel_cudaERNS_18TensorIteratorBaseEENKUlvE0_clEvENKUlvE2_clEvEUlN3c108BFloat16EE_St5arrayIPcLm2EEEEviT0_T1_.num_vgpr, max(48, .L_ZN2at6native25elementwise_kernel_helperILb0EZZZNS0_15sin_kernel_cudaERNS_18TensorIteratorBaseEENKUlvE0_clEvENKUlvE2_clEvEUlN3c108BFloat16EE_NS0_6memory8policies11unroll_baseILi256ESt5arrayIPcLm2EE23TrivialOffsetCalculatorILi1EjESG_NS9_15LoadWithoutCastENS9_16StoreWithoutCastELi8ELi1EEEEEvT0_T1_.num_vgpr)
	.set _ZN2at6native29vectorized_elementwise_kernelILi2EZZZNS0_15sin_kernel_cudaERNS_18TensorIteratorBaseEENKUlvE0_clEvENKUlvE2_clEvEUlN3c108BFloat16EE_St5arrayIPcLm2EEEEviT0_T1_.num_agpr, max(0, .L_ZN2at6native25elementwise_kernel_helperILb0EZZZNS0_15sin_kernel_cudaERNS_18TensorIteratorBaseEENKUlvE0_clEvENKUlvE2_clEvEUlN3c108BFloat16EE_NS0_6memory8policies11unroll_baseILi256ESt5arrayIPcLm2EE23TrivialOffsetCalculatorILi1EjESG_NS9_15LoadWithoutCastENS9_16StoreWithoutCastELi8ELi1EEEEEvT0_T1_.num_agpr)
	.set _ZN2at6native29vectorized_elementwise_kernelILi2EZZZNS0_15sin_kernel_cudaERNS_18TensorIteratorBaseEENKUlvE0_clEvENKUlvE2_clEvEUlN3c108BFloat16EE_St5arrayIPcLm2EEEEviT0_T1_.numbered_sgpr, max(33, .L_ZN2at6native25elementwise_kernel_helperILb0EZZZNS0_15sin_kernel_cudaERNS_18TensorIteratorBaseEENKUlvE0_clEvENKUlvE2_clEvEUlN3c108BFloat16EE_NS0_6memory8policies11unroll_baseILi256ESt5arrayIPcLm2EE23TrivialOffsetCalculatorILi1EjESG_NS9_15LoadWithoutCastENS9_16StoreWithoutCastELi8ELi1EEEEEvT0_T1_.numbered_sgpr)
	.set _ZN2at6native29vectorized_elementwise_kernelILi2EZZZNS0_15sin_kernel_cudaERNS_18TensorIteratorBaseEENKUlvE0_clEvENKUlvE2_clEvEUlN3c108BFloat16EE_St5arrayIPcLm2EEEEviT0_T1_.num_named_barrier, max(0, .L_ZN2at6native25elementwise_kernel_helperILb0EZZZNS0_15sin_kernel_cudaERNS_18TensorIteratorBaseEENKUlvE0_clEvENKUlvE2_clEvEUlN3c108BFloat16EE_NS0_6memory8policies11unroll_baseILi256ESt5arrayIPcLm2EE23TrivialOffsetCalculatorILi1EjESG_NS9_15LoadWithoutCastENS9_16StoreWithoutCastELi8ELi1EEEEEvT0_T1_.num_named_barrier)
	.set _ZN2at6native29vectorized_elementwise_kernelILi2EZZZNS0_15sin_kernel_cudaERNS_18TensorIteratorBaseEENKUlvE0_clEvENKUlvE2_clEvEUlN3c108BFloat16EE_St5arrayIPcLm2EEEEviT0_T1_.private_seg_size, 0+max(.L_ZN2at6native25elementwise_kernel_helperILb0EZZZNS0_15sin_kernel_cudaERNS_18TensorIteratorBaseEENKUlvE0_clEvENKUlvE2_clEvEUlN3c108BFloat16EE_NS0_6memory8policies11unroll_baseILi256ESt5arrayIPcLm2EE23TrivialOffsetCalculatorILi1EjESG_NS9_15LoadWithoutCastENS9_16StoreWithoutCastELi8ELi1EEEEEvT0_T1_.private_seg_size)
	.set _ZN2at6native29vectorized_elementwise_kernelILi2EZZZNS0_15sin_kernel_cudaERNS_18TensorIteratorBaseEENKUlvE0_clEvENKUlvE2_clEvEUlN3c108BFloat16EE_St5arrayIPcLm2EEEEviT0_T1_.uses_vcc, or(1, .L_ZN2at6native25elementwise_kernel_helperILb0EZZZNS0_15sin_kernel_cudaERNS_18TensorIteratorBaseEENKUlvE0_clEvENKUlvE2_clEvEUlN3c108BFloat16EE_NS0_6memory8policies11unroll_baseILi256ESt5arrayIPcLm2EE23TrivialOffsetCalculatorILi1EjESG_NS9_15LoadWithoutCastENS9_16StoreWithoutCastELi8ELi1EEEEEvT0_T1_.uses_vcc)
	.set _ZN2at6native29vectorized_elementwise_kernelILi2EZZZNS0_15sin_kernel_cudaERNS_18TensorIteratorBaseEENKUlvE0_clEvENKUlvE2_clEvEUlN3c108BFloat16EE_St5arrayIPcLm2EEEEviT0_T1_.uses_flat_scratch, or(0, .L_ZN2at6native25elementwise_kernel_helperILb0EZZZNS0_15sin_kernel_cudaERNS_18TensorIteratorBaseEENKUlvE0_clEvENKUlvE2_clEvEUlN3c108BFloat16EE_NS0_6memory8policies11unroll_baseILi256ESt5arrayIPcLm2EE23TrivialOffsetCalculatorILi1EjESG_NS9_15LoadWithoutCastENS9_16StoreWithoutCastELi8ELi1EEEEEvT0_T1_.uses_flat_scratch)
	.set _ZN2at6native29vectorized_elementwise_kernelILi2EZZZNS0_15sin_kernel_cudaERNS_18TensorIteratorBaseEENKUlvE0_clEvENKUlvE2_clEvEUlN3c108BFloat16EE_St5arrayIPcLm2EEEEviT0_T1_.has_dyn_sized_stack, or(0, .L_ZN2at6native25elementwise_kernel_helperILb0EZZZNS0_15sin_kernel_cudaERNS_18TensorIteratorBaseEENKUlvE0_clEvENKUlvE2_clEvEUlN3c108BFloat16EE_NS0_6memory8policies11unroll_baseILi256ESt5arrayIPcLm2EE23TrivialOffsetCalculatorILi1EjESG_NS9_15LoadWithoutCastENS9_16StoreWithoutCastELi8ELi1EEEEEvT0_T1_.has_dyn_sized_stack)
	.set _ZN2at6native29vectorized_elementwise_kernelILi2EZZZNS0_15sin_kernel_cudaERNS_18TensorIteratorBaseEENKUlvE0_clEvENKUlvE2_clEvEUlN3c108BFloat16EE_St5arrayIPcLm2EEEEviT0_T1_.has_recursion, or(0, .L_ZN2at6native25elementwise_kernel_helperILb0EZZZNS0_15sin_kernel_cudaERNS_18TensorIteratorBaseEENKUlvE0_clEvENKUlvE2_clEvEUlN3c108BFloat16EE_NS0_6memory8policies11unroll_baseILi256ESt5arrayIPcLm2EE23TrivialOffsetCalculatorILi1EjESG_NS9_15LoadWithoutCastENS9_16StoreWithoutCastELi8ELi1EEEEEvT0_T1_.has_recursion)
	.set _ZN2at6native29vectorized_elementwise_kernelILi2EZZZNS0_15sin_kernel_cudaERNS_18TensorIteratorBaseEENKUlvE0_clEvENKUlvE2_clEvEUlN3c108BFloat16EE_St5arrayIPcLm2EEEEviT0_T1_.has_indirect_call, or(0, .L_ZN2at6native25elementwise_kernel_helperILb0EZZZNS0_15sin_kernel_cudaERNS_18TensorIteratorBaseEENKUlvE0_clEvENKUlvE2_clEvEUlN3c108BFloat16EE_NS0_6memory8policies11unroll_baseILi256ESt5arrayIPcLm2EE23TrivialOffsetCalculatorILi1EjESG_NS9_15LoadWithoutCastENS9_16StoreWithoutCastELi8ELi1EEEEEvT0_T1_.has_indirect_call)
	.section	.AMDGPU.csdata,"",@progbits
; Kernel info:
; codeLenInByte = 8168
; TotalNumSgprs: 35
; NumVgprs: 48
; ScratchSize: 0
; MemoryBound: 0
; FloatMode: 240
; IeeeMode: 1
; LDSByteSize: 0 bytes/workgroup (compile time only)
; SGPRBlocks: 0
; VGPRBlocks: 2
; NumSGPRsForWavesPerEU: 35
; NumVGPRsForWavesPerEU: 48
; NamedBarCnt: 0
; Occupancy: 16
; WaveLimiterHint : 1
; COMPUTE_PGM_RSRC2:SCRATCH_EN: 0
; COMPUTE_PGM_RSRC2:USER_SGPR: 2
; COMPUTE_PGM_RSRC2:TRAP_HANDLER: 0
; COMPUTE_PGM_RSRC2:TGID_X_EN: 1
; COMPUTE_PGM_RSRC2:TGID_Y_EN: 0
; COMPUTE_PGM_RSRC2:TGID_Z_EN: 0
; COMPUTE_PGM_RSRC2:TIDIG_COMP_CNT: 0
	.section	.text._ZN2at6native27unrolled_elementwise_kernelIZZZNS0_15sin_kernel_cudaERNS_18TensorIteratorBaseEENKUlvE0_clEvENKUlvE2_clEvEUlN3c108BFloat16EE_St5arrayIPcLm2EELi4E23TrivialOffsetCalculatorILi1EjESD_NS0_6memory15LoadWithoutCastENSE_16StoreWithoutCastEEEviT_T0_T2_T3_T4_T5_,"axG",@progbits,_ZN2at6native27unrolled_elementwise_kernelIZZZNS0_15sin_kernel_cudaERNS_18TensorIteratorBaseEENKUlvE0_clEvENKUlvE2_clEvEUlN3c108BFloat16EE_St5arrayIPcLm2EELi4E23TrivialOffsetCalculatorILi1EjESD_NS0_6memory15LoadWithoutCastENSE_16StoreWithoutCastEEEviT_T0_T2_T3_T4_T5_,comdat
	.globl	_ZN2at6native27unrolled_elementwise_kernelIZZZNS0_15sin_kernel_cudaERNS_18TensorIteratorBaseEENKUlvE0_clEvENKUlvE2_clEvEUlN3c108BFloat16EE_St5arrayIPcLm2EELi4E23TrivialOffsetCalculatorILi1EjESD_NS0_6memory15LoadWithoutCastENSE_16StoreWithoutCastEEEviT_T0_T2_T3_T4_T5_ ; -- Begin function _ZN2at6native27unrolled_elementwise_kernelIZZZNS0_15sin_kernel_cudaERNS_18TensorIteratorBaseEENKUlvE0_clEvENKUlvE2_clEvEUlN3c108BFloat16EE_St5arrayIPcLm2EELi4E23TrivialOffsetCalculatorILi1EjESD_NS0_6memory15LoadWithoutCastENSE_16StoreWithoutCastEEEviT_T0_T2_T3_T4_T5_
	.p2align	8
	.type	_ZN2at6native27unrolled_elementwise_kernelIZZZNS0_15sin_kernel_cudaERNS_18TensorIteratorBaseEENKUlvE0_clEvENKUlvE2_clEvEUlN3c108BFloat16EE_St5arrayIPcLm2EELi4E23TrivialOffsetCalculatorILi1EjESD_NS0_6memory15LoadWithoutCastENSE_16StoreWithoutCastEEEviT_T0_T2_T3_T4_T5_,@function
_ZN2at6native27unrolled_elementwise_kernelIZZZNS0_15sin_kernel_cudaERNS_18TensorIteratorBaseEENKUlvE0_clEvENKUlvE2_clEvEUlN3c108BFloat16EE_St5arrayIPcLm2EELi4E23TrivialOffsetCalculatorILi1EjESD_NS0_6memory15LoadWithoutCastENSE_16StoreWithoutCastEEEviT_T0_T2_T3_T4_T5_: ; @_ZN2at6native27unrolled_elementwise_kernelIZZZNS0_15sin_kernel_cudaERNS_18TensorIteratorBaseEENKUlvE0_clEvENKUlvE2_clEvEUlN3c108BFloat16EE_St5arrayIPcLm2EELi4E23TrivialOffsetCalculatorILi1EjESD_NS0_6memory15LoadWithoutCastENSE_16StoreWithoutCastEEEviT_T0_T2_T3_T4_T5_
; %bb.0:
	s_clause 0x1
	s_load_b32 s2, s[0:1], 0x0
	s_load_b128 s[4:7], s[0:1], 0x8
	s_bfe_u32 s3, ttmp6, 0x4000c
	s_wait_xcnt 0x0
	s_and_b32 s0, ttmp6, 15
	s_add_co_i32 s3, s3, 1
	v_dual_mov_b32 v4, 0 :: v_dual_mov_b32 v6, 0
	s_mul_i32 s1, ttmp9, s3
	s_getreg_b32 s3, hwreg(HW_REG_IB_STS2, 6, 4)
	s_add_co_i32 s0, s0, s1
	s_cmp_eq_u32 s3, 0
	v_or_b32_e32 v1, 0x100, v0
	s_cselect_b32 s0, ttmp9, s0
	v_mov_b32_e32 v5, v0
	s_lshl_b32 s3, s0, 10
	s_delay_alu instid0(SALU_CYCLE_1) | instskip(SKIP_2) | instid1(SALU_CYCLE_1)
	v_or_b32_e32 v2, s3, v0
	s_wait_kmcnt 0x0
	s_sub_co_i32 s8, s2, s3
	v_cmp_gt_i32_e32 vcc_lo, s8, v0
	s_and_saveexec_b32 s0, vcc_lo
	s_cbranch_execz .LBB32_2
; %bb.1:
	global_load_u16 v3, v2, s[6:7] scale_offset
	v_or_b32_e32 v5, 0x100, v0
	s_wait_loadcnt 0x0
	v_lshlrev_b32_e32 v6, 16, v3
.LBB32_2:
	s_or_b32 exec_lo, exec_lo, s0
	v_mov_b32_e32 v7, 0
	s_mov_b32 s1, exec_lo
	v_cmpx_gt_i32_e64 s8, v5
	s_cbranch_execz .LBB32_4
; %bb.3:
	v_add_nc_u32_e32 v3, s3, v5
	v_add_nc_u32_e32 v5, 0x100, v5
	global_load_u16 v3, v3, s[6:7] scale_offset
	s_wait_loadcnt 0x0
	v_lshlrev_b32_e32 v7, 16, v3
.LBB32_4:
	s_or_b32 exec_lo, exec_lo, s1
	s_delay_alu instid0(SALU_CYCLE_1)
	s_mov_b32 s1, exec_lo
	v_cmpx_gt_i32_e64 s8, v5
	s_cbranch_execz .LBB32_6
; %bb.5:
	v_add_nc_u32_e32 v3, s3, v5
	v_add_nc_u32_e32 v5, 0x100, v5
	global_load_u16 v3, v3, s[6:7] scale_offset
	s_wait_loadcnt 0x0
	v_lshlrev_b32_e32 v4, 16, v3
.LBB32_6:
	s_or_b32 exec_lo, exec_lo, s1
	v_mov_b32_e32 v3, 0
	s_mov_b32 s1, exec_lo
	v_cmpx_gt_i32_e64 s8, v5
	s_cbranch_execz .LBB32_8
; %bb.7:
	v_add_nc_u32_e32 v3, s3, v5
	global_load_u16 v3, v3, s[6:7] scale_offset
	s_wait_loadcnt 0x0
	v_lshlrev_b32_e32 v3, 16, v3
	s_or_b32 exec_lo, exec_lo, s1
                                        ; implicit-def: $vgpr5
	s_and_saveexec_b32 s6, vcc_lo
	s_cbranch_execz .LBB32_14
	s_branch .LBB32_9
.LBB32_8:
	s_or_b32 exec_lo, exec_lo, s1
                                        ; implicit-def: $vgpr5
	s_and_saveexec_b32 s6, vcc_lo
	s_cbranch_execz .LBB32_14
.LBB32_9:
	v_and_b32_e32 v5, 0x7fffffff, v6
                                        ; implicit-def: $vgpr9
                                        ; implicit-def: $vgpr8
	s_mov_b32 s1, exec_lo
	v_cmpx_ngt_f32_e64 0x48000000, |v6|
	s_xor_b32 s7, exec_lo, s1
	s_cbranch_execz .LBB32_11
; %bb.10:
	s_mov_b32 s0, 0x7fffff
	v_mov_b32_e32 v9, 0
	v_and_or_b32 v8, v5, s0, 0x800000
	s_mov_b64 s[0:1], 0xfe5163ab
	s_delay_alu instid0(VALU_DEP_1) | instid1(SALU_CYCLE_1)
	v_mul_u64_e32 v[10:11], s[0:1], v[8:9]
	s_delay_alu instid0(VALU_DEP_1) | instskip(SKIP_2) | instid1(VALU_DEP_3)
	v_dual_mov_b32 v12, v11 :: v_dual_mov_b32 v13, v9
	v_dual_mov_b32 v15, v9 :: v_dual_mov_b32 v17, v9
	v_dual_mov_b32 v19, v9 :: v_dual_lshrrev_b32 v11, 23, v5
	v_mad_nc_u64_u32 v[12:13], 0x3c439041, v8, v[12:13]
	s_delay_alu instid0(VALU_DEP_1) | instskip(NEXT) | instid1(VALU_DEP_1)
	v_mov_b32_e32 v14, v13
	v_mad_nc_u64_u32 v[14:15], 0xdb629599, v8, v[14:15]
	s_delay_alu instid0(VALU_DEP_1) | instskip(NEXT) | instid1(VALU_DEP_1)
	v_mov_b32_e32 v16, v15
	;; [unrolled: 3-line block ×3, first 2 shown]
	v_mad_nc_u64_u32 v[18:19], 0xfc2757d1, v8, v[18:19]
	s_delay_alu instid0(VALU_DEP_1) | instskip(NEXT) | instid1(VALU_DEP_1)
	v_dual_mov_b32 v21, v9 :: v_dual_mov_b32 v20, v19
	v_mad_nc_u64_u32 v[20:21], 0x4e441529, v8, v[20:21]
	s_delay_alu instid0(VALU_DEP_1) | instskip(NEXT) | instid1(VALU_DEP_1)
	v_dual_mov_b32 v22, v21 :: v_dual_add_nc_u32 v11, 0xffffff88, v11
	v_cmp_lt_u32_e64 s0, 63, v11
	v_mov_b32_e32 v23, v9
	s_delay_alu instid0(VALU_DEP_2) | instskip(NEXT) | instid1(VALU_DEP_2)
	v_cndmask_b32_e64 v13, 0, 0xffffffc0, s0
	v_mad_nc_u64_u32 v[8:9], 0xa2f9836e, v8, v[22:23]
	v_dual_cndmask_b32 v15, v20, v16, s0 :: v_dual_cndmask_b32 v17, v18, v14, s0
	s_delay_alu instid0(VALU_DEP_3) | instskip(SKIP_1) | instid1(VALU_DEP_2)
	v_dual_cndmask_b32 v12, v16, v12, s0 :: v_dual_add_nc_u32 v11, v13, v11
	v_cndmask_b32_e64 v10, v14, v10, s0
	v_cmp_lt_u32_e64 s1, 31, v11
	v_dual_cndmask_b32 v8, v8, v18, s0 :: v_dual_cndmask_b32 v9, v9, v20, s0
	s_delay_alu instid0(VALU_DEP_2) | instskip(NEXT) | instid1(VALU_DEP_4)
	v_cndmask_b32_e64 v13, 0, 0xffffffe0, s1
	v_dual_cndmask_b32 v16, v17, v12, s1 :: v_dual_cndmask_b32 v10, v12, v10, s1
	s_delay_alu instid0(VALU_DEP_2) | instskip(NEXT) | instid1(VALU_DEP_1)
	v_add_nc_u32_e32 v11, v13, v11
	v_cmp_lt_u32_e64 s2, 31, v11
	s_delay_alu instid0(VALU_DEP_1) | instskip(NEXT) | instid1(VALU_DEP_1)
	v_cndmask_b32_e64 v13, 0, 0xffffffe0, s2
	v_dual_cndmask_b32 v10, v16, v10, s2 :: v_dual_add_nc_u32 v11, v13, v11
	v_dual_cndmask_b32 v13, v8, v15, s1 :: v_dual_cndmask_b32 v8, v9, v8, s1
	s_delay_alu instid0(VALU_DEP_2) | instskip(SKIP_1) | instid1(VALU_DEP_3)
	v_dual_cndmask_b32 v9, v15, v17, s1 :: v_dual_sub_nc_u32 v15, 32, v11
	v_cmp_eq_u32_e64 s0, 0, v11
	v_cndmask_b32_e64 v8, v8, v13, s2
	s_delay_alu instid0(VALU_DEP_3) | instskip(SKIP_1) | instid1(VALU_DEP_2)
	v_cndmask_b32_e64 v13, v13, v9, s2
	v_cndmask_b32_e64 v9, v9, v16, s2
	v_alignbit_b32 v17, v8, v13, v15
	s_delay_alu instid0(VALU_DEP_2) | instskip(SKIP_1) | instid1(VALU_DEP_2)
	v_alignbit_b32 v14, v13, v9, v15
	v_alignbit_b32 v15, v9, v10, v15
	v_dual_cndmask_b32 v8, v17, v8, s0 :: v_dual_cndmask_b32 v11, v14, v13, s0
	s_delay_alu instid0(VALU_DEP_2) | instskip(NEXT) | instid1(VALU_DEP_2)
	v_cndmask_b32_e64 v9, v15, v9, s0
	v_bfe_u32 v12, v8, 29, 1
	s_delay_alu instid0(VALU_DEP_3) | instskip(NEXT) | instid1(VALU_DEP_3)
	v_alignbit_b32 v13, v8, v11, 30
	v_alignbit_b32 v11, v11, v9, 30
	;; [unrolled: 1-line block ×3, first 2 shown]
	s_delay_alu instid0(VALU_DEP_4) | instskip(NEXT) | instid1(VALU_DEP_1)
	v_sub_nc_u32_e32 v14, 0, v12
	v_xor_b32_e32 v13, v13, v14
	s_delay_alu instid0(VALU_DEP_4) | instskip(NEXT) | instid1(VALU_DEP_4)
	v_xor_b32_e32 v10, v11, v14
	v_dual_lshrrev_b32 v14, 29, v8 :: v_dual_bitop2_b32 v9, v9, v14 bitop3:0x14
	s_delay_alu instid0(VALU_DEP_3) | instskip(NEXT) | instid1(VALU_DEP_1)
	v_clz_i32_u32_e32 v15, v13
	v_min_u32_e32 v15, 32, v15
	s_delay_alu instid0(VALU_DEP_1) | instskip(NEXT) | instid1(VALU_DEP_1)
	v_dual_sub_nc_u32 v11, 31, v15 :: v_dual_lshlrev_b32 v16, 23, v15
	v_alignbit_b32 v13, v13, v10, v11
	v_alignbit_b32 v9, v10, v9, v11
	v_lshlrev_b32_e32 v10, 31, v14
	s_delay_alu instid0(VALU_DEP_2) | instskip(NEXT) | instid1(VALU_DEP_2)
	v_alignbit_b32 v11, v13, v9, 9
	v_dual_lshrrev_b32 v13, 9, v13 :: v_dual_bitop2_b32 v14, 0.5, v10 bitop3:0x54
	v_or_b32_e32 v10, 0x33000000, v10
	s_delay_alu instid0(VALU_DEP_3) | instskip(NEXT) | instid1(VALU_DEP_3)
	v_clz_i32_u32_e32 v17, v11
	v_sub_nc_u32_e32 v14, v14, v16
	s_delay_alu instid0(VALU_DEP_2) | instskip(NEXT) | instid1(VALU_DEP_1)
	v_min_u32_e32 v16, 32, v17
	v_add_lshl_u32 v15, v16, v15, 23
	s_delay_alu instid0(VALU_DEP_3) | instskip(SKIP_1) | instid1(VALU_DEP_2)
	v_or_b32_e32 v13, v13, v14
	v_not_b32_e32 v14, v16
	v_dual_mul_f32 v17, 0x3fc90fda, v13 :: v_dual_sub_nc_u32 v10, v10, v15
	s_delay_alu instid0(VALU_DEP_2) | instskip(NEXT) | instid1(VALU_DEP_2)
	v_alignbit_b32 v9, v11, v9, v14
	v_fma_f32 v11, 0x3fc90fda, v13, -v17
	s_delay_alu instid0(VALU_DEP_2) | instskip(NEXT) | instid1(VALU_DEP_2)
	v_lshrrev_b32_e32 v9, 9, v9
	v_fmamk_f32 v11, v13, 0x33a22168, v11
	s_delay_alu instid0(VALU_DEP_2) | instskip(NEXT) | instid1(VALU_DEP_1)
	v_or_b32_e32 v9, v10, v9
	v_fmac_f32_e32 v11, 0x3fc90fda, v9
	s_delay_alu instid0(VALU_DEP_1) | instskip(NEXT) | instid1(VALU_DEP_1)
	v_dual_add_f32 v8, v17, v11 :: v_dual_lshrrev_b32 v9, 30, v8
	v_add_nc_u32_e32 v9, v12, v9
.LBB32_11:
	s_and_not1_saveexec_b32 s0, s7
; %bb.12:
	v_mul_f32_e64 v8, 0x3f22f983, |v6|
	s_delay_alu instid0(VALU_DEP_1) | instskip(NEXT) | instid1(VALU_DEP_1)
	v_rndne_f32_e32 v9, v8
	v_fma_f32 v8, 0xbfc90fda, v9, |v6|
	s_delay_alu instid0(VALU_DEP_1) | instskip(NEXT) | instid1(VALU_DEP_1)
	v_fmamk_f32 v8, v9, 0xb3a22168, v8
	v_fmamk_f32 v8, v9, 0xa7c234c4, v8
	v_cvt_i32_f32_e32 v9, v9
; %bb.13:
	s_or_b32 exec_lo, exec_lo, s0
	s_delay_alu instid0(VALU_DEP_1) | instskip(SKIP_3) | instid1(VALU_DEP_2)
	v_dual_mul_f32 v10, v8, v8 :: v_dual_bitop2_b32 v13, 1, v9 bitop3:0x40
	s_mov_b32 s0, 0xb94c1982
	s_mov_b32 s1, 0x37d75334
	v_lshlrev_b32_e32 v9, 30, v9
	v_fmaak_f32 v11, s0, v10, 0x3c0881c4
	v_cmp_eq_u32_e64 s0, 0, v13
	s_delay_alu instid0(VALU_DEP_3) | instskip(NEXT) | instid1(VALU_DEP_3)
	v_bitop3_b32 v5, v5, v9, 0x80000000 bitop3:0x78
	v_fmaak_f32 v11, v10, v11, 0xbe2aaa9d
	s_delay_alu instid0(VALU_DEP_1) | instskip(NEXT) | instid1(VALU_DEP_1)
	v_dual_fmaak_f32 v12, s1, v10, 0xbab64f3b :: v_dual_mul_f32 v11, v10, v11
	v_fmaak_f32 v12, v10, v12, 0x3d2aabf7
	s_delay_alu instid0(VALU_DEP_2) | instskip(NEXT) | instid1(VALU_DEP_2)
	v_fmac_f32_e32 v8, v8, v11
	v_fmaak_f32 v12, v10, v12, 0xbf000004
	s_delay_alu instid0(VALU_DEP_1) | instskip(NEXT) | instid1(VALU_DEP_1)
	v_fma_f32 v10, v10, v12, 1.0
	v_cndmask_b32_e64 v8, v10, v8, s0
	v_cmp_class_f32_e64 s0, v6, 0x1f8
	s_delay_alu instid0(VALU_DEP_2) | instskip(NEXT) | instid1(VALU_DEP_1)
	v_xor3_b32 v5, v5, v8, v6
	v_cndmask_b32_e64 v5, 0x7fc00000, v5, s0
	s_delay_alu instid0(VALU_DEP_1) | instskip(SKIP_1) | instid1(VALU_DEP_2)
	v_bfe_u32 v6, v5, 16, 1
	v_cmp_o_f32_e64 s0, v5, v5
	v_add3_u32 v6, v5, v6, 0x7fff
	s_delay_alu instid0(VALU_DEP_1) | instskip(NEXT) | instid1(VALU_DEP_1)
	v_lshrrev_b32_e32 v6, 16, v6
	v_cndmask_b32_e64 v5, 0x7fc0, v6, s0
.LBB32_14:
	s_or_b32 exec_lo, exec_lo, s6
	s_delay_alu instid0(SALU_CYCLE_1)
	s_mov_b32 s6, exec_lo
                                        ; implicit-def: $vgpr6
	v_cmpx_gt_i32_e64 s8, v1
	s_cbranch_execz .LBB32_20
; %bb.15:
	v_and_b32_e32 v6, 0x7fffffff, v7
                                        ; implicit-def: $vgpr9
                                        ; implicit-def: $vgpr8
	s_mov_b32 s1, exec_lo
	v_cmpx_ngt_f32_e64 0x48000000, |v7|
	s_xor_b32 s7, exec_lo, s1
	s_cbranch_execz .LBB32_17
; %bb.16:
	s_mov_b32 s0, 0x7fffff
	v_mov_b32_e32 v9, 0
	v_and_or_b32 v8, v6, s0, 0x800000
	s_mov_b64 s[0:1], 0xfe5163ab
	s_delay_alu instid0(VALU_DEP_1) | instid1(SALU_CYCLE_1)
	v_mul_u64_e32 v[10:11], s[0:1], v[8:9]
	s_delay_alu instid0(VALU_DEP_1) | instskip(SKIP_2) | instid1(VALU_DEP_3)
	v_dual_mov_b32 v12, v11 :: v_dual_mov_b32 v13, v9
	v_dual_mov_b32 v15, v9 :: v_dual_mov_b32 v17, v9
	v_dual_mov_b32 v19, v9 :: v_dual_lshrrev_b32 v11, 23, v6
	v_mad_nc_u64_u32 v[12:13], 0x3c439041, v8, v[12:13]
	s_delay_alu instid0(VALU_DEP_1) | instskip(NEXT) | instid1(VALU_DEP_1)
	v_mov_b32_e32 v14, v13
	v_mad_nc_u64_u32 v[14:15], 0xdb629599, v8, v[14:15]
	s_delay_alu instid0(VALU_DEP_1) | instskip(NEXT) | instid1(VALU_DEP_1)
	v_mov_b32_e32 v16, v15
	;; [unrolled: 3-line block ×3, first 2 shown]
	v_mad_nc_u64_u32 v[18:19], 0xfc2757d1, v8, v[18:19]
	s_delay_alu instid0(VALU_DEP_1) | instskip(NEXT) | instid1(VALU_DEP_1)
	v_dual_mov_b32 v21, v9 :: v_dual_mov_b32 v20, v19
	v_mad_nc_u64_u32 v[20:21], 0x4e441529, v8, v[20:21]
	s_delay_alu instid0(VALU_DEP_1) | instskip(NEXT) | instid1(VALU_DEP_1)
	v_dual_mov_b32 v22, v21 :: v_dual_add_nc_u32 v11, 0xffffff88, v11
	v_cmp_lt_u32_e64 s0, 63, v11
	v_mov_b32_e32 v23, v9
	s_delay_alu instid0(VALU_DEP_2) | instskip(NEXT) | instid1(VALU_DEP_2)
	v_cndmask_b32_e64 v13, 0, 0xffffffc0, s0
	v_mad_nc_u64_u32 v[8:9], 0xa2f9836e, v8, v[22:23]
	v_dual_cndmask_b32 v15, v20, v16, s0 :: v_dual_cndmask_b32 v17, v18, v14, s0
	s_delay_alu instid0(VALU_DEP_3) | instskip(SKIP_1) | instid1(VALU_DEP_2)
	v_dual_cndmask_b32 v12, v16, v12, s0 :: v_dual_add_nc_u32 v11, v13, v11
	v_cndmask_b32_e64 v10, v14, v10, s0
	v_cmp_lt_u32_e64 s1, 31, v11
	v_dual_cndmask_b32 v8, v8, v18, s0 :: v_dual_cndmask_b32 v9, v9, v20, s0
	s_delay_alu instid0(VALU_DEP_2) | instskip(NEXT) | instid1(VALU_DEP_4)
	v_cndmask_b32_e64 v13, 0, 0xffffffe0, s1
	v_dual_cndmask_b32 v16, v17, v12, s1 :: v_dual_cndmask_b32 v10, v12, v10, s1
	s_delay_alu instid0(VALU_DEP_2) | instskip(NEXT) | instid1(VALU_DEP_1)
	v_add_nc_u32_e32 v11, v13, v11
	v_cmp_lt_u32_e64 s2, 31, v11
	s_delay_alu instid0(VALU_DEP_1) | instskip(NEXT) | instid1(VALU_DEP_1)
	v_cndmask_b32_e64 v13, 0, 0xffffffe0, s2
	v_dual_cndmask_b32 v10, v16, v10, s2 :: v_dual_add_nc_u32 v11, v13, v11
	v_dual_cndmask_b32 v13, v8, v15, s1 :: v_dual_cndmask_b32 v8, v9, v8, s1
	s_delay_alu instid0(VALU_DEP_2) | instskip(SKIP_1) | instid1(VALU_DEP_3)
	v_dual_cndmask_b32 v9, v15, v17, s1 :: v_dual_sub_nc_u32 v15, 32, v11
	v_cmp_eq_u32_e64 s0, 0, v11
	v_cndmask_b32_e64 v8, v8, v13, s2
	s_delay_alu instid0(VALU_DEP_3) | instskip(SKIP_1) | instid1(VALU_DEP_2)
	v_cndmask_b32_e64 v13, v13, v9, s2
	v_cndmask_b32_e64 v9, v9, v16, s2
	v_alignbit_b32 v17, v8, v13, v15
	s_delay_alu instid0(VALU_DEP_2) | instskip(SKIP_1) | instid1(VALU_DEP_2)
	v_alignbit_b32 v14, v13, v9, v15
	v_alignbit_b32 v15, v9, v10, v15
	v_dual_cndmask_b32 v8, v17, v8, s0 :: v_dual_cndmask_b32 v11, v14, v13, s0
	s_delay_alu instid0(VALU_DEP_2) | instskip(NEXT) | instid1(VALU_DEP_2)
	v_cndmask_b32_e64 v9, v15, v9, s0
	v_bfe_u32 v12, v8, 29, 1
	s_delay_alu instid0(VALU_DEP_3) | instskip(NEXT) | instid1(VALU_DEP_3)
	v_alignbit_b32 v13, v8, v11, 30
	v_alignbit_b32 v11, v11, v9, 30
	;; [unrolled: 1-line block ×3, first 2 shown]
	s_delay_alu instid0(VALU_DEP_4) | instskip(NEXT) | instid1(VALU_DEP_1)
	v_sub_nc_u32_e32 v14, 0, v12
	v_xor_b32_e32 v13, v13, v14
	s_delay_alu instid0(VALU_DEP_4) | instskip(NEXT) | instid1(VALU_DEP_4)
	v_xor_b32_e32 v10, v11, v14
	v_dual_lshrrev_b32 v14, 29, v8 :: v_dual_bitop2_b32 v9, v9, v14 bitop3:0x14
	s_delay_alu instid0(VALU_DEP_3) | instskip(NEXT) | instid1(VALU_DEP_1)
	v_clz_i32_u32_e32 v15, v13
	v_min_u32_e32 v15, 32, v15
	s_delay_alu instid0(VALU_DEP_1) | instskip(NEXT) | instid1(VALU_DEP_1)
	v_dual_sub_nc_u32 v11, 31, v15 :: v_dual_lshlrev_b32 v16, 23, v15
	v_alignbit_b32 v13, v13, v10, v11
	v_alignbit_b32 v9, v10, v9, v11
	v_lshlrev_b32_e32 v10, 31, v14
	s_delay_alu instid0(VALU_DEP_2) | instskip(NEXT) | instid1(VALU_DEP_2)
	v_alignbit_b32 v11, v13, v9, 9
	v_dual_lshrrev_b32 v13, 9, v13 :: v_dual_bitop2_b32 v14, 0.5, v10 bitop3:0x54
	v_or_b32_e32 v10, 0x33000000, v10
	s_delay_alu instid0(VALU_DEP_3) | instskip(NEXT) | instid1(VALU_DEP_3)
	v_clz_i32_u32_e32 v17, v11
	v_sub_nc_u32_e32 v14, v14, v16
	s_delay_alu instid0(VALU_DEP_2) | instskip(NEXT) | instid1(VALU_DEP_1)
	v_min_u32_e32 v16, 32, v17
	v_add_lshl_u32 v15, v16, v15, 23
	s_delay_alu instid0(VALU_DEP_3) | instskip(SKIP_1) | instid1(VALU_DEP_2)
	v_or_b32_e32 v13, v13, v14
	v_not_b32_e32 v14, v16
	v_dual_mul_f32 v17, 0x3fc90fda, v13 :: v_dual_sub_nc_u32 v10, v10, v15
	s_delay_alu instid0(VALU_DEP_2) | instskip(NEXT) | instid1(VALU_DEP_2)
	v_alignbit_b32 v9, v11, v9, v14
	v_fma_f32 v11, 0x3fc90fda, v13, -v17
	s_delay_alu instid0(VALU_DEP_2) | instskip(NEXT) | instid1(VALU_DEP_2)
	v_lshrrev_b32_e32 v9, 9, v9
	v_fmamk_f32 v11, v13, 0x33a22168, v11
	s_delay_alu instid0(VALU_DEP_2) | instskip(NEXT) | instid1(VALU_DEP_1)
	v_or_b32_e32 v9, v10, v9
	v_fmac_f32_e32 v11, 0x3fc90fda, v9
	s_delay_alu instid0(VALU_DEP_1) | instskip(NEXT) | instid1(VALU_DEP_1)
	v_dual_add_f32 v8, v17, v11 :: v_dual_lshrrev_b32 v9, 30, v8
	v_add_nc_u32_e32 v9, v12, v9
.LBB32_17:
	s_and_not1_saveexec_b32 s0, s7
; %bb.18:
	v_mul_f32_e64 v8, 0x3f22f983, |v7|
	s_delay_alu instid0(VALU_DEP_1) | instskip(NEXT) | instid1(VALU_DEP_1)
	v_rndne_f32_e32 v9, v8
	v_fma_f32 v8, 0xbfc90fda, v9, |v7|
	s_delay_alu instid0(VALU_DEP_1) | instskip(NEXT) | instid1(VALU_DEP_1)
	v_fmamk_f32 v8, v9, 0xb3a22168, v8
	v_fmamk_f32 v8, v9, 0xa7c234c4, v8
	v_cvt_i32_f32_e32 v9, v9
; %bb.19:
	s_or_b32 exec_lo, exec_lo, s0
	s_delay_alu instid0(VALU_DEP_1) | instskip(SKIP_3) | instid1(VALU_DEP_2)
	v_dual_mul_f32 v10, v8, v8 :: v_dual_bitop2_b32 v13, 1, v9 bitop3:0x40
	s_mov_b32 s0, 0xb94c1982
	s_mov_b32 s1, 0x37d75334
	v_lshlrev_b32_e32 v9, 30, v9
	v_fmaak_f32 v11, s0, v10, 0x3c0881c4
	v_cmp_eq_u32_e64 s0, 0, v13
	s_delay_alu instid0(VALU_DEP_3) | instskip(NEXT) | instid1(VALU_DEP_3)
	v_bitop3_b32 v6, v6, v9, 0x80000000 bitop3:0x78
	v_fmaak_f32 v11, v10, v11, 0xbe2aaa9d
	s_delay_alu instid0(VALU_DEP_1) | instskip(NEXT) | instid1(VALU_DEP_1)
	v_dual_fmaak_f32 v12, s1, v10, 0xbab64f3b :: v_dual_mul_f32 v11, v10, v11
	v_fmaak_f32 v12, v10, v12, 0x3d2aabf7
	s_delay_alu instid0(VALU_DEP_2) | instskip(NEXT) | instid1(VALU_DEP_2)
	v_fmac_f32_e32 v8, v8, v11
	v_fmaak_f32 v12, v10, v12, 0xbf000004
	s_delay_alu instid0(VALU_DEP_1) | instskip(NEXT) | instid1(VALU_DEP_1)
	v_fma_f32 v10, v10, v12, 1.0
	v_cndmask_b32_e64 v8, v10, v8, s0
	v_cmp_class_f32_e64 s0, v7, 0x1f8
	s_delay_alu instid0(VALU_DEP_2) | instskip(NEXT) | instid1(VALU_DEP_1)
	v_xor3_b32 v6, v6, v8, v7
	v_cndmask_b32_e64 v6, 0x7fc00000, v6, s0
	s_delay_alu instid0(VALU_DEP_1) | instskip(SKIP_1) | instid1(VALU_DEP_2)
	v_bfe_u32 v7, v6, 16, 1
	v_cmp_o_f32_e64 s0, v6, v6
	v_add3_u32 v7, v6, v7, 0x7fff
	s_delay_alu instid0(VALU_DEP_1) | instskip(NEXT) | instid1(VALU_DEP_1)
	v_lshrrev_b32_e32 v7, 16, v7
	v_cndmask_b32_e64 v6, 0x7fc0, v7, s0
.LBB32_20:
	s_or_b32 exec_lo, exec_lo, s6
	v_or_b32_e32 v7, 0x200, v0
	s_delay_alu instid0(VALU_DEP_1)
	v_cmp_gt_i32_e64 s0, s8, v7
                                        ; implicit-def: $vgpr7
	s_and_saveexec_b32 s6, s0
	s_cbranch_execz .LBB32_26
; %bb.21:
	v_and_b32_e32 v7, 0x7fffffff, v4
                                        ; implicit-def: $vgpr9
                                        ; implicit-def: $vgpr8
	s_mov_b32 s1, exec_lo
	v_cmpx_ngt_f32_e64 0x48000000, |v4|
	s_xor_b32 s7, exec_lo, s1
	s_cbranch_execz .LBB32_23
; %bb.22:
	s_mov_b32 s0, 0x7fffff
	v_mov_b32_e32 v9, 0
	v_and_or_b32 v8, v7, s0, 0x800000
	s_mov_b64 s[0:1], 0xfe5163ab
	s_delay_alu instid0(VALU_DEP_1) | instid1(SALU_CYCLE_1)
	v_mul_u64_e32 v[10:11], s[0:1], v[8:9]
	s_delay_alu instid0(VALU_DEP_1) | instskip(SKIP_2) | instid1(VALU_DEP_3)
	v_dual_mov_b32 v12, v11 :: v_dual_mov_b32 v13, v9
	v_dual_mov_b32 v15, v9 :: v_dual_mov_b32 v17, v9
	v_dual_mov_b32 v19, v9 :: v_dual_lshrrev_b32 v11, 23, v7
	v_mad_nc_u64_u32 v[12:13], 0x3c439041, v8, v[12:13]
	s_delay_alu instid0(VALU_DEP_1) | instskip(NEXT) | instid1(VALU_DEP_1)
	v_mov_b32_e32 v14, v13
	v_mad_nc_u64_u32 v[14:15], 0xdb629599, v8, v[14:15]
	s_delay_alu instid0(VALU_DEP_1) | instskip(NEXT) | instid1(VALU_DEP_1)
	v_mov_b32_e32 v16, v15
	;; [unrolled: 3-line block ×3, first 2 shown]
	v_mad_nc_u64_u32 v[18:19], 0xfc2757d1, v8, v[18:19]
	s_delay_alu instid0(VALU_DEP_1) | instskip(NEXT) | instid1(VALU_DEP_1)
	v_dual_mov_b32 v21, v9 :: v_dual_mov_b32 v20, v19
	v_mad_nc_u64_u32 v[20:21], 0x4e441529, v8, v[20:21]
	s_delay_alu instid0(VALU_DEP_1) | instskip(NEXT) | instid1(VALU_DEP_1)
	v_dual_mov_b32 v22, v21 :: v_dual_add_nc_u32 v11, 0xffffff88, v11
	v_cmp_lt_u32_e64 s0, 63, v11
	v_mov_b32_e32 v23, v9
	s_delay_alu instid0(VALU_DEP_2) | instskip(NEXT) | instid1(VALU_DEP_2)
	v_cndmask_b32_e64 v13, 0, 0xffffffc0, s0
	v_mad_nc_u64_u32 v[8:9], 0xa2f9836e, v8, v[22:23]
	v_dual_cndmask_b32 v15, v20, v16, s0 :: v_dual_cndmask_b32 v17, v18, v14, s0
	s_delay_alu instid0(VALU_DEP_3) | instskip(SKIP_1) | instid1(VALU_DEP_2)
	v_dual_cndmask_b32 v12, v16, v12, s0 :: v_dual_add_nc_u32 v11, v13, v11
	v_cndmask_b32_e64 v10, v14, v10, s0
	v_cmp_lt_u32_e64 s1, 31, v11
	v_dual_cndmask_b32 v8, v8, v18, s0 :: v_dual_cndmask_b32 v9, v9, v20, s0
	s_delay_alu instid0(VALU_DEP_2) | instskip(NEXT) | instid1(VALU_DEP_4)
	v_cndmask_b32_e64 v13, 0, 0xffffffe0, s1
	v_dual_cndmask_b32 v16, v17, v12, s1 :: v_dual_cndmask_b32 v10, v12, v10, s1
	s_delay_alu instid0(VALU_DEP_2) | instskip(NEXT) | instid1(VALU_DEP_1)
	v_add_nc_u32_e32 v11, v13, v11
	v_cmp_lt_u32_e64 s2, 31, v11
	s_delay_alu instid0(VALU_DEP_1) | instskip(NEXT) | instid1(VALU_DEP_1)
	v_cndmask_b32_e64 v13, 0, 0xffffffe0, s2
	v_dual_cndmask_b32 v10, v16, v10, s2 :: v_dual_add_nc_u32 v11, v13, v11
	v_dual_cndmask_b32 v13, v8, v15, s1 :: v_dual_cndmask_b32 v8, v9, v8, s1
	s_delay_alu instid0(VALU_DEP_2) | instskip(SKIP_1) | instid1(VALU_DEP_3)
	v_dual_cndmask_b32 v9, v15, v17, s1 :: v_dual_sub_nc_u32 v15, 32, v11
	v_cmp_eq_u32_e64 s0, 0, v11
	v_cndmask_b32_e64 v8, v8, v13, s2
	s_delay_alu instid0(VALU_DEP_3) | instskip(SKIP_1) | instid1(VALU_DEP_2)
	v_cndmask_b32_e64 v13, v13, v9, s2
	v_cndmask_b32_e64 v9, v9, v16, s2
	v_alignbit_b32 v17, v8, v13, v15
	s_delay_alu instid0(VALU_DEP_2) | instskip(SKIP_1) | instid1(VALU_DEP_2)
	v_alignbit_b32 v14, v13, v9, v15
	v_alignbit_b32 v15, v9, v10, v15
	v_dual_cndmask_b32 v8, v17, v8, s0 :: v_dual_cndmask_b32 v11, v14, v13, s0
	s_delay_alu instid0(VALU_DEP_2) | instskip(NEXT) | instid1(VALU_DEP_2)
	v_cndmask_b32_e64 v9, v15, v9, s0
	v_bfe_u32 v12, v8, 29, 1
	s_delay_alu instid0(VALU_DEP_3) | instskip(NEXT) | instid1(VALU_DEP_3)
	v_alignbit_b32 v13, v8, v11, 30
	v_alignbit_b32 v11, v11, v9, 30
	;; [unrolled: 1-line block ×3, first 2 shown]
	s_delay_alu instid0(VALU_DEP_4) | instskip(NEXT) | instid1(VALU_DEP_1)
	v_sub_nc_u32_e32 v14, 0, v12
	v_xor_b32_e32 v13, v13, v14
	s_delay_alu instid0(VALU_DEP_4) | instskip(NEXT) | instid1(VALU_DEP_4)
	v_xor_b32_e32 v10, v11, v14
	v_dual_lshrrev_b32 v14, 29, v8 :: v_dual_bitop2_b32 v9, v9, v14 bitop3:0x14
	s_delay_alu instid0(VALU_DEP_3) | instskip(NEXT) | instid1(VALU_DEP_1)
	v_clz_i32_u32_e32 v15, v13
	v_min_u32_e32 v15, 32, v15
	s_delay_alu instid0(VALU_DEP_1) | instskip(NEXT) | instid1(VALU_DEP_1)
	v_dual_sub_nc_u32 v11, 31, v15 :: v_dual_lshlrev_b32 v16, 23, v15
	v_alignbit_b32 v13, v13, v10, v11
	v_alignbit_b32 v9, v10, v9, v11
	v_lshlrev_b32_e32 v10, 31, v14
	s_delay_alu instid0(VALU_DEP_2) | instskip(NEXT) | instid1(VALU_DEP_2)
	v_alignbit_b32 v11, v13, v9, 9
	v_dual_lshrrev_b32 v13, 9, v13 :: v_dual_bitop2_b32 v14, 0.5, v10 bitop3:0x54
	v_or_b32_e32 v10, 0x33000000, v10
	s_delay_alu instid0(VALU_DEP_3) | instskip(NEXT) | instid1(VALU_DEP_3)
	v_clz_i32_u32_e32 v17, v11
	v_sub_nc_u32_e32 v14, v14, v16
	s_delay_alu instid0(VALU_DEP_2) | instskip(NEXT) | instid1(VALU_DEP_1)
	v_min_u32_e32 v16, 32, v17
	v_add_lshl_u32 v15, v16, v15, 23
	s_delay_alu instid0(VALU_DEP_3) | instskip(SKIP_1) | instid1(VALU_DEP_2)
	v_or_b32_e32 v13, v13, v14
	v_not_b32_e32 v14, v16
	v_dual_mul_f32 v17, 0x3fc90fda, v13 :: v_dual_sub_nc_u32 v10, v10, v15
	s_delay_alu instid0(VALU_DEP_2) | instskip(NEXT) | instid1(VALU_DEP_2)
	v_alignbit_b32 v9, v11, v9, v14
	v_fma_f32 v11, 0x3fc90fda, v13, -v17
	s_delay_alu instid0(VALU_DEP_2) | instskip(NEXT) | instid1(VALU_DEP_2)
	v_lshrrev_b32_e32 v9, 9, v9
	v_fmamk_f32 v11, v13, 0x33a22168, v11
	s_delay_alu instid0(VALU_DEP_2) | instskip(NEXT) | instid1(VALU_DEP_1)
	v_or_b32_e32 v9, v10, v9
	v_fmac_f32_e32 v11, 0x3fc90fda, v9
	s_delay_alu instid0(VALU_DEP_1) | instskip(NEXT) | instid1(VALU_DEP_1)
	v_dual_add_f32 v8, v17, v11 :: v_dual_lshrrev_b32 v9, 30, v8
	v_add_nc_u32_e32 v9, v12, v9
.LBB32_23:
	s_and_not1_saveexec_b32 s0, s7
; %bb.24:
	v_mul_f32_e64 v8, 0x3f22f983, |v4|
	s_delay_alu instid0(VALU_DEP_1) | instskip(NEXT) | instid1(VALU_DEP_1)
	v_rndne_f32_e32 v9, v8
	v_fma_f32 v8, 0xbfc90fda, v9, |v4|
	s_delay_alu instid0(VALU_DEP_1) | instskip(NEXT) | instid1(VALU_DEP_1)
	v_fmamk_f32 v8, v9, 0xb3a22168, v8
	v_fmamk_f32 v8, v9, 0xa7c234c4, v8
	v_cvt_i32_f32_e32 v9, v9
; %bb.25:
	s_or_b32 exec_lo, exec_lo, s0
	s_delay_alu instid0(VALU_DEP_1) | instskip(SKIP_3) | instid1(VALU_DEP_2)
	v_dual_mul_f32 v10, v8, v8 :: v_dual_bitop2_b32 v13, 1, v9 bitop3:0x40
	s_mov_b32 s0, 0xb94c1982
	s_mov_b32 s1, 0x37d75334
	v_lshlrev_b32_e32 v9, 30, v9
	v_fmaak_f32 v11, s0, v10, 0x3c0881c4
	v_cmp_eq_u32_e64 s0, 0, v13
	s_delay_alu instid0(VALU_DEP_3) | instskip(NEXT) | instid1(VALU_DEP_3)
	v_bitop3_b32 v7, v7, v9, 0x80000000 bitop3:0x78
	v_fmaak_f32 v11, v10, v11, 0xbe2aaa9d
	s_delay_alu instid0(VALU_DEP_1) | instskip(NEXT) | instid1(VALU_DEP_1)
	v_dual_fmaak_f32 v12, s1, v10, 0xbab64f3b :: v_dual_mul_f32 v11, v10, v11
	v_fmaak_f32 v12, v10, v12, 0x3d2aabf7
	s_delay_alu instid0(VALU_DEP_2) | instskip(NEXT) | instid1(VALU_DEP_2)
	v_fmac_f32_e32 v8, v8, v11
	v_fmaak_f32 v12, v10, v12, 0xbf000004
	s_delay_alu instid0(VALU_DEP_1) | instskip(NEXT) | instid1(VALU_DEP_1)
	v_fma_f32 v10, v10, v12, 1.0
	v_cndmask_b32_e64 v8, v10, v8, s0
	v_cmp_class_f32_e64 s0, v4, 0x1f8
	s_delay_alu instid0(VALU_DEP_2) | instskip(NEXT) | instid1(VALU_DEP_1)
	v_xor3_b32 v7, v7, v8, v4
	v_cndmask_b32_e64 v4, 0x7fc00000, v7, s0
	s_delay_alu instid0(VALU_DEP_1) | instskip(SKIP_1) | instid1(VALU_DEP_2)
	v_bfe_u32 v7, v4, 16, 1
	v_cmp_o_f32_e64 s0, v4, v4
	v_add3_u32 v7, v4, v7, 0x7fff
	s_delay_alu instid0(VALU_DEP_1) | instskip(NEXT) | instid1(VALU_DEP_1)
	v_lshrrev_b32_e32 v7, 16, v7
	v_cndmask_b32_e64 v7, 0x7fc0, v7, s0
.LBB32_26:
	s_or_b32 exec_lo, exec_lo, s6
	v_or_b32_e32 v4, 0x300, v0
	s_delay_alu instid0(VALU_DEP_1)
	v_cmp_gt_i32_e64 s0, s8, v4
                                        ; implicit-def: $vgpr4
	s_and_saveexec_b32 s6, s0
	s_cbranch_execz .LBB32_36
; %bb.27:
	v_and_b32_e32 v4, 0x7fffffff, v3
                                        ; implicit-def: $vgpr9
                                        ; implicit-def: $vgpr8
	s_mov_b32 s1, exec_lo
	v_cmpx_ngt_f32_e64 0x48000000, |v3|
	s_xor_b32 s7, exec_lo, s1
	s_cbranch_execz .LBB32_29
; %bb.28:
	s_mov_b32 s0, 0x7fffff
	v_mov_b32_e32 v9, 0
	v_and_or_b32 v8, v4, s0, 0x800000
	s_mov_b64 s[0:1], 0xfe5163ab
	s_delay_alu instid0(VALU_DEP_1) | instid1(SALU_CYCLE_1)
	v_mul_u64_e32 v[10:11], s[0:1], v[8:9]
	s_delay_alu instid0(VALU_DEP_1) | instskip(SKIP_2) | instid1(VALU_DEP_3)
	v_dual_mov_b32 v12, v11 :: v_dual_mov_b32 v13, v9
	v_dual_mov_b32 v15, v9 :: v_dual_mov_b32 v17, v9
	v_dual_mov_b32 v19, v9 :: v_dual_lshrrev_b32 v11, 23, v4
	v_mad_nc_u64_u32 v[12:13], 0x3c439041, v8, v[12:13]
	s_delay_alu instid0(VALU_DEP_1) | instskip(NEXT) | instid1(VALU_DEP_1)
	v_mov_b32_e32 v14, v13
	v_mad_nc_u64_u32 v[14:15], 0xdb629599, v8, v[14:15]
	s_delay_alu instid0(VALU_DEP_1) | instskip(NEXT) | instid1(VALU_DEP_1)
	v_mov_b32_e32 v16, v15
	;; [unrolled: 3-line block ×3, first 2 shown]
	v_mad_nc_u64_u32 v[18:19], 0xfc2757d1, v8, v[18:19]
	s_delay_alu instid0(VALU_DEP_1) | instskip(NEXT) | instid1(VALU_DEP_1)
	v_dual_mov_b32 v21, v9 :: v_dual_mov_b32 v20, v19
	v_mad_nc_u64_u32 v[20:21], 0x4e441529, v8, v[20:21]
	s_delay_alu instid0(VALU_DEP_1) | instskip(NEXT) | instid1(VALU_DEP_1)
	v_dual_mov_b32 v22, v21 :: v_dual_add_nc_u32 v11, 0xffffff88, v11
	v_cmp_lt_u32_e64 s0, 63, v11
	v_mov_b32_e32 v23, v9
	s_delay_alu instid0(VALU_DEP_2) | instskip(NEXT) | instid1(VALU_DEP_2)
	v_cndmask_b32_e64 v13, 0, 0xffffffc0, s0
	v_mad_nc_u64_u32 v[8:9], 0xa2f9836e, v8, v[22:23]
	v_dual_cndmask_b32 v15, v20, v16, s0 :: v_dual_cndmask_b32 v17, v18, v14, s0
	s_delay_alu instid0(VALU_DEP_3) | instskip(SKIP_1) | instid1(VALU_DEP_2)
	v_dual_cndmask_b32 v12, v16, v12, s0 :: v_dual_add_nc_u32 v11, v13, v11
	v_cndmask_b32_e64 v10, v14, v10, s0
	v_cmp_lt_u32_e64 s1, 31, v11
	v_dual_cndmask_b32 v8, v8, v18, s0 :: v_dual_cndmask_b32 v9, v9, v20, s0
	s_delay_alu instid0(VALU_DEP_2) | instskip(NEXT) | instid1(VALU_DEP_4)
	v_cndmask_b32_e64 v13, 0, 0xffffffe0, s1
	v_dual_cndmask_b32 v16, v17, v12, s1 :: v_dual_cndmask_b32 v10, v12, v10, s1
	s_delay_alu instid0(VALU_DEP_2) | instskip(NEXT) | instid1(VALU_DEP_1)
	v_add_nc_u32_e32 v11, v13, v11
	v_cmp_lt_u32_e64 s2, 31, v11
	s_delay_alu instid0(VALU_DEP_1) | instskip(NEXT) | instid1(VALU_DEP_1)
	v_cndmask_b32_e64 v13, 0, 0xffffffe0, s2
	v_dual_cndmask_b32 v10, v16, v10, s2 :: v_dual_add_nc_u32 v11, v13, v11
	v_dual_cndmask_b32 v13, v8, v15, s1 :: v_dual_cndmask_b32 v8, v9, v8, s1
	s_delay_alu instid0(VALU_DEP_2) | instskip(SKIP_1) | instid1(VALU_DEP_3)
	v_dual_cndmask_b32 v9, v15, v17, s1 :: v_dual_sub_nc_u32 v15, 32, v11
	v_cmp_eq_u32_e64 s0, 0, v11
	v_cndmask_b32_e64 v8, v8, v13, s2
	s_delay_alu instid0(VALU_DEP_3) | instskip(SKIP_1) | instid1(VALU_DEP_2)
	v_cndmask_b32_e64 v13, v13, v9, s2
	v_cndmask_b32_e64 v9, v9, v16, s2
	v_alignbit_b32 v17, v8, v13, v15
	s_delay_alu instid0(VALU_DEP_2) | instskip(SKIP_1) | instid1(VALU_DEP_2)
	v_alignbit_b32 v14, v13, v9, v15
	v_alignbit_b32 v15, v9, v10, v15
	v_dual_cndmask_b32 v8, v17, v8, s0 :: v_dual_cndmask_b32 v11, v14, v13, s0
	s_delay_alu instid0(VALU_DEP_2) | instskip(NEXT) | instid1(VALU_DEP_2)
	v_cndmask_b32_e64 v9, v15, v9, s0
	v_bfe_u32 v12, v8, 29, 1
	s_delay_alu instid0(VALU_DEP_3) | instskip(NEXT) | instid1(VALU_DEP_3)
	v_alignbit_b32 v13, v8, v11, 30
	v_alignbit_b32 v11, v11, v9, 30
	;; [unrolled: 1-line block ×3, first 2 shown]
	s_delay_alu instid0(VALU_DEP_4) | instskip(NEXT) | instid1(VALU_DEP_1)
	v_sub_nc_u32_e32 v14, 0, v12
	v_xor_b32_e32 v13, v13, v14
	s_delay_alu instid0(VALU_DEP_4) | instskip(NEXT) | instid1(VALU_DEP_4)
	v_xor_b32_e32 v10, v11, v14
	v_dual_lshrrev_b32 v14, 29, v8 :: v_dual_bitop2_b32 v9, v9, v14 bitop3:0x14
	s_delay_alu instid0(VALU_DEP_3) | instskip(NEXT) | instid1(VALU_DEP_1)
	v_clz_i32_u32_e32 v15, v13
	v_min_u32_e32 v15, 32, v15
	s_delay_alu instid0(VALU_DEP_1) | instskip(NEXT) | instid1(VALU_DEP_1)
	v_dual_sub_nc_u32 v11, 31, v15 :: v_dual_lshlrev_b32 v16, 23, v15
	v_alignbit_b32 v13, v13, v10, v11
	v_alignbit_b32 v9, v10, v9, v11
	v_lshlrev_b32_e32 v10, 31, v14
	s_delay_alu instid0(VALU_DEP_2) | instskip(NEXT) | instid1(VALU_DEP_2)
	v_alignbit_b32 v11, v13, v9, 9
	v_dual_lshrrev_b32 v13, 9, v13 :: v_dual_bitop2_b32 v14, 0.5, v10 bitop3:0x54
	v_or_b32_e32 v10, 0x33000000, v10
	s_delay_alu instid0(VALU_DEP_3) | instskip(NEXT) | instid1(VALU_DEP_3)
	v_clz_i32_u32_e32 v17, v11
	v_sub_nc_u32_e32 v14, v14, v16
	s_delay_alu instid0(VALU_DEP_2) | instskip(NEXT) | instid1(VALU_DEP_1)
	v_min_u32_e32 v16, 32, v17
	v_add_lshl_u32 v15, v16, v15, 23
	s_delay_alu instid0(VALU_DEP_3) | instskip(SKIP_1) | instid1(VALU_DEP_2)
	v_or_b32_e32 v13, v13, v14
	v_not_b32_e32 v14, v16
	v_dual_mul_f32 v17, 0x3fc90fda, v13 :: v_dual_sub_nc_u32 v10, v10, v15
	s_delay_alu instid0(VALU_DEP_2) | instskip(NEXT) | instid1(VALU_DEP_2)
	v_alignbit_b32 v9, v11, v9, v14
	v_fma_f32 v11, 0x3fc90fda, v13, -v17
	s_delay_alu instid0(VALU_DEP_2) | instskip(NEXT) | instid1(VALU_DEP_2)
	v_lshrrev_b32_e32 v9, 9, v9
	v_fmamk_f32 v11, v13, 0x33a22168, v11
	s_delay_alu instid0(VALU_DEP_2) | instskip(NEXT) | instid1(VALU_DEP_1)
	v_or_b32_e32 v9, v10, v9
	v_fmac_f32_e32 v11, 0x3fc90fda, v9
	s_delay_alu instid0(VALU_DEP_1) | instskip(NEXT) | instid1(VALU_DEP_1)
	v_dual_add_f32 v8, v17, v11 :: v_dual_lshrrev_b32 v9, 30, v8
	v_add_nc_u32_e32 v9, v12, v9
.LBB32_29:
	s_and_not1_saveexec_b32 s0, s7
; %bb.30:
	v_mul_f32_e64 v8, 0x3f22f983, |v3|
	s_delay_alu instid0(VALU_DEP_1) | instskip(NEXT) | instid1(VALU_DEP_1)
	v_rndne_f32_e32 v9, v8
	v_fma_f32 v8, 0xbfc90fda, v9, |v3|
	s_delay_alu instid0(VALU_DEP_1) | instskip(NEXT) | instid1(VALU_DEP_1)
	v_fmamk_f32 v8, v9, 0xb3a22168, v8
	v_fmamk_f32 v8, v9, 0xa7c234c4, v8
	v_cvt_i32_f32_e32 v9, v9
; %bb.31:
	s_or_b32 exec_lo, exec_lo, s0
	s_delay_alu instid0(VALU_DEP_1) | instskip(SKIP_3) | instid1(VALU_DEP_2)
	v_dual_mul_f32 v10, v8, v8 :: v_dual_bitop2_b32 v13, 1, v9 bitop3:0x40
	s_mov_b32 s0, 0xb94c1982
	s_mov_b32 s1, 0x37d75334
	v_lshlrev_b32_e32 v9, 30, v9
	v_fmaak_f32 v11, s0, v10, 0x3c0881c4
	v_cmp_eq_u32_e64 s0, 0, v13
	s_delay_alu instid0(VALU_DEP_3) | instskip(NEXT) | instid1(VALU_DEP_3)
	v_bitop3_b32 v4, v4, v9, 0x80000000 bitop3:0x78
	v_fmaak_f32 v11, v10, v11, 0xbe2aaa9d
	s_delay_alu instid0(VALU_DEP_1) | instskip(NEXT) | instid1(VALU_DEP_1)
	v_dual_fmaak_f32 v12, s1, v10, 0xbab64f3b :: v_dual_mul_f32 v11, v10, v11
	v_fmaak_f32 v12, v10, v12, 0x3d2aabf7
	s_delay_alu instid0(VALU_DEP_2) | instskip(NEXT) | instid1(VALU_DEP_2)
	v_fmac_f32_e32 v8, v8, v11
	v_fmaak_f32 v12, v10, v12, 0xbf000004
	s_delay_alu instid0(VALU_DEP_1) | instskip(NEXT) | instid1(VALU_DEP_1)
	v_fma_f32 v10, v10, v12, 1.0
	v_cndmask_b32_e64 v8, v10, v8, s0
	v_cmp_class_f32_e64 s0, v3, 0x1f8
	s_delay_alu instid0(VALU_DEP_2) | instskip(NEXT) | instid1(VALU_DEP_1)
	v_xor3_b32 v4, v4, v8, v3
	v_cndmask_b32_e64 v3, 0x7fc00000, v4, s0
	s_delay_alu instid0(VALU_DEP_1) | instskip(SKIP_1) | instid1(VALU_DEP_2)
	v_bfe_u32 v4, v3, 16, 1
	v_cmp_o_f32_e64 s0, v3, v3
	v_add3_u32 v4, v3, v4, 0x7fff
	s_delay_alu instid0(VALU_DEP_1) | instskip(NEXT) | instid1(VALU_DEP_1)
	v_lshrrev_b32_e32 v4, 16, v4
	v_cndmask_b32_e64 v4, 0x7fc0, v4, s0
	s_or_b32 exec_lo, exec_lo, s6
	s_and_saveexec_b32 s0, vcc_lo
	s_delay_alu instid0(SALU_CYCLE_1)
	s_xor_b32 s0, exec_lo, s0
	s_cbranch_execnz .LBB32_37
.LBB32_32:
	s_or_b32 exec_lo, exec_lo, s0
	s_delay_alu instid0(SALU_CYCLE_1)
	s_mov_b32 s0, exec_lo
	v_cmpx_gt_i32_e64 s8, v0
	s_cbranch_execz .LBB32_38
.LBB32_33:
	v_add_nc_u32_e32 v1, 0x100, v0
	s_delay_alu instid0(VALU_DEP_1) | instskip(SKIP_3) | instid1(SALU_CYCLE_1)
	v_dual_add_nc_u32 v2, s3, v0 :: v_dual_mov_b32 v0, v1
	global_store_b16 v2, v6, s[4:5] scale_offset
	s_wait_xcnt 0x0
	s_or_b32 exec_lo, exec_lo, s0
	s_mov_b32 s0, exec_lo
	v_cmpx_gt_i32_e64 s8, v0
	s_cbranch_execnz .LBB32_39
.LBB32_34:
	s_or_b32 exec_lo, exec_lo, s0
	s_delay_alu instid0(SALU_CYCLE_1)
	s_mov_b32 s0, exec_lo
	v_cmpx_gt_i32_e64 s8, v0
	s_cbranch_execz .LBB32_40
.LBB32_35:
	v_add_nc_u32_e32 v0, s3, v0
	global_store_b16 v0, v4, s[4:5] scale_offset
	s_endpgm
.LBB32_36:
	s_or_b32 exec_lo, exec_lo, s6
	s_and_saveexec_b32 s0, vcc_lo
	s_delay_alu instid0(SALU_CYCLE_1)
	s_xor_b32 s0, exec_lo, s0
	s_cbranch_execz .LBB32_32
.LBB32_37:
	v_mov_b32_e32 v0, v1
	global_store_b16 v2, v5, s[4:5] scale_offset
	s_wait_xcnt 0x0
	s_or_b32 exec_lo, exec_lo, s0
	s_delay_alu instid0(SALU_CYCLE_1)
	s_mov_b32 s0, exec_lo
	v_cmpx_gt_i32_e64 s8, v0
	s_cbranch_execnz .LBB32_33
.LBB32_38:
	s_or_b32 exec_lo, exec_lo, s0
	s_delay_alu instid0(SALU_CYCLE_1)
	s_mov_b32 s0, exec_lo
	v_cmpx_gt_i32_e64 s8, v0
	s_cbranch_execz .LBB32_34
.LBB32_39:
	v_add_nc_u32_e32 v1, 0x100, v0
	s_delay_alu instid0(VALU_DEP_1) | instskip(SKIP_3) | instid1(SALU_CYCLE_1)
	v_dual_add_nc_u32 v2, s3, v0 :: v_dual_mov_b32 v0, v1
	global_store_b16 v2, v7, s[4:5] scale_offset
	s_wait_xcnt 0x0
	s_or_b32 exec_lo, exec_lo, s0
	s_mov_b32 s0, exec_lo
	v_cmpx_gt_i32_e64 s8, v0
	s_cbranch_execnz .LBB32_35
.LBB32_40:
	s_endpgm
	.section	.rodata,"a",@progbits
	.p2align	6, 0x0
	.amdhsa_kernel _ZN2at6native27unrolled_elementwise_kernelIZZZNS0_15sin_kernel_cudaERNS_18TensorIteratorBaseEENKUlvE0_clEvENKUlvE2_clEvEUlN3c108BFloat16EE_St5arrayIPcLm2EELi4E23TrivialOffsetCalculatorILi1EjESD_NS0_6memory15LoadWithoutCastENSE_16StoreWithoutCastEEEviT_T0_T2_T3_T4_T5_
		.amdhsa_group_segment_fixed_size 0
		.amdhsa_private_segment_fixed_size 0
		.amdhsa_kernarg_size 28
		.amdhsa_user_sgpr_count 2
		.amdhsa_user_sgpr_dispatch_ptr 0
		.amdhsa_user_sgpr_queue_ptr 0
		.amdhsa_user_sgpr_kernarg_segment_ptr 1
		.amdhsa_user_sgpr_dispatch_id 0
		.amdhsa_user_sgpr_kernarg_preload_length 0
		.amdhsa_user_sgpr_kernarg_preload_offset 0
		.amdhsa_user_sgpr_private_segment_size 0
		.amdhsa_wavefront_size32 1
		.amdhsa_uses_dynamic_stack 0
		.amdhsa_enable_private_segment 0
		.amdhsa_system_sgpr_workgroup_id_x 1
		.amdhsa_system_sgpr_workgroup_id_y 0
		.amdhsa_system_sgpr_workgroup_id_z 0
		.amdhsa_system_sgpr_workgroup_info 0
		.amdhsa_system_vgpr_workitem_id 0
		.amdhsa_next_free_vgpr 24
		.amdhsa_next_free_sgpr 9
		.amdhsa_named_barrier_count 0
		.amdhsa_reserve_vcc 1
		.amdhsa_float_round_mode_32 0
		.amdhsa_float_round_mode_16_64 0
		.amdhsa_float_denorm_mode_32 3
		.amdhsa_float_denorm_mode_16_64 3
		.amdhsa_fp16_overflow 0
		.amdhsa_memory_ordered 1
		.amdhsa_forward_progress 1
		.amdhsa_inst_pref_size 39
		.amdhsa_round_robin_scheduling 0
		.amdhsa_exception_fp_ieee_invalid_op 0
		.amdhsa_exception_fp_denorm_src 0
		.amdhsa_exception_fp_ieee_div_zero 0
		.amdhsa_exception_fp_ieee_overflow 0
		.amdhsa_exception_fp_ieee_underflow 0
		.amdhsa_exception_fp_ieee_inexact 0
		.amdhsa_exception_int_div_zero 0
	.end_amdhsa_kernel
	.section	.text._ZN2at6native27unrolled_elementwise_kernelIZZZNS0_15sin_kernel_cudaERNS_18TensorIteratorBaseEENKUlvE0_clEvENKUlvE2_clEvEUlN3c108BFloat16EE_St5arrayIPcLm2EELi4E23TrivialOffsetCalculatorILi1EjESD_NS0_6memory15LoadWithoutCastENSE_16StoreWithoutCastEEEviT_T0_T2_T3_T4_T5_,"axG",@progbits,_ZN2at6native27unrolled_elementwise_kernelIZZZNS0_15sin_kernel_cudaERNS_18TensorIteratorBaseEENKUlvE0_clEvENKUlvE2_clEvEUlN3c108BFloat16EE_St5arrayIPcLm2EELi4E23TrivialOffsetCalculatorILi1EjESD_NS0_6memory15LoadWithoutCastENSE_16StoreWithoutCastEEEviT_T0_T2_T3_T4_T5_,comdat
.Lfunc_end32:
	.size	_ZN2at6native27unrolled_elementwise_kernelIZZZNS0_15sin_kernel_cudaERNS_18TensorIteratorBaseEENKUlvE0_clEvENKUlvE2_clEvEUlN3c108BFloat16EE_St5arrayIPcLm2EELi4E23TrivialOffsetCalculatorILi1EjESD_NS0_6memory15LoadWithoutCastENSE_16StoreWithoutCastEEEviT_T0_T2_T3_T4_T5_, .Lfunc_end32-_ZN2at6native27unrolled_elementwise_kernelIZZZNS0_15sin_kernel_cudaERNS_18TensorIteratorBaseEENKUlvE0_clEvENKUlvE2_clEvEUlN3c108BFloat16EE_St5arrayIPcLm2EELi4E23TrivialOffsetCalculatorILi1EjESD_NS0_6memory15LoadWithoutCastENSE_16StoreWithoutCastEEEviT_T0_T2_T3_T4_T5_
                                        ; -- End function
	.set _ZN2at6native27unrolled_elementwise_kernelIZZZNS0_15sin_kernel_cudaERNS_18TensorIteratorBaseEENKUlvE0_clEvENKUlvE2_clEvEUlN3c108BFloat16EE_St5arrayIPcLm2EELi4E23TrivialOffsetCalculatorILi1EjESD_NS0_6memory15LoadWithoutCastENSE_16StoreWithoutCastEEEviT_T0_T2_T3_T4_T5_.num_vgpr, 24
	.set _ZN2at6native27unrolled_elementwise_kernelIZZZNS0_15sin_kernel_cudaERNS_18TensorIteratorBaseEENKUlvE0_clEvENKUlvE2_clEvEUlN3c108BFloat16EE_St5arrayIPcLm2EELi4E23TrivialOffsetCalculatorILi1EjESD_NS0_6memory15LoadWithoutCastENSE_16StoreWithoutCastEEEviT_T0_T2_T3_T4_T5_.num_agpr, 0
	.set _ZN2at6native27unrolled_elementwise_kernelIZZZNS0_15sin_kernel_cudaERNS_18TensorIteratorBaseEENKUlvE0_clEvENKUlvE2_clEvEUlN3c108BFloat16EE_St5arrayIPcLm2EELi4E23TrivialOffsetCalculatorILi1EjESD_NS0_6memory15LoadWithoutCastENSE_16StoreWithoutCastEEEviT_T0_T2_T3_T4_T5_.numbered_sgpr, 9
	.set _ZN2at6native27unrolled_elementwise_kernelIZZZNS0_15sin_kernel_cudaERNS_18TensorIteratorBaseEENKUlvE0_clEvENKUlvE2_clEvEUlN3c108BFloat16EE_St5arrayIPcLm2EELi4E23TrivialOffsetCalculatorILi1EjESD_NS0_6memory15LoadWithoutCastENSE_16StoreWithoutCastEEEviT_T0_T2_T3_T4_T5_.num_named_barrier, 0
	.set _ZN2at6native27unrolled_elementwise_kernelIZZZNS0_15sin_kernel_cudaERNS_18TensorIteratorBaseEENKUlvE0_clEvENKUlvE2_clEvEUlN3c108BFloat16EE_St5arrayIPcLm2EELi4E23TrivialOffsetCalculatorILi1EjESD_NS0_6memory15LoadWithoutCastENSE_16StoreWithoutCastEEEviT_T0_T2_T3_T4_T5_.private_seg_size, 0
	.set _ZN2at6native27unrolled_elementwise_kernelIZZZNS0_15sin_kernel_cudaERNS_18TensorIteratorBaseEENKUlvE0_clEvENKUlvE2_clEvEUlN3c108BFloat16EE_St5arrayIPcLm2EELi4E23TrivialOffsetCalculatorILi1EjESD_NS0_6memory15LoadWithoutCastENSE_16StoreWithoutCastEEEviT_T0_T2_T3_T4_T5_.uses_vcc, 1
	.set _ZN2at6native27unrolled_elementwise_kernelIZZZNS0_15sin_kernel_cudaERNS_18TensorIteratorBaseEENKUlvE0_clEvENKUlvE2_clEvEUlN3c108BFloat16EE_St5arrayIPcLm2EELi4E23TrivialOffsetCalculatorILi1EjESD_NS0_6memory15LoadWithoutCastENSE_16StoreWithoutCastEEEviT_T0_T2_T3_T4_T5_.uses_flat_scratch, 0
	.set _ZN2at6native27unrolled_elementwise_kernelIZZZNS0_15sin_kernel_cudaERNS_18TensorIteratorBaseEENKUlvE0_clEvENKUlvE2_clEvEUlN3c108BFloat16EE_St5arrayIPcLm2EELi4E23TrivialOffsetCalculatorILi1EjESD_NS0_6memory15LoadWithoutCastENSE_16StoreWithoutCastEEEviT_T0_T2_T3_T4_T5_.has_dyn_sized_stack, 0
	.set _ZN2at6native27unrolled_elementwise_kernelIZZZNS0_15sin_kernel_cudaERNS_18TensorIteratorBaseEENKUlvE0_clEvENKUlvE2_clEvEUlN3c108BFloat16EE_St5arrayIPcLm2EELi4E23TrivialOffsetCalculatorILi1EjESD_NS0_6memory15LoadWithoutCastENSE_16StoreWithoutCastEEEviT_T0_T2_T3_T4_T5_.has_recursion, 0
	.set _ZN2at6native27unrolled_elementwise_kernelIZZZNS0_15sin_kernel_cudaERNS_18TensorIteratorBaseEENKUlvE0_clEvENKUlvE2_clEvEUlN3c108BFloat16EE_St5arrayIPcLm2EELi4E23TrivialOffsetCalculatorILi1EjESD_NS0_6memory15LoadWithoutCastENSE_16StoreWithoutCastEEEviT_T0_T2_T3_T4_T5_.has_indirect_call, 0
	.section	.AMDGPU.csdata,"",@progbits
; Kernel info:
; codeLenInByte = 4976
; TotalNumSgprs: 11
; NumVgprs: 24
; ScratchSize: 0
; MemoryBound: 0
; FloatMode: 240
; IeeeMode: 1
; LDSByteSize: 0 bytes/workgroup (compile time only)
; SGPRBlocks: 0
; VGPRBlocks: 1
; NumSGPRsForWavesPerEU: 11
; NumVGPRsForWavesPerEU: 24
; NamedBarCnt: 0
; Occupancy: 16
; WaveLimiterHint : 0
; COMPUTE_PGM_RSRC2:SCRATCH_EN: 0
; COMPUTE_PGM_RSRC2:USER_SGPR: 2
; COMPUTE_PGM_RSRC2:TRAP_HANDLER: 0
; COMPUTE_PGM_RSRC2:TGID_X_EN: 1
; COMPUTE_PGM_RSRC2:TGID_Y_EN: 0
; COMPUTE_PGM_RSRC2:TGID_Z_EN: 0
; COMPUTE_PGM_RSRC2:TIDIG_COMP_CNT: 0
	.section	.text._ZN2at6native32elementwise_kernel_manual_unrollILi128ELi8EZNS0_22gpu_kernel_impl_nocastIZZZNS0_15sin_kernel_cudaERNS_18TensorIteratorBaseEENKUlvE0_clEvENKUlvE2_clEvEUlN3c108BFloat16EE_EEvS4_RKT_EUlibE_EEviT1_,"axG",@progbits,_ZN2at6native32elementwise_kernel_manual_unrollILi128ELi8EZNS0_22gpu_kernel_impl_nocastIZZZNS0_15sin_kernel_cudaERNS_18TensorIteratorBaseEENKUlvE0_clEvENKUlvE2_clEvEUlN3c108BFloat16EE_EEvS4_RKT_EUlibE_EEviT1_,comdat
	.globl	_ZN2at6native32elementwise_kernel_manual_unrollILi128ELi8EZNS0_22gpu_kernel_impl_nocastIZZZNS0_15sin_kernel_cudaERNS_18TensorIteratorBaseEENKUlvE0_clEvENKUlvE2_clEvEUlN3c108BFloat16EE_EEvS4_RKT_EUlibE_EEviT1_ ; -- Begin function _ZN2at6native32elementwise_kernel_manual_unrollILi128ELi8EZNS0_22gpu_kernel_impl_nocastIZZZNS0_15sin_kernel_cudaERNS_18TensorIteratorBaseEENKUlvE0_clEvENKUlvE2_clEvEUlN3c108BFloat16EE_EEvS4_RKT_EUlibE_EEviT1_
	.p2align	8
	.type	_ZN2at6native32elementwise_kernel_manual_unrollILi128ELi8EZNS0_22gpu_kernel_impl_nocastIZZZNS0_15sin_kernel_cudaERNS_18TensorIteratorBaseEENKUlvE0_clEvENKUlvE2_clEvEUlN3c108BFloat16EE_EEvS4_RKT_EUlibE_EEviT1_,@function
_ZN2at6native32elementwise_kernel_manual_unrollILi128ELi8EZNS0_22gpu_kernel_impl_nocastIZZZNS0_15sin_kernel_cudaERNS_18TensorIteratorBaseEENKUlvE0_clEvENKUlvE2_clEvEUlN3c108BFloat16EE_EEvS4_RKT_EUlibE_EEviT1_: ; @_ZN2at6native32elementwise_kernel_manual_unrollILi128ELi8EZNS0_22gpu_kernel_impl_nocastIZZZNS0_15sin_kernel_cudaERNS_18TensorIteratorBaseEENKUlvE0_clEvENKUlvE2_clEvEUlN3c108BFloat16EE_EEvS4_RKT_EUlibE_EEviT1_
; %bb.0:
	s_clause 0x1
	s_load_b32 s28, s[0:1], 0x8
	s_load_b32 s34, s[0:1], 0x0
	s_bfe_u32 s2, ttmp6, 0x4000c
	s_and_b32 s3, ttmp6, 15
	s_add_co_i32 s2, s2, 1
	s_getreg_b32 s4, hwreg(HW_REG_IB_STS2, 6, 4)
	s_mul_i32 s2, ttmp9, s2
	s_mov_b32 s19, 0
	s_add_co_i32 s3, s3, s2
	s_cmp_eq_u32 s4, 0
	s_cselect_b32 s2, ttmp9, s3
	s_delay_alu instid0(SALU_CYCLE_1) | instskip(SKIP_3) | instid1(VALU_DEP_1)
	v_lshl_or_b32 v0, s2, 10, v0
	s_add_nc_u64 s[2:3], s[0:1], 8
	s_wait_xcnt 0x0
	s_mov_b32 s0, exec_lo
	v_or_b32_e32 v16, 0x380, v0
	s_wait_kmcnt 0x0
	s_add_co_i32 s29, s28, -1
	s_delay_alu instid0(SALU_CYCLE_1)
	s_cmp_gt_u32 s29, 1
	s_cselect_b32 s30, -1, 0
	v_cmpx_le_i32_e64 s34, v16
	s_xor_b32 s31, exec_lo, s0
	s_cbranch_execz .LBB33_7
; %bb.1:
	s_clause 0x3
	s_load_b128 s[8:11], s[2:3], 0x4
	s_load_b64 s[16:17], s[2:3], 0x14
	s_load_b128 s[12:15], s[2:3], 0xc4
	s_load_b128 s[4:7], s[2:3], 0x148
	s_cmp_lg_u32 s28, 0
	s_add_nc_u64 s[22:23], s[2:3], 0xc4
	s_cselect_b32 s36, -1, 0
	s_min_u32 s35, s29, 15
	s_cmp_gt_u32 s28, 1
	s_mov_b32 s21, s19
	s_cselect_b32 s33, -1, 0
	s_wait_kmcnt 0x0
	s_mov_b32 s18, s9
	s_mov_b32 s20, s16
	s_mov_b32 s9, exec_lo
	v_cmpx_gt_i32_e64 s34, v0
	s_cbranch_execz .LBB33_14
; %bb.2:
	s_and_not1_b32 vcc_lo, exec_lo, s30
	s_cbranch_vccnz .LBB33_21
; %bb.3:
	s_and_not1_b32 vcc_lo, exec_lo, s36
	s_cbranch_vccnz .LBB33_161
; %bb.4:
	s_add_co_i32 s1, s35, 1
	s_cmp_eq_u32 s29, 2
	s_cbranch_scc1 .LBB33_163
; %bb.5:
	v_dual_mov_b32 v2, 0 :: v_dual_mov_b32 v3, 0
	v_mov_b32_e32 v1, v0
	s_and_b32 s0, s1, 28
	s_mov_b32 s16, 0
	s_mov_b64 s[24:25], s[2:3]
	s_mov_b64 s[26:27], s[22:23]
.LBB33_6:                               ; =>This Inner Loop Header: Depth=1
	s_clause 0x1
	s_load_b256 s[40:47], s[24:25], 0x4
	s_load_b128 s[56:59], s[24:25], 0x24
	s_load_b256 s[48:55], s[26:27], 0x0
	s_add_co_i32 s16, s16, 4
	s_wait_xcnt 0x0
	s_add_nc_u64 s[24:25], s[24:25], 48
	s_cmp_lg_u32 s0, s16
	s_add_nc_u64 s[26:27], s[26:27], 32
	s_wait_kmcnt 0x0
	v_mul_hi_u32 v4, s41, v1
	s_delay_alu instid0(VALU_DEP_1) | instskip(NEXT) | instid1(VALU_DEP_1)
	v_add_nc_u32_e32 v4, v1, v4
	v_lshrrev_b32_e32 v4, s42, v4
	s_delay_alu instid0(VALU_DEP_1) | instskip(NEXT) | instid1(VALU_DEP_1)
	v_mul_hi_u32 v5, s44, v4
	v_add_nc_u32_e32 v5, v4, v5
	s_delay_alu instid0(VALU_DEP_1) | instskip(NEXT) | instid1(VALU_DEP_1)
	v_lshrrev_b32_e32 v5, s45, v5
	v_mul_hi_u32 v6, s47, v5
	s_delay_alu instid0(VALU_DEP_1) | instskip(SKIP_1) | instid1(VALU_DEP_1)
	v_add_nc_u32_e32 v6, v5, v6
	v_mul_lo_u32 v7, v4, s40
	v_sub_nc_u32_e32 v1, v1, v7
	v_mul_lo_u32 v7, v5, s43
	s_delay_alu instid0(VALU_DEP_4) | instskip(NEXT) | instid1(VALU_DEP_3)
	v_lshrrev_b32_e32 v6, s56, v6
	v_mad_u32 v3, v1, s49, v3
	v_mad_u32 v1, v1, s48, v2
	s_delay_alu instid0(VALU_DEP_4) | instskip(NEXT) | instid1(VALU_DEP_4)
	v_sub_nc_u32_e32 v2, v4, v7
	v_mul_hi_u32 v8, s58, v6
	v_mul_lo_u32 v4, v6, s46
	s_delay_alu instid0(VALU_DEP_3) | instskip(SKIP_1) | instid1(VALU_DEP_4)
	v_mad_u32 v3, v2, s51, v3
	v_mad_u32 v2, v2, s50, v1
	v_add_nc_u32_e32 v7, v6, v8
	s_delay_alu instid0(VALU_DEP_1) | instskip(NEXT) | instid1(VALU_DEP_1)
	v_dual_sub_nc_u32 v4, v5, v4 :: v_dual_lshrrev_b32 v1, s59, v7
	v_mad_u32 v3, v4, s53, v3
	s_delay_alu instid0(VALU_DEP_4) | instskip(NEXT) | instid1(VALU_DEP_3)
	v_mad_u32 v2, v4, s52, v2
	v_mul_lo_u32 v5, v1, s57
	s_delay_alu instid0(VALU_DEP_1) | instskip(NEXT) | instid1(VALU_DEP_1)
	v_sub_nc_u32_e32 v4, v6, v5
	v_mad_u32 v3, v4, s55, v3
	s_delay_alu instid0(VALU_DEP_4)
	v_mad_u32 v2, v4, s54, v2
	s_cbranch_scc1 .LBB33_6
	s_branch .LBB33_164
.LBB33_7:
	s_and_not1_saveexec_b32 s0, s31
	s_cbranch_execz .LBB33_277
.LBB33_8:
	v_cndmask_b32_e64 v14, 0, 1, s30
	s_and_not1_b32 vcc_lo, exec_lo, s30
	s_cbranch_vccnz .LBB33_20
; %bb.9:
	s_cmp_lg_u32 s28, 0
	s_mov_b32 s8, 0
	s_cbranch_scc0 .LBB33_23
; %bb.10:
	s_min_u32 s1, s29, 15
	s_delay_alu instid0(SALU_CYCLE_1)
	s_add_co_i32 s1, s1, 1
	s_cmp_eq_u32 s29, 2
	s_cbranch_scc1 .LBB33_24
; %bb.11:
	v_dual_mov_b32 v2, 0 :: v_dual_mov_b32 v3, 0
	v_mov_b32_e32 v1, v0
	s_and_b32 s0, s1, 28
	s_add_nc_u64 s[4:5], s[2:3], 0xc4
	s_mov_b32 s9, 0
	s_mov_b64 s[6:7], s[2:3]
.LBB33_12:                              ; =>This Inner Loop Header: Depth=1
	s_clause 0x1
	s_load_b256 s[12:19], s[6:7], 0x4
	s_load_b128 s[36:39], s[6:7], 0x24
	s_load_b256 s[20:27], s[4:5], 0x0
	s_add_co_i32 s9, s9, 4
	s_wait_xcnt 0x0
	s_add_nc_u64 s[6:7], s[6:7], 48
	s_cmp_lg_u32 s0, s9
	s_add_nc_u64 s[4:5], s[4:5], 32
	s_wait_kmcnt 0x0
	v_mul_hi_u32 v4, s13, v1
	s_delay_alu instid0(VALU_DEP_1) | instskip(NEXT) | instid1(VALU_DEP_1)
	v_add_nc_u32_e32 v4, v1, v4
	v_lshrrev_b32_e32 v4, s14, v4
	s_delay_alu instid0(VALU_DEP_1) | instskip(NEXT) | instid1(VALU_DEP_1)
	v_mul_hi_u32 v5, s16, v4
	v_add_nc_u32_e32 v5, v4, v5
	s_delay_alu instid0(VALU_DEP_1) | instskip(NEXT) | instid1(VALU_DEP_1)
	v_lshrrev_b32_e32 v5, s17, v5
	v_mul_hi_u32 v6, s19, v5
	s_delay_alu instid0(VALU_DEP_1) | instskip(SKIP_1) | instid1(VALU_DEP_1)
	v_add_nc_u32_e32 v6, v5, v6
	v_mul_lo_u32 v7, v4, s12
	v_sub_nc_u32_e32 v1, v1, v7
	v_mul_lo_u32 v7, v5, s15
	s_delay_alu instid0(VALU_DEP_4) | instskip(NEXT) | instid1(VALU_DEP_3)
	v_lshrrev_b32_e32 v6, s36, v6
	v_mad_u32 v3, v1, s21, v3
	v_mad_u32 v1, v1, s20, v2
	s_delay_alu instid0(VALU_DEP_4) | instskip(NEXT) | instid1(VALU_DEP_4)
	v_sub_nc_u32_e32 v2, v4, v7
	v_mul_hi_u32 v8, s38, v6
	v_mul_lo_u32 v4, v6, s18
	s_delay_alu instid0(VALU_DEP_3) | instskip(SKIP_1) | instid1(VALU_DEP_4)
	v_mad_u32 v3, v2, s23, v3
	v_mad_u32 v2, v2, s22, v1
	v_add_nc_u32_e32 v7, v6, v8
	s_delay_alu instid0(VALU_DEP_1) | instskip(NEXT) | instid1(VALU_DEP_1)
	v_dual_sub_nc_u32 v4, v5, v4 :: v_dual_lshrrev_b32 v1, s39, v7
	v_mad_u32 v3, v4, s25, v3
	s_delay_alu instid0(VALU_DEP_4) | instskip(NEXT) | instid1(VALU_DEP_3)
	v_mad_u32 v2, v4, s24, v2
	v_mul_lo_u32 v5, v1, s37
	s_delay_alu instid0(VALU_DEP_1) | instskip(NEXT) | instid1(VALU_DEP_1)
	v_sub_nc_u32_e32 v4, v6, v5
	v_mad_u32 v3, v4, s27, v3
	s_delay_alu instid0(VALU_DEP_4)
	v_mad_u32 v2, v4, s26, v2
	s_cbranch_scc1 .LBB33_12
; %bb.13:
	s_and_b32 s6, s1, 3
	s_mov_b32 s1, 0
	s_cmp_eq_u32 s6, 0
	s_cbranch_scc0 .LBB33_25
	s_branch .LBB33_27
.LBB33_14:
	s_or_b32 exec_lo, exec_lo, s9
	s_delay_alu instid0(SALU_CYCLE_1)
	s_mov_b32 s9, exec_lo
	v_cmpx_gt_i32_e64 s34, v0
	s_cbranch_execz .LBB33_175
.LBB33_15:
	s_and_not1_b32 vcc_lo, exec_lo, s30
	s_cbranch_vccnz .LBB33_22
; %bb.16:
	s_and_not1_b32 vcc_lo, exec_lo, s36
	s_cbranch_vccnz .LBB33_162
; %bb.17:
	s_add_co_i32 s1, s35, 1
	s_cmp_eq_u32 s29, 2
	s_cbranch_scc1 .LBB33_183
; %bb.18:
	v_dual_mov_b32 v2, 0 :: v_dual_mov_b32 v3, 0
	v_mov_b32_e32 v1, v0
	s_and_b32 s0, s1, 28
	s_mov_b32 s16, 0
	s_mov_b64 s[24:25], s[2:3]
	s_mov_b64 s[26:27], s[22:23]
.LBB33_19:                              ; =>This Inner Loop Header: Depth=1
	s_clause 0x1
	s_load_b256 s[40:47], s[24:25], 0x4
	s_load_b128 s[56:59], s[24:25], 0x24
	s_load_b256 s[48:55], s[26:27], 0x0
	s_add_co_i32 s16, s16, 4
	s_wait_xcnt 0x0
	s_add_nc_u64 s[24:25], s[24:25], 48
	s_cmp_eq_u32 s0, s16
	s_add_nc_u64 s[26:27], s[26:27], 32
	s_wait_kmcnt 0x0
	v_mul_hi_u32 v4, s41, v1
	s_delay_alu instid0(VALU_DEP_1) | instskip(NEXT) | instid1(VALU_DEP_1)
	v_add_nc_u32_e32 v4, v1, v4
	v_lshrrev_b32_e32 v4, s42, v4
	s_delay_alu instid0(VALU_DEP_1) | instskip(NEXT) | instid1(VALU_DEP_1)
	v_mul_hi_u32 v5, s44, v4
	v_add_nc_u32_e32 v5, v4, v5
	s_delay_alu instid0(VALU_DEP_1) | instskip(NEXT) | instid1(VALU_DEP_1)
	v_lshrrev_b32_e32 v5, s45, v5
	v_mul_hi_u32 v6, s47, v5
	s_delay_alu instid0(VALU_DEP_1) | instskip(SKIP_1) | instid1(VALU_DEP_1)
	v_add_nc_u32_e32 v6, v5, v6
	v_mul_lo_u32 v7, v4, s40
	v_sub_nc_u32_e32 v1, v1, v7
	v_mul_lo_u32 v7, v5, s43
	s_delay_alu instid0(VALU_DEP_4) | instskip(NEXT) | instid1(VALU_DEP_3)
	v_lshrrev_b32_e32 v6, s56, v6
	v_mad_u32 v3, v1, s49, v3
	v_mad_u32 v1, v1, s48, v2
	s_delay_alu instid0(VALU_DEP_4) | instskip(NEXT) | instid1(VALU_DEP_4)
	v_sub_nc_u32_e32 v2, v4, v7
	v_mul_hi_u32 v8, s58, v6
	v_mul_lo_u32 v4, v6, s46
	s_delay_alu instid0(VALU_DEP_3) | instskip(SKIP_1) | instid1(VALU_DEP_4)
	v_mad_u32 v3, v2, s51, v3
	v_mad_u32 v2, v2, s50, v1
	v_add_nc_u32_e32 v7, v6, v8
	s_delay_alu instid0(VALU_DEP_1) | instskip(NEXT) | instid1(VALU_DEP_1)
	v_dual_sub_nc_u32 v4, v5, v4 :: v_dual_lshrrev_b32 v1, s59, v7
	v_mad_u32 v3, v4, s53, v3
	s_delay_alu instid0(VALU_DEP_4) | instskip(NEXT) | instid1(VALU_DEP_3)
	v_mad_u32 v2, v4, s52, v2
	v_mul_lo_u32 v5, v1, s57
	s_delay_alu instid0(VALU_DEP_1) | instskip(NEXT) | instid1(VALU_DEP_1)
	v_sub_nc_u32_e32 v4, v6, v5
	v_mad_u32 v3, v4, s55, v3
	s_delay_alu instid0(VALU_DEP_4)
	v_mad_u32 v2, v4, s54, v2
	s_cbranch_scc0 .LBB33_19
	s_branch .LBB33_184
.LBB33_20:
	s_mov_b32 s8, -1
                                        ; implicit-def: $vgpr3
	s_branch .LBB33_27
.LBB33_21:
                                        ; implicit-def: $vgpr3
	s_branch .LBB33_168
.LBB33_22:
                                        ; implicit-def: $vgpr3
	s_branch .LBB33_188
.LBB33_23:
	v_dual_mov_b32 v3, 0 :: v_dual_mov_b32 v2, 0
	s_branch .LBB33_27
.LBB33_24:
	v_mov_b64_e32 v[2:3], 0
	v_mov_b32_e32 v1, v0
	s_mov_b32 s0, 0
	s_and_b32 s6, s1, 3
	s_mov_b32 s1, 0
	s_cmp_eq_u32 s6, 0
	s_cbranch_scc1 .LBB33_27
.LBB33_25:
	s_lshl_b32 s4, s0, 3
	s_mov_b32 s5, s1
	s_mul_u64 s[10:11], s[0:1], 12
	s_add_nc_u64 s[4:5], s[2:3], s[4:5]
	s_delay_alu instid0(SALU_CYCLE_1)
	s_add_nc_u64 s[0:1], s[4:5], 0xc4
	s_add_nc_u64 s[4:5], s[2:3], s[10:11]
.LBB33_26:                              ; =>This Inner Loop Header: Depth=1
	s_load_b96 s[12:14], s[4:5], 0x4
	s_load_b64 s[10:11], s[0:1], 0x0
	s_add_co_i32 s6, s6, -1
	s_wait_xcnt 0x0
	s_add_nc_u64 s[4:5], s[4:5], 12
	s_cmp_lg_u32 s6, 0
	s_add_nc_u64 s[0:1], s[0:1], 8
	s_wait_kmcnt 0x0
	v_mul_hi_u32 v4, s13, v1
	s_delay_alu instid0(VALU_DEP_1) | instskip(NEXT) | instid1(VALU_DEP_1)
	v_add_nc_u32_e32 v4, v1, v4
	v_lshrrev_b32_e32 v4, s14, v4
	s_delay_alu instid0(VALU_DEP_1) | instskip(NEXT) | instid1(VALU_DEP_1)
	v_mul_lo_u32 v5, v4, s12
	v_sub_nc_u32_e32 v1, v1, v5
	s_delay_alu instid0(VALU_DEP_1)
	v_mad_u32 v3, v1, s11, v3
	v_mad_u32 v2, v1, s10, v2
	v_mov_b32_e32 v1, v4
	s_cbranch_scc1 .LBB33_26
.LBB33_27:
	s_and_not1_b32 vcc_lo, exec_lo, s8
	s_cbranch_vccnz .LBB33_30
; %bb.28:
	s_clause 0x1
	s_load_b96 s[4:6], s[2:3], 0x4
	s_load_b64 s[0:1], s[2:3], 0xc4
	s_cmp_lt_u32 s28, 2
	s_wait_kmcnt 0x0
	v_mul_hi_u32 v1, s5, v0
	s_delay_alu instid0(VALU_DEP_1) | instskip(NEXT) | instid1(VALU_DEP_1)
	v_add_nc_u32_e32 v1, v0, v1
	v_lshrrev_b32_e32 v1, s6, v1
	s_delay_alu instid0(VALU_DEP_1) | instskip(NEXT) | instid1(VALU_DEP_1)
	v_mul_lo_u32 v2, v1, s4
	v_sub_nc_u32_e32 v2, v0, v2
	s_delay_alu instid0(VALU_DEP_1)
	v_mul_lo_u32 v3, v2, s1
	v_mul_lo_u32 v2, v2, s0
	s_cbranch_scc1 .LBB33_30
; %bb.29:
	s_clause 0x1
	s_load_b96 s[4:6], s[2:3], 0x10
	s_load_b64 s[0:1], s[2:3], 0xcc
	s_wait_kmcnt 0x0
	v_mul_hi_u32 v4, s5, v1
	s_delay_alu instid0(VALU_DEP_1) | instskip(NEXT) | instid1(VALU_DEP_1)
	v_add_nc_u32_e32 v4, v1, v4
	v_lshrrev_b32_e32 v4, s6, v4
	s_delay_alu instid0(VALU_DEP_1) | instskip(NEXT) | instid1(VALU_DEP_1)
	v_mul_lo_u32 v4, v4, s4
	v_sub_nc_u32_e32 v1, v1, v4
	s_delay_alu instid0(VALU_DEP_1)
	v_mad_u32 v2, v1, s0, v2
	v_mad_u32 v3, v1, s1, v3
.LBB33_30:
	v_cmp_ne_u32_e32 vcc_lo, 1, v14
	v_add_nc_u32_e32 v1, 0x80, v0
	s_cbranch_vccnz .LBB33_36
; %bb.31:
	s_cmp_lg_u32 s28, 0
	s_mov_b32 s8, 0
	s_cbranch_scc0 .LBB33_37
; %bb.32:
	s_min_u32 s1, s29, 15
	s_delay_alu instid0(SALU_CYCLE_1)
	s_add_co_i32 s1, s1, 1
	s_cmp_eq_u32 s29, 2
	s_cbranch_scc1 .LBB33_38
; %bb.33:
	v_dual_mov_b32 v4, 0 :: v_dual_mov_b32 v5, 0
	v_mov_b32_e32 v6, v1
	s_and_b32 s0, s1, 28
	s_add_nc_u64 s[4:5], s[2:3], 0xc4
	s_mov_b32 s9, 0
	s_mov_b64 s[6:7], s[2:3]
.LBB33_34:                              ; =>This Inner Loop Header: Depth=1
	s_clause 0x1
	s_load_b256 s[12:19], s[6:7], 0x4
	s_load_b128 s[36:39], s[6:7], 0x24
	s_load_b256 s[20:27], s[4:5], 0x0
	s_add_co_i32 s9, s9, 4
	s_wait_xcnt 0x0
	s_add_nc_u64 s[6:7], s[6:7], 48
	s_cmp_lg_u32 s0, s9
	s_add_nc_u64 s[4:5], s[4:5], 32
	s_wait_kmcnt 0x0
	v_mul_hi_u32 v7, s13, v6
	s_delay_alu instid0(VALU_DEP_1) | instskip(NEXT) | instid1(VALU_DEP_1)
	v_add_nc_u32_e32 v7, v6, v7
	v_lshrrev_b32_e32 v7, s14, v7
	s_delay_alu instid0(VALU_DEP_1) | instskip(NEXT) | instid1(VALU_DEP_1)
	v_mul_hi_u32 v8, s16, v7
	v_add_nc_u32_e32 v8, v7, v8
	s_delay_alu instid0(VALU_DEP_1) | instskip(NEXT) | instid1(VALU_DEP_1)
	v_lshrrev_b32_e32 v8, s17, v8
	v_mul_hi_u32 v9, s19, v8
	s_delay_alu instid0(VALU_DEP_1) | instskip(SKIP_1) | instid1(VALU_DEP_1)
	v_add_nc_u32_e32 v9, v8, v9
	v_mul_lo_u32 v10, v7, s12
	v_sub_nc_u32_e32 v6, v6, v10
	v_mul_lo_u32 v10, v8, s15
	s_delay_alu instid0(VALU_DEP_4) | instskip(NEXT) | instid1(VALU_DEP_3)
	v_lshrrev_b32_e32 v9, s36, v9
	v_mad_u32 v5, v6, s21, v5
	v_mad_u32 v4, v6, s20, v4
	s_delay_alu instid0(VALU_DEP_4) | instskip(NEXT) | instid1(VALU_DEP_4)
	v_sub_nc_u32_e32 v6, v7, v10
	v_mul_hi_u32 v11, s38, v9
	v_mul_lo_u32 v7, v9, s18
	s_delay_alu instid0(VALU_DEP_3) | instskip(SKIP_1) | instid1(VALU_DEP_4)
	v_mad_u32 v5, v6, s23, v5
	v_mad_u32 v4, v6, s22, v4
	v_add_nc_u32_e32 v10, v9, v11
	s_delay_alu instid0(VALU_DEP_1) | instskip(NEXT) | instid1(VALU_DEP_1)
	v_dual_sub_nc_u32 v7, v8, v7 :: v_dual_lshrrev_b32 v6, s39, v10
	v_mad_u32 v5, v7, s25, v5
	s_delay_alu instid0(VALU_DEP_4) | instskip(NEXT) | instid1(VALU_DEP_3)
	v_mad_u32 v4, v7, s24, v4
	v_mul_lo_u32 v8, v6, s37
	s_delay_alu instid0(VALU_DEP_1) | instskip(NEXT) | instid1(VALU_DEP_1)
	v_sub_nc_u32_e32 v7, v9, v8
	v_mad_u32 v5, v7, s27, v5
	s_delay_alu instid0(VALU_DEP_4)
	v_mad_u32 v4, v7, s26, v4
	s_cbranch_scc1 .LBB33_34
; %bb.35:
	s_and_b32 s6, s1, 3
	s_mov_b32 s1, 0
	s_cmp_eq_u32 s6, 0
	s_cbranch_scc0 .LBB33_39
	s_branch .LBB33_41
.LBB33_36:
	s_mov_b32 s8, -1
                                        ; implicit-def: $vgpr5
	s_branch .LBB33_41
.LBB33_37:
	v_dual_mov_b32 v5, 0 :: v_dual_mov_b32 v4, 0
	s_branch .LBB33_41
.LBB33_38:
	v_mov_b64_e32 v[4:5], 0
	v_mov_b32_e32 v6, v1
	s_mov_b32 s0, 0
	s_and_b32 s6, s1, 3
	s_mov_b32 s1, 0
	s_cmp_eq_u32 s6, 0
	s_cbranch_scc1 .LBB33_41
.LBB33_39:
	s_lshl_b32 s4, s0, 3
	s_mov_b32 s5, s1
	s_mul_u64 s[10:11], s[0:1], 12
	s_add_nc_u64 s[4:5], s[2:3], s[4:5]
	s_delay_alu instid0(SALU_CYCLE_1)
	s_add_nc_u64 s[0:1], s[4:5], 0xc4
	s_add_nc_u64 s[4:5], s[2:3], s[10:11]
.LBB33_40:                              ; =>This Inner Loop Header: Depth=1
	s_load_b96 s[12:14], s[4:5], 0x4
	s_load_b64 s[10:11], s[0:1], 0x0
	s_add_co_i32 s6, s6, -1
	s_wait_xcnt 0x0
	s_add_nc_u64 s[4:5], s[4:5], 12
	s_cmp_lg_u32 s6, 0
	s_add_nc_u64 s[0:1], s[0:1], 8
	s_wait_kmcnt 0x0
	v_mul_hi_u32 v7, s13, v6
	s_delay_alu instid0(VALU_DEP_1) | instskip(NEXT) | instid1(VALU_DEP_1)
	v_add_nc_u32_e32 v7, v6, v7
	v_lshrrev_b32_e32 v7, s14, v7
	s_delay_alu instid0(VALU_DEP_1) | instskip(NEXT) | instid1(VALU_DEP_1)
	v_mul_lo_u32 v8, v7, s12
	v_sub_nc_u32_e32 v6, v6, v8
	s_delay_alu instid0(VALU_DEP_1)
	v_mad_u32 v5, v6, s11, v5
	v_mad_u32 v4, v6, s10, v4
	v_mov_b32_e32 v6, v7
	s_cbranch_scc1 .LBB33_40
.LBB33_41:
	s_and_not1_b32 vcc_lo, exec_lo, s8
	s_cbranch_vccnz .LBB33_44
; %bb.42:
	s_clause 0x1
	s_load_b96 s[4:6], s[2:3], 0x4
	s_load_b64 s[0:1], s[2:3], 0xc4
	s_cmp_lt_u32 s28, 2
	s_wait_kmcnt 0x0
	v_mul_hi_u32 v4, s5, v1
	s_delay_alu instid0(VALU_DEP_1) | instskip(NEXT) | instid1(VALU_DEP_1)
	v_add_nc_u32_e32 v4, v1, v4
	v_lshrrev_b32_e32 v6, s6, v4
	s_delay_alu instid0(VALU_DEP_1) | instskip(NEXT) | instid1(VALU_DEP_1)
	v_mul_lo_u32 v4, v6, s4
	v_sub_nc_u32_e32 v1, v1, v4
	s_delay_alu instid0(VALU_DEP_1)
	v_mul_lo_u32 v5, v1, s1
	v_mul_lo_u32 v4, v1, s0
	s_cbranch_scc1 .LBB33_44
; %bb.43:
	s_clause 0x1
	s_load_b96 s[4:6], s[2:3], 0x10
	s_load_b64 s[0:1], s[2:3], 0xcc
	s_wait_kmcnt 0x0
	v_mul_hi_u32 v1, s5, v6
	s_delay_alu instid0(VALU_DEP_1) | instskip(NEXT) | instid1(VALU_DEP_1)
	v_add_nc_u32_e32 v1, v6, v1
	v_lshrrev_b32_e32 v1, s6, v1
	s_delay_alu instid0(VALU_DEP_1) | instskip(NEXT) | instid1(VALU_DEP_1)
	v_mul_lo_u32 v1, v1, s4
	v_sub_nc_u32_e32 v1, v6, v1
	s_delay_alu instid0(VALU_DEP_1)
	v_mad_u32 v4, v1, s0, v4
	v_mad_u32 v5, v1, s1, v5
.LBB33_44:
	v_cmp_ne_u32_e32 vcc_lo, 1, v14
	v_add_nc_u32_e32 v1, 0x100, v0
	s_cbranch_vccnz .LBB33_50
; %bb.45:
	s_cmp_lg_u32 s28, 0
	s_mov_b32 s8, 0
	s_cbranch_scc0 .LBB33_51
; %bb.46:
	s_min_u32 s1, s29, 15
	s_delay_alu instid0(SALU_CYCLE_1)
	s_add_co_i32 s1, s1, 1
	s_cmp_eq_u32 s29, 2
	s_cbranch_scc1 .LBB33_52
; %bb.47:
	v_dual_mov_b32 v6, 0 :: v_dual_mov_b32 v7, 0
	v_mov_b32_e32 v8, v1
	s_and_b32 s0, s1, 28
	s_add_nc_u64 s[4:5], s[2:3], 0xc4
	s_mov_b32 s9, 0
	s_mov_b64 s[6:7], s[2:3]
.LBB33_48:                              ; =>This Inner Loop Header: Depth=1
	s_clause 0x1
	s_load_b256 s[12:19], s[6:7], 0x4
	s_load_b128 s[36:39], s[6:7], 0x24
	s_load_b256 s[20:27], s[4:5], 0x0
	s_add_co_i32 s9, s9, 4
	s_wait_xcnt 0x0
	s_add_nc_u64 s[6:7], s[6:7], 48
	s_cmp_lg_u32 s0, s9
	s_add_nc_u64 s[4:5], s[4:5], 32
	s_wait_kmcnt 0x0
	v_mul_hi_u32 v9, s13, v8
	s_delay_alu instid0(VALU_DEP_1) | instskip(NEXT) | instid1(VALU_DEP_1)
	v_add_nc_u32_e32 v9, v8, v9
	v_lshrrev_b32_e32 v9, s14, v9
	s_delay_alu instid0(VALU_DEP_1) | instskip(NEXT) | instid1(VALU_DEP_1)
	v_mul_hi_u32 v10, s16, v9
	v_add_nc_u32_e32 v10, v9, v10
	s_delay_alu instid0(VALU_DEP_1) | instskip(NEXT) | instid1(VALU_DEP_1)
	v_lshrrev_b32_e32 v10, s17, v10
	v_mul_hi_u32 v11, s19, v10
	s_delay_alu instid0(VALU_DEP_1) | instskip(SKIP_1) | instid1(VALU_DEP_1)
	v_add_nc_u32_e32 v11, v10, v11
	v_mul_lo_u32 v12, v9, s12
	v_sub_nc_u32_e32 v8, v8, v12
	v_mul_lo_u32 v12, v10, s15
	s_delay_alu instid0(VALU_DEP_4) | instskip(NEXT) | instid1(VALU_DEP_3)
	v_lshrrev_b32_e32 v11, s36, v11
	v_mad_u32 v7, v8, s21, v7
	v_mad_u32 v6, v8, s20, v6
	s_delay_alu instid0(VALU_DEP_4) | instskip(NEXT) | instid1(VALU_DEP_4)
	v_sub_nc_u32_e32 v8, v9, v12
	v_mul_hi_u32 v13, s38, v11
	v_mul_lo_u32 v9, v11, s18
	s_delay_alu instid0(VALU_DEP_3) | instskip(SKIP_1) | instid1(VALU_DEP_4)
	v_mad_u32 v7, v8, s23, v7
	v_mad_u32 v6, v8, s22, v6
	v_add_nc_u32_e32 v12, v11, v13
	s_delay_alu instid0(VALU_DEP_1) | instskip(NEXT) | instid1(VALU_DEP_1)
	v_dual_sub_nc_u32 v9, v10, v9 :: v_dual_lshrrev_b32 v8, s39, v12
	v_mad_u32 v7, v9, s25, v7
	s_delay_alu instid0(VALU_DEP_4) | instskip(NEXT) | instid1(VALU_DEP_3)
	v_mad_u32 v6, v9, s24, v6
	v_mul_lo_u32 v10, v8, s37
	s_delay_alu instid0(VALU_DEP_1) | instskip(NEXT) | instid1(VALU_DEP_1)
	v_sub_nc_u32_e32 v9, v11, v10
	v_mad_u32 v7, v9, s27, v7
	s_delay_alu instid0(VALU_DEP_4)
	v_mad_u32 v6, v9, s26, v6
	s_cbranch_scc1 .LBB33_48
; %bb.49:
	s_and_b32 s6, s1, 3
	s_mov_b32 s1, 0
	s_cmp_eq_u32 s6, 0
	s_cbranch_scc0 .LBB33_53
	s_branch .LBB33_55
.LBB33_50:
	s_mov_b32 s8, -1
                                        ; implicit-def: $vgpr7
	s_branch .LBB33_55
.LBB33_51:
	v_dual_mov_b32 v7, 0 :: v_dual_mov_b32 v6, 0
	s_branch .LBB33_55
.LBB33_52:
	v_mov_b64_e32 v[6:7], 0
	v_mov_b32_e32 v8, v1
	s_mov_b32 s0, 0
	s_and_b32 s6, s1, 3
	s_mov_b32 s1, 0
	s_cmp_eq_u32 s6, 0
	s_cbranch_scc1 .LBB33_55
.LBB33_53:
	s_lshl_b32 s4, s0, 3
	s_mov_b32 s5, s1
	s_mul_u64 s[10:11], s[0:1], 12
	s_add_nc_u64 s[4:5], s[2:3], s[4:5]
	s_delay_alu instid0(SALU_CYCLE_1)
	s_add_nc_u64 s[0:1], s[4:5], 0xc4
	s_add_nc_u64 s[4:5], s[2:3], s[10:11]
.LBB33_54:                              ; =>This Inner Loop Header: Depth=1
	s_load_b96 s[12:14], s[4:5], 0x4
	s_load_b64 s[10:11], s[0:1], 0x0
	s_add_co_i32 s6, s6, -1
	s_wait_xcnt 0x0
	s_add_nc_u64 s[4:5], s[4:5], 12
	s_cmp_lg_u32 s6, 0
	s_add_nc_u64 s[0:1], s[0:1], 8
	s_wait_kmcnt 0x0
	v_mul_hi_u32 v9, s13, v8
	s_delay_alu instid0(VALU_DEP_1) | instskip(NEXT) | instid1(VALU_DEP_1)
	v_add_nc_u32_e32 v9, v8, v9
	v_lshrrev_b32_e32 v9, s14, v9
	s_delay_alu instid0(VALU_DEP_1) | instskip(NEXT) | instid1(VALU_DEP_1)
	v_mul_lo_u32 v10, v9, s12
	v_sub_nc_u32_e32 v8, v8, v10
	s_delay_alu instid0(VALU_DEP_1)
	v_mad_u32 v7, v8, s11, v7
	v_mad_u32 v6, v8, s10, v6
	v_mov_b32_e32 v8, v9
	s_cbranch_scc1 .LBB33_54
.LBB33_55:
	s_and_not1_b32 vcc_lo, exec_lo, s8
	s_cbranch_vccnz .LBB33_58
; %bb.56:
	s_clause 0x1
	s_load_b96 s[4:6], s[2:3], 0x4
	s_load_b64 s[0:1], s[2:3], 0xc4
	s_cmp_lt_u32 s28, 2
	s_wait_kmcnt 0x0
	v_mul_hi_u32 v6, s5, v1
	s_delay_alu instid0(VALU_DEP_1) | instskip(NEXT) | instid1(VALU_DEP_1)
	v_add_nc_u32_e32 v6, v1, v6
	v_lshrrev_b32_e32 v8, s6, v6
	s_delay_alu instid0(VALU_DEP_1) | instskip(NEXT) | instid1(VALU_DEP_1)
	v_mul_lo_u32 v6, v8, s4
	v_sub_nc_u32_e32 v1, v1, v6
	s_delay_alu instid0(VALU_DEP_1)
	v_mul_lo_u32 v7, v1, s1
	v_mul_lo_u32 v6, v1, s0
	s_cbranch_scc1 .LBB33_58
; %bb.57:
	s_clause 0x1
	s_load_b96 s[4:6], s[2:3], 0x10
	s_load_b64 s[0:1], s[2:3], 0xcc
	s_wait_kmcnt 0x0
	v_mul_hi_u32 v1, s5, v8
	s_delay_alu instid0(VALU_DEP_1) | instskip(NEXT) | instid1(VALU_DEP_1)
	v_add_nc_u32_e32 v1, v8, v1
	v_lshrrev_b32_e32 v1, s6, v1
	s_delay_alu instid0(VALU_DEP_1) | instskip(NEXT) | instid1(VALU_DEP_1)
	v_mul_lo_u32 v1, v1, s4
	v_sub_nc_u32_e32 v1, v8, v1
	s_delay_alu instid0(VALU_DEP_1)
	v_mad_u32 v6, v1, s0, v6
	v_mad_u32 v7, v1, s1, v7
.LBB33_58:
	v_cmp_ne_u32_e32 vcc_lo, 1, v14
	v_add_nc_u32_e32 v1, 0x180, v0
	s_cbranch_vccnz .LBB33_64
; %bb.59:
	s_cmp_lg_u32 s28, 0
	s_mov_b32 s8, 0
	s_cbranch_scc0 .LBB33_65
; %bb.60:
	s_min_u32 s1, s29, 15
	s_delay_alu instid0(SALU_CYCLE_1)
	s_add_co_i32 s1, s1, 1
	s_cmp_eq_u32 s29, 2
	s_cbranch_scc1 .LBB33_66
; %bb.61:
	v_dual_mov_b32 v8, 0 :: v_dual_mov_b32 v9, 0
	v_mov_b32_e32 v10, v1
	s_and_b32 s0, s1, 28
	s_add_nc_u64 s[4:5], s[2:3], 0xc4
	s_mov_b32 s9, 0
	s_mov_b64 s[6:7], s[2:3]
.LBB33_62:                              ; =>This Inner Loop Header: Depth=1
	s_clause 0x1
	s_load_b256 s[12:19], s[6:7], 0x4
	s_load_b128 s[36:39], s[6:7], 0x24
	s_load_b256 s[20:27], s[4:5], 0x0
	s_add_co_i32 s9, s9, 4
	s_wait_xcnt 0x0
	s_add_nc_u64 s[6:7], s[6:7], 48
	s_cmp_lg_u32 s0, s9
	s_add_nc_u64 s[4:5], s[4:5], 32
	s_wait_kmcnt 0x0
	v_mul_hi_u32 v11, s13, v10
	s_delay_alu instid0(VALU_DEP_1) | instskip(NEXT) | instid1(VALU_DEP_1)
	v_add_nc_u32_e32 v11, v10, v11
	v_lshrrev_b32_e32 v11, s14, v11
	s_delay_alu instid0(VALU_DEP_1) | instskip(NEXT) | instid1(VALU_DEP_1)
	v_mul_hi_u32 v12, s16, v11
	v_add_nc_u32_e32 v12, v11, v12
	s_delay_alu instid0(VALU_DEP_1) | instskip(NEXT) | instid1(VALU_DEP_1)
	v_lshrrev_b32_e32 v12, s17, v12
	v_mul_hi_u32 v13, s19, v12
	s_delay_alu instid0(VALU_DEP_1) | instskip(SKIP_1) | instid1(VALU_DEP_1)
	v_add_nc_u32_e32 v13, v12, v13
	v_mul_lo_u32 v15, v11, s12
	v_sub_nc_u32_e32 v10, v10, v15
	v_mul_lo_u32 v15, v12, s15
	s_delay_alu instid0(VALU_DEP_4) | instskip(NEXT) | instid1(VALU_DEP_3)
	v_lshrrev_b32_e32 v13, s36, v13
	v_mad_u32 v9, v10, s21, v9
	v_mad_u32 v8, v10, s20, v8
	s_delay_alu instid0(VALU_DEP_4) | instskip(NEXT) | instid1(VALU_DEP_4)
	v_sub_nc_u32_e32 v10, v11, v15
	v_mul_hi_u32 v17, s38, v13
	v_mul_lo_u32 v11, v13, s18
	s_delay_alu instid0(VALU_DEP_3) | instskip(SKIP_1) | instid1(VALU_DEP_3)
	v_mad_u32 v9, v10, s23, v9
	v_mad_u32 v8, v10, s22, v8
	v_dual_add_nc_u32 v15, v13, v17 :: v_dual_sub_nc_u32 v11, v12, v11
	s_delay_alu instid0(VALU_DEP_1) | instskip(NEXT) | instid1(VALU_DEP_2)
	v_lshrrev_b32_e32 v10, s39, v15
	v_mad_u32 v9, v11, s25, v9
	s_delay_alu instid0(VALU_DEP_4) | instskip(NEXT) | instid1(VALU_DEP_3)
	v_mad_u32 v8, v11, s24, v8
	v_mul_lo_u32 v12, v10, s37
	s_delay_alu instid0(VALU_DEP_1) | instskip(NEXT) | instid1(VALU_DEP_1)
	v_sub_nc_u32_e32 v11, v13, v12
	v_mad_u32 v9, v11, s27, v9
	s_delay_alu instid0(VALU_DEP_4)
	v_mad_u32 v8, v11, s26, v8
	s_cbranch_scc1 .LBB33_62
; %bb.63:
	s_and_b32 s6, s1, 3
	s_mov_b32 s1, 0
	s_cmp_eq_u32 s6, 0
	s_cbranch_scc0 .LBB33_67
	s_branch .LBB33_69
.LBB33_64:
	s_mov_b32 s8, -1
                                        ; implicit-def: $vgpr9
	s_branch .LBB33_69
.LBB33_65:
	v_dual_mov_b32 v9, 0 :: v_dual_mov_b32 v8, 0
	s_branch .LBB33_69
.LBB33_66:
	v_mov_b64_e32 v[8:9], 0
	v_mov_b32_e32 v10, v1
	s_mov_b32 s0, 0
	s_and_b32 s6, s1, 3
	s_mov_b32 s1, 0
	s_cmp_eq_u32 s6, 0
	s_cbranch_scc1 .LBB33_69
.LBB33_67:
	s_lshl_b32 s4, s0, 3
	s_mov_b32 s5, s1
	s_mul_u64 s[10:11], s[0:1], 12
	s_add_nc_u64 s[4:5], s[2:3], s[4:5]
	s_delay_alu instid0(SALU_CYCLE_1)
	s_add_nc_u64 s[0:1], s[4:5], 0xc4
	s_add_nc_u64 s[4:5], s[2:3], s[10:11]
.LBB33_68:                              ; =>This Inner Loop Header: Depth=1
	s_load_b96 s[12:14], s[4:5], 0x4
	s_load_b64 s[10:11], s[0:1], 0x0
	s_add_co_i32 s6, s6, -1
	s_wait_xcnt 0x0
	s_add_nc_u64 s[4:5], s[4:5], 12
	s_cmp_lg_u32 s6, 0
	s_add_nc_u64 s[0:1], s[0:1], 8
	s_wait_kmcnt 0x0
	v_mul_hi_u32 v11, s13, v10
	s_delay_alu instid0(VALU_DEP_1) | instskip(NEXT) | instid1(VALU_DEP_1)
	v_add_nc_u32_e32 v11, v10, v11
	v_lshrrev_b32_e32 v11, s14, v11
	s_delay_alu instid0(VALU_DEP_1) | instskip(NEXT) | instid1(VALU_DEP_1)
	v_mul_lo_u32 v12, v11, s12
	v_sub_nc_u32_e32 v10, v10, v12
	s_delay_alu instid0(VALU_DEP_1)
	v_mad_u32 v9, v10, s11, v9
	v_mad_u32 v8, v10, s10, v8
	v_mov_b32_e32 v10, v11
	s_cbranch_scc1 .LBB33_68
.LBB33_69:
	s_and_not1_b32 vcc_lo, exec_lo, s8
	s_cbranch_vccnz .LBB33_72
; %bb.70:
	s_clause 0x1
	s_load_b96 s[4:6], s[2:3], 0x4
	s_load_b64 s[0:1], s[2:3], 0xc4
	s_cmp_lt_u32 s28, 2
	s_wait_kmcnt 0x0
	v_mul_hi_u32 v8, s5, v1
	s_delay_alu instid0(VALU_DEP_1) | instskip(NEXT) | instid1(VALU_DEP_1)
	v_add_nc_u32_e32 v8, v1, v8
	v_lshrrev_b32_e32 v10, s6, v8
	s_delay_alu instid0(VALU_DEP_1) | instskip(NEXT) | instid1(VALU_DEP_1)
	v_mul_lo_u32 v8, v10, s4
	v_sub_nc_u32_e32 v1, v1, v8
	s_delay_alu instid0(VALU_DEP_1)
	v_mul_lo_u32 v9, v1, s1
	v_mul_lo_u32 v8, v1, s0
	s_cbranch_scc1 .LBB33_72
; %bb.71:
	s_clause 0x1
	s_load_b96 s[4:6], s[2:3], 0x10
	s_load_b64 s[0:1], s[2:3], 0xcc
	s_wait_kmcnt 0x0
	v_mul_hi_u32 v1, s5, v10
	s_delay_alu instid0(VALU_DEP_1) | instskip(NEXT) | instid1(VALU_DEP_1)
	v_add_nc_u32_e32 v1, v10, v1
	v_lshrrev_b32_e32 v1, s6, v1
	s_delay_alu instid0(VALU_DEP_1) | instskip(NEXT) | instid1(VALU_DEP_1)
	v_mul_lo_u32 v1, v1, s4
	v_sub_nc_u32_e32 v1, v10, v1
	s_delay_alu instid0(VALU_DEP_1)
	v_mad_u32 v8, v1, s0, v8
	v_mad_u32 v9, v1, s1, v9
.LBB33_72:
	v_cmp_ne_u32_e32 vcc_lo, 1, v14
	v_add_nc_u32_e32 v1, 0x200, v0
	s_cbranch_vccnz .LBB33_78
; %bb.73:
	s_cmp_lg_u32 s28, 0
	s_mov_b32 s8, 0
	s_cbranch_scc0 .LBB33_79
; %bb.74:
	s_min_u32 s1, s29, 15
	s_delay_alu instid0(SALU_CYCLE_1)
	s_add_co_i32 s1, s1, 1
	s_cmp_eq_u32 s29, 2
	s_cbranch_scc1 .LBB33_80
; %bb.75:
	v_dual_mov_b32 v10, 0 :: v_dual_mov_b32 v11, 0
	v_mov_b32_e32 v12, v1
	s_and_b32 s0, s1, 28
	s_add_nc_u64 s[4:5], s[2:3], 0xc4
	s_mov_b32 s9, 0
	s_mov_b64 s[6:7], s[2:3]
.LBB33_76:                              ; =>This Inner Loop Header: Depth=1
	s_clause 0x1
	s_load_b256 s[12:19], s[6:7], 0x4
	s_load_b128 s[36:39], s[6:7], 0x24
	s_load_b256 s[20:27], s[4:5], 0x0
	s_add_co_i32 s9, s9, 4
	s_wait_xcnt 0x0
	s_add_nc_u64 s[6:7], s[6:7], 48
	s_cmp_lg_u32 s0, s9
	s_add_nc_u64 s[4:5], s[4:5], 32
	s_wait_kmcnt 0x0
	v_mul_hi_u32 v13, s13, v12
	s_delay_alu instid0(VALU_DEP_1) | instskip(NEXT) | instid1(VALU_DEP_1)
	v_add_nc_u32_e32 v13, v12, v13
	v_lshrrev_b32_e32 v13, s14, v13
	s_delay_alu instid0(VALU_DEP_1) | instskip(NEXT) | instid1(VALU_DEP_1)
	v_mul_lo_u32 v18, v13, s12
	v_sub_nc_u32_e32 v12, v12, v18
	v_mul_hi_u32 v15, s16, v13
	s_delay_alu instid0(VALU_DEP_2) | instskip(SKIP_1) | instid1(VALU_DEP_3)
	v_mad_u32 v11, v12, s21, v11
	v_mad_u32 v10, v12, s20, v10
	v_add_nc_u32_e32 v15, v13, v15
	s_delay_alu instid0(VALU_DEP_1) | instskip(NEXT) | instid1(VALU_DEP_1)
	v_lshrrev_b32_e32 v15, s17, v15
	v_mul_hi_u32 v17, s19, v15
	v_mul_lo_u32 v18, v15, s15
	s_delay_alu instid0(VALU_DEP_1) | instskip(NEXT) | instid1(VALU_DEP_1)
	v_dual_add_nc_u32 v17, v15, v17 :: v_dual_sub_nc_u32 v12, v13, v18
	v_lshrrev_b32_e32 v17, s36, v17
	s_delay_alu instid0(VALU_DEP_2) | instskip(SKIP_1) | instid1(VALU_DEP_3)
	v_mad_u32 v11, v12, s23, v11
	v_mad_u32 v10, v12, s22, v10
	v_mul_hi_u32 v19, s38, v17
	v_mul_lo_u32 v13, v17, s18
	s_delay_alu instid0(VALU_DEP_1) | instskip(NEXT) | instid1(VALU_DEP_1)
	v_dual_add_nc_u32 v18, v17, v19 :: v_dual_sub_nc_u32 v13, v15, v13
	v_lshrrev_b32_e32 v12, s39, v18
	s_delay_alu instid0(VALU_DEP_2) | instskip(SKIP_1) | instid1(VALU_DEP_3)
	v_mad_u32 v11, v13, s25, v11
	v_mad_u32 v10, v13, s24, v10
	v_mul_lo_u32 v15, v12, s37
	s_delay_alu instid0(VALU_DEP_1) | instskip(NEXT) | instid1(VALU_DEP_1)
	v_sub_nc_u32_e32 v13, v17, v15
	v_mad_u32 v11, v13, s27, v11
	s_delay_alu instid0(VALU_DEP_4)
	v_mad_u32 v10, v13, s26, v10
	s_cbranch_scc1 .LBB33_76
; %bb.77:
	s_and_b32 s6, s1, 3
	s_mov_b32 s1, 0
	s_cmp_eq_u32 s6, 0
	s_cbranch_scc0 .LBB33_81
	s_branch .LBB33_83
.LBB33_78:
	s_mov_b32 s8, -1
                                        ; implicit-def: $vgpr11
	s_branch .LBB33_83
.LBB33_79:
	v_dual_mov_b32 v11, 0 :: v_dual_mov_b32 v10, 0
	s_branch .LBB33_83
.LBB33_80:
	v_mov_b64_e32 v[10:11], 0
	v_mov_b32_e32 v12, v1
	s_mov_b32 s0, 0
	s_and_b32 s6, s1, 3
	s_mov_b32 s1, 0
	s_cmp_eq_u32 s6, 0
	s_cbranch_scc1 .LBB33_83
.LBB33_81:
	s_lshl_b32 s4, s0, 3
	s_mov_b32 s5, s1
	s_mul_u64 s[10:11], s[0:1], 12
	s_add_nc_u64 s[4:5], s[2:3], s[4:5]
	s_delay_alu instid0(SALU_CYCLE_1)
	s_add_nc_u64 s[0:1], s[4:5], 0xc4
	s_add_nc_u64 s[4:5], s[2:3], s[10:11]
.LBB33_82:                              ; =>This Inner Loop Header: Depth=1
	s_load_b96 s[12:14], s[4:5], 0x4
	s_load_b64 s[10:11], s[0:1], 0x0
	s_add_co_i32 s6, s6, -1
	s_wait_xcnt 0x0
	s_add_nc_u64 s[4:5], s[4:5], 12
	s_cmp_lg_u32 s6, 0
	s_add_nc_u64 s[0:1], s[0:1], 8
	s_wait_kmcnt 0x0
	v_mul_hi_u32 v13, s13, v12
	s_delay_alu instid0(VALU_DEP_1) | instskip(NEXT) | instid1(VALU_DEP_1)
	v_add_nc_u32_e32 v13, v12, v13
	v_lshrrev_b32_e32 v13, s14, v13
	s_delay_alu instid0(VALU_DEP_1) | instskip(NEXT) | instid1(VALU_DEP_1)
	v_mul_lo_u32 v15, v13, s12
	v_sub_nc_u32_e32 v12, v12, v15
	s_delay_alu instid0(VALU_DEP_1)
	v_mad_u32 v11, v12, s11, v11
	v_mad_u32 v10, v12, s10, v10
	v_mov_b32_e32 v12, v13
	s_cbranch_scc1 .LBB33_82
.LBB33_83:
	s_and_not1_b32 vcc_lo, exec_lo, s8
	s_cbranch_vccnz .LBB33_86
; %bb.84:
	s_clause 0x1
	s_load_b96 s[4:6], s[2:3], 0x4
	s_load_b64 s[0:1], s[2:3], 0xc4
	s_cmp_lt_u32 s28, 2
	s_wait_kmcnt 0x0
	v_mul_hi_u32 v10, s5, v1
	s_delay_alu instid0(VALU_DEP_1) | instskip(NEXT) | instid1(VALU_DEP_1)
	v_add_nc_u32_e32 v10, v1, v10
	v_lshrrev_b32_e32 v12, s6, v10
	s_delay_alu instid0(VALU_DEP_1) | instskip(NEXT) | instid1(VALU_DEP_1)
	v_mul_lo_u32 v10, v12, s4
	v_sub_nc_u32_e32 v1, v1, v10
	s_delay_alu instid0(VALU_DEP_1)
	v_mul_lo_u32 v11, v1, s1
	v_mul_lo_u32 v10, v1, s0
	s_cbranch_scc1 .LBB33_86
; %bb.85:
	s_clause 0x1
	s_load_b96 s[4:6], s[2:3], 0x10
	s_load_b64 s[0:1], s[2:3], 0xcc
	s_wait_kmcnt 0x0
	v_mul_hi_u32 v1, s5, v12
	s_delay_alu instid0(VALU_DEP_1) | instskip(NEXT) | instid1(VALU_DEP_1)
	v_add_nc_u32_e32 v1, v12, v1
	v_lshrrev_b32_e32 v1, s6, v1
	s_delay_alu instid0(VALU_DEP_1) | instskip(NEXT) | instid1(VALU_DEP_1)
	v_mul_lo_u32 v1, v1, s4
	v_sub_nc_u32_e32 v1, v12, v1
	s_delay_alu instid0(VALU_DEP_1)
	v_mad_u32 v10, v1, s0, v10
	v_mad_u32 v11, v1, s1, v11
.LBB33_86:
	v_cmp_ne_u32_e32 vcc_lo, 1, v14
	v_add_nc_u32_e32 v1, 0x280, v0
	s_cbranch_vccnz .LBB33_92
; %bb.87:
	s_cmp_lg_u32 s28, 0
	s_mov_b32 s8, 0
	s_cbranch_scc0 .LBB33_93
; %bb.88:
	s_min_u32 s1, s29, 15
	s_delay_alu instid0(SALU_CYCLE_1)
	s_add_co_i32 s1, s1, 1
	s_cmp_eq_u32 s29, 2
	s_cbranch_scc1 .LBB33_94
; %bb.89:
	v_dual_mov_b32 v12, 0 :: v_dual_mov_b32 v13, 0
	v_mov_b32_e32 v15, v1
	s_and_b32 s0, s1, 28
	s_add_nc_u64 s[4:5], s[2:3], 0xc4
	s_mov_b32 s9, 0
	s_mov_b64 s[6:7], s[2:3]
.LBB33_90:                              ; =>This Inner Loop Header: Depth=1
	s_clause 0x1
	s_load_b256 s[12:19], s[6:7], 0x4
	s_load_b128 s[36:39], s[6:7], 0x24
	s_load_b256 s[20:27], s[4:5], 0x0
	s_add_co_i32 s9, s9, 4
	s_wait_xcnt 0x0
	s_add_nc_u64 s[6:7], s[6:7], 48
	s_cmp_lg_u32 s0, s9
	s_add_nc_u64 s[4:5], s[4:5], 32
	s_wait_kmcnt 0x0
	v_mul_hi_u32 v17, s13, v15
	s_delay_alu instid0(VALU_DEP_1) | instskip(NEXT) | instid1(VALU_DEP_1)
	v_add_nc_u32_e32 v17, v15, v17
	v_lshrrev_b32_e32 v17, s14, v17
	s_delay_alu instid0(VALU_DEP_1) | instskip(NEXT) | instid1(VALU_DEP_1)
	v_mul_hi_u32 v18, s16, v17
	v_add_nc_u32_e32 v18, v17, v18
	s_delay_alu instid0(VALU_DEP_1) | instskip(NEXT) | instid1(VALU_DEP_1)
	v_lshrrev_b32_e32 v18, s17, v18
	v_mul_hi_u32 v19, s19, v18
	s_delay_alu instid0(VALU_DEP_1) | instskip(SKIP_1) | instid1(VALU_DEP_1)
	v_add_nc_u32_e32 v19, v18, v19
	v_mul_lo_u32 v20, v17, s12
	v_sub_nc_u32_e32 v15, v15, v20
	v_mul_lo_u32 v20, v18, s15
	s_delay_alu instid0(VALU_DEP_4) | instskip(NEXT) | instid1(VALU_DEP_3)
	v_lshrrev_b32_e32 v19, s36, v19
	v_mad_u32 v13, v15, s21, v13
	v_mad_u32 v12, v15, s20, v12
	s_delay_alu instid0(VALU_DEP_4) | instskip(NEXT) | instid1(VALU_DEP_4)
	v_sub_nc_u32_e32 v15, v17, v20
	v_mul_hi_u32 v21, s38, v19
	v_mul_lo_u32 v17, v19, s18
	s_delay_alu instid0(VALU_DEP_3) | instskip(SKIP_1) | instid1(VALU_DEP_4)
	v_mad_u32 v13, v15, s23, v13
	v_mad_u32 v12, v15, s22, v12
	v_add_nc_u32_e32 v20, v19, v21
	s_delay_alu instid0(VALU_DEP_1) | instskip(NEXT) | instid1(VALU_DEP_1)
	v_dual_sub_nc_u32 v17, v18, v17 :: v_dual_lshrrev_b32 v15, s39, v20
	v_mad_u32 v13, v17, s25, v13
	s_delay_alu instid0(VALU_DEP_4) | instskip(NEXT) | instid1(VALU_DEP_3)
	v_mad_u32 v12, v17, s24, v12
	v_mul_lo_u32 v18, v15, s37
	s_delay_alu instid0(VALU_DEP_1) | instskip(NEXT) | instid1(VALU_DEP_1)
	v_sub_nc_u32_e32 v17, v19, v18
	v_mad_u32 v13, v17, s27, v13
	s_delay_alu instid0(VALU_DEP_4)
	v_mad_u32 v12, v17, s26, v12
	s_cbranch_scc1 .LBB33_90
; %bb.91:
	s_and_b32 s6, s1, 3
	s_mov_b32 s1, 0
	s_cmp_eq_u32 s6, 0
	s_cbranch_scc0 .LBB33_95
	s_branch .LBB33_97
.LBB33_92:
	s_mov_b32 s8, -1
                                        ; implicit-def: $vgpr13
	s_branch .LBB33_97
.LBB33_93:
	v_dual_mov_b32 v13, 0 :: v_dual_mov_b32 v12, 0
	s_branch .LBB33_97
.LBB33_94:
	v_mov_b64_e32 v[12:13], 0
	v_mov_b32_e32 v15, v1
	s_mov_b32 s0, 0
	s_and_b32 s6, s1, 3
	s_mov_b32 s1, 0
	s_cmp_eq_u32 s6, 0
	s_cbranch_scc1 .LBB33_97
.LBB33_95:
	s_lshl_b32 s4, s0, 3
	s_mov_b32 s5, s1
	s_mul_u64 s[10:11], s[0:1], 12
	s_add_nc_u64 s[4:5], s[2:3], s[4:5]
	s_delay_alu instid0(SALU_CYCLE_1)
	s_add_nc_u64 s[0:1], s[4:5], 0xc4
	s_add_nc_u64 s[4:5], s[2:3], s[10:11]
.LBB33_96:                              ; =>This Inner Loop Header: Depth=1
	s_load_b96 s[12:14], s[4:5], 0x4
	s_load_b64 s[10:11], s[0:1], 0x0
	s_add_co_i32 s6, s6, -1
	s_wait_xcnt 0x0
	s_add_nc_u64 s[4:5], s[4:5], 12
	s_cmp_lg_u32 s6, 0
	s_add_nc_u64 s[0:1], s[0:1], 8
	s_wait_kmcnt 0x0
	v_mul_hi_u32 v17, s13, v15
	s_delay_alu instid0(VALU_DEP_1) | instskip(NEXT) | instid1(VALU_DEP_1)
	v_add_nc_u32_e32 v17, v15, v17
	v_lshrrev_b32_e32 v17, s14, v17
	s_delay_alu instid0(VALU_DEP_1) | instskip(NEXT) | instid1(VALU_DEP_1)
	v_mul_lo_u32 v18, v17, s12
	v_sub_nc_u32_e32 v15, v15, v18
	s_delay_alu instid0(VALU_DEP_1)
	v_mad_u32 v13, v15, s11, v13
	v_mad_u32 v12, v15, s10, v12
	v_mov_b32_e32 v15, v17
	s_cbranch_scc1 .LBB33_96
.LBB33_97:
	s_and_not1_b32 vcc_lo, exec_lo, s8
	s_cbranch_vccnz .LBB33_100
; %bb.98:
	s_clause 0x1
	s_load_b96 s[4:6], s[2:3], 0x4
	s_load_b64 s[0:1], s[2:3], 0xc4
	s_cmp_lt_u32 s28, 2
	s_wait_kmcnt 0x0
	v_mul_hi_u32 v12, s5, v1
	s_delay_alu instid0(VALU_DEP_1) | instskip(NEXT) | instid1(VALU_DEP_1)
	v_add_nc_u32_e32 v12, v1, v12
	v_lshrrev_b32_e32 v15, s6, v12
	s_delay_alu instid0(VALU_DEP_1) | instskip(NEXT) | instid1(VALU_DEP_1)
	v_mul_lo_u32 v12, v15, s4
	v_sub_nc_u32_e32 v1, v1, v12
	s_delay_alu instid0(VALU_DEP_1)
	v_mul_lo_u32 v13, v1, s1
	v_mul_lo_u32 v12, v1, s0
	s_cbranch_scc1 .LBB33_100
; %bb.99:
	s_clause 0x1
	s_load_b96 s[4:6], s[2:3], 0x10
	s_load_b64 s[0:1], s[2:3], 0xcc
	s_wait_kmcnt 0x0
	v_mul_hi_u32 v1, s5, v15
	s_delay_alu instid0(VALU_DEP_1) | instskip(NEXT) | instid1(VALU_DEP_1)
	v_add_nc_u32_e32 v1, v15, v1
	v_lshrrev_b32_e32 v1, s6, v1
	s_delay_alu instid0(VALU_DEP_1) | instskip(NEXT) | instid1(VALU_DEP_1)
	v_mul_lo_u32 v1, v1, s4
	v_sub_nc_u32_e32 v1, v15, v1
	s_delay_alu instid0(VALU_DEP_1)
	v_mad_u32 v12, v1, s0, v12
	v_mad_u32 v13, v1, s1, v13
.LBB33_100:
	v_cmp_ne_u32_e32 vcc_lo, 1, v14
	v_add_nc_u32_e32 v15, 0x300, v0
	s_cbranch_vccnz .LBB33_106
; %bb.101:
	s_cmp_lg_u32 s28, 0
	s_mov_b32 s8, 0
	s_cbranch_scc0 .LBB33_107
; %bb.102:
	s_min_u32 s1, s29, 15
	s_delay_alu instid0(SALU_CYCLE_1)
	s_add_co_i32 s1, s1, 1
	s_cmp_eq_u32 s29, 2
	s_cbranch_scc1 .LBB33_108
; %bb.103:
	v_dual_mov_b32 v0, 0 :: v_dual_mov_b32 v1, 0
	v_mov_b32_e32 v17, v15
	s_and_b32 s0, s1, 28
	s_add_nc_u64 s[4:5], s[2:3], 0xc4
	s_mov_b32 s9, 0
	s_mov_b64 s[6:7], s[2:3]
.LBB33_104:                             ; =>This Inner Loop Header: Depth=1
	s_clause 0x1
	s_load_b256 s[12:19], s[6:7], 0x4
	s_load_b128 s[36:39], s[6:7], 0x24
	s_load_b256 s[20:27], s[4:5], 0x0
	s_add_co_i32 s9, s9, 4
	s_wait_xcnt 0x0
	s_add_nc_u64 s[6:7], s[6:7], 48
	s_cmp_lg_u32 s0, s9
	s_add_nc_u64 s[4:5], s[4:5], 32
	s_wait_kmcnt 0x0
	v_mul_hi_u32 v18, s13, v17
	s_delay_alu instid0(VALU_DEP_1) | instskip(NEXT) | instid1(VALU_DEP_1)
	v_add_nc_u32_e32 v18, v17, v18
	v_lshrrev_b32_e32 v18, s14, v18
	s_delay_alu instid0(VALU_DEP_1) | instskip(NEXT) | instid1(VALU_DEP_1)
	v_mul_hi_u32 v19, s16, v18
	v_add_nc_u32_e32 v19, v18, v19
	s_delay_alu instid0(VALU_DEP_1) | instskip(NEXT) | instid1(VALU_DEP_1)
	v_lshrrev_b32_e32 v19, s17, v19
	v_mul_hi_u32 v20, s19, v19
	s_delay_alu instid0(VALU_DEP_1) | instskip(SKIP_1) | instid1(VALU_DEP_1)
	v_add_nc_u32_e32 v20, v19, v20
	v_mul_lo_u32 v21, v18, s12
	v_sub_nc_u32_e32 v17, v17, v21
	v_mul_lo_u32 v21, v19, s15
	s_delay_alu instid0(VALU_DEP_4) | instskip(NEXT) | instid1(VALU_DEP_3)
	v_lshrrev_b32_e32 v20, s36, v20
	v_mad_u32 v1, v17, s21, v1
	v_mad_u32 v0, v17, s20, v0
	s_delay_alu instid0(VALU_DEP_4) | instskip(NEXT) | instid1(VALU_DEP_4)
	v_sub_nc_u32_e32 v17, v18, v21
	v_mul_hi_u32 v22, s38, v20
	v_mul_lo_u32 v18, v20, s18
	s_delay_alu instid0(VALU_DEP_3) | instskip(SKIP_1) | instid1(VALU_DEP_4)
	v_mad_u32 v1, v17, s23, v1
	v_mad_u32 v0, v17, s22, v0
	v_add_nc_u32_e32 v21, v20, v22
	s_delay_alu instid0(VALU_DEP_1) | instskip(NEXT) | instid1(VALU_DEP_1)
	v_dual_sub_nc_u32 v18, v19, v18 :: v_dual_lshrrev_b32 v17, s39, v21
	v_mad_u32 v1, v18, s25, v1
	s_delay_alu instid0(VALU_DEP_4) | instskip(NEXT) | instid1(VALU_DEP_3)
	v_mad_u32 v0, v18, s24, v0
	v_mul_lo_u32 v19, v17, s37
	s_delay_alu instid0(VALU_DEP_1) | instskip(NEXT) | instid1(VALU_DEP_1)
	v_sub_nc_u32_e32 v18, v20, v19
	v_mad_u32 v1, v18, s27, v1
	s_delay_alu instid0(VALU_DEP_4)
	v_mad_u32 v0, v18, s26, v0
	s_cbranch_scc1 .LBB33_104
; %bb.105:
	s_and_b32 s6, s1, 3
	s_mov_b32 s1, 0
	s_cmp_eq_u32 s6, 0
	s_cbranch_scc0 .LBB33_109
	s_branch .LBB33_111
.LBB33_106:
	s_mov_b32 s8, -1
                                        ; implicit-def: $vgpr1
	s_branch .LBB33_111
.LBB33_107:
	v_dual_mov_b32 v1, 0 :: v_dual_mov_b32 v0, 0
	s_branch .LBB33_111
.LBB33_108:
	v_mov_b64_e32 v[0:1], 0
	v_mov_b32_e32 v17, v15
	s_mov_b32 s0, 0
	s_and_b32 s6, s1, 3
	s_mov_b32 s1, 0
	s_cmp_eq_u32 s6, 0
	s_cbranch_scc1 .LBB33_111
.LBB33_109:
	s_lshl_b32 s4, s0, 3
	s_mov_b32 s5, s1
	s_mul_u64 s[10:11], s[0:1], 12
	s_add_nc_u64 s[4:5], s[2:3], s[4:5]
	s_delay_alu instid0(SALU_CYCLE_1)
	s_add_nc_u64 s[0:1], s[4:5], 0xc4
	s_add_nc_u64 s[4:5], s[2:3], s[10:11]
.LBB33_110:                             ; =>This Inner Loop Header: Depth=1
	s_load_b96 s[12:14], s[4:5], 0x4
	s_load_b64 s[10:11], s[0:1], 0x0
	s_add_co_i32 s6, s6, -1
	s_wait_xcnt 0x0
	s_add_nc_u64 s[4:5], s[4:5], 12
	s_cmp_lg_u32 s6, 0
	s_add_nc_u64 s[0:1], s[0:1], 8
	s_wait_kmcnt 0x0
	v_mul_hi_u32 v18, s13, v17
	s_delay_alu instid0(VALU_DEP_1) | instskip(NEXT) | instid1(VALU_DEP_1)
	v_add_nc_u32_e32 v18, v17, v18
	v_lshrrev_b32_e32 v18, s14, v18
	s_delay_alu instid0(VALU_DEP_1) | instskip(NEXT) | instid1(VALU_DEP_1)
	v_mul_lo_u32 v19, v18, s12
	v_sub_nc_u32_e32 v17, v17, v19
	s_delay_alu instid0(VALU_DEP_1)
	v_mad_u32 v1, v17, s11, v1
	v_mad_u32 v0, v17, s10, v0
	v_mov_b32_e32 v17, v18
	s_cbranch_scc1 .LBB33_110
.LBB33_111:
	s_and_not1_b32 vcc_lo, exec_lo, s8
	s_cbranch_vccnz .LBB33_114
; %bb.112:
	s_clause 0x1
	s_load_b96 s[4:6], s[2:3], 0x4
	s_load_b64 s[0:1], s[2:3], 0xc4
	s_cmp_lt_u32 s28, 2
	s_wait_kmcnt 0x0
	v_mul_hi_u32 v0, s5, v15
	s_delay_alu instid0(VALU_DEP_1) | instskip(NEXT) | instid1(VALU_DEP_1)
	v_add_nc_u32_e32 v0, v15, v0
	v_lshrrev_b32_e32 v17, s6, v0
	s_delay_alu instid0(VALU_DEP_1) | instskip(NEXT) | instid1(VALU_DEP_1)
	v_mul_lo_u32 v0, v17, s4
	v_sub_nc_u32_e32 v0, v15, v0
	s_delay_alu instid0(VALU_DEP_1)
	v_mul_lo_u32 v1, v0, s1
	v_mul_lo_u32 v0, v0, s0
	s_cbranch_scc1 .LBB33_114
; %bb.113:
	s_clause 0x1
	s_load_b96 s[4:6], s[2:3], 0x10
	s_load_b64 s[0:1], s[2:3], 0xcc
	s_wait_kmcnt 0x0
	v_mul_hi_u32 v15, s5, v17
	s_delay_alu instid0(VALU_DEP_1) | instskip(NEXT) | instid1(VALU_DEP_1)
	v_add_nc_u32_e32 v15, v17, v15
	v_lshrrev_b32_e32 v15, s6, v15
	s_delay_alu instid0(VALU_DEP_1) | instskip(NEXT) | instid1(VALU_DEP_1)
	v_mul_lo_u32 v15, v15, s4
	v_sub_nc_u32_e32 v15, v17, v15
	s_delay_alu instid0(VALU_DEP_1)
	v_mad_u32 v0, v15, s0, v0
	v_mad_u32 v1, v15, s1, v1
.LBB33_114:
	v_cmp_ne_u32_e32 vcc_lo, 1, v14
	s_cbranch_vccnz .LBB33_120
; %bb.115:
	s_cmp_lg_u32 s28, 0
	s_mov_b32 s8, 0
	s_cbranch_scc0 .LBB33_121
; %bb.116:
	s_min_u32 s1, s29, 15
	s_delay_alu instid0(SALU_CYCLE_1)
	s_add_co_i32 s1, s1, 1
	s_cmp_eq_u32 s29, 2
	s_cbranch_scc1 .LBB33_122
; %bb.117:
	v_dual_mov_b32 v14, 0 :: v_dual_mov_b32 v15, 0
	v_mov_b32_e32 v17, v16
	s_and_b32 s0, s1, 28
	s_add_nc_u64 s[4:5], s[2:3], 0xc4
	s_mov_b32 s9, 0
	s_mov_b64 s[6:7], s[2:3]
.LBB33_118:                             ; =>This Inner Loop Header: Depth=1
	s_clause 0x1
	s_load_b256 s[12:19], s[6:7], 0x4
	s_load_b128 s[36:39], s[6:7], 0x24
	s_load_b256 s[20:27], s[4:5], 0x0
	s_add_co_i32 s9, s9, 4
	s_wait_xcnt 0x0
	s_add_nc_u64 s[6:7], s[6:7], 48
	s_cmp_lg_u32 s0, s9
	s_add_nc_u64 s[4:5], s[4:5], 32
	s_wait_kmcnt 0x0
	v_mul_hi_u32 v18, s13, v17
	s_delay_alu instid0(VALU_DEP_1) | instskip(NEXT) | instid1(VALU_DEP_1)
	v_add_nc_u32_e32 v18, v17, v18
	v_lshrrev_b32_e32 v18, s14, v18
	s_delay_alu instid0(VALU_DEP_1) | instskip(NEXT) | instid1(VALU_DEP_1)
	v_mul_hi_u32 v19, s16, v18
	v_add_nc_u32_e32 v19, v18, v19
	s_delay_alu instid0(VALU_DEP_1) | instskip(NEXT) | instid1(VALU_DEP_1)
	v_lshrrev_b32_e32 v19, s17, v19
	v_mul_hi_u32 v20, s19, v19
	s_delay_alu instid0(VALU_DEP_1) | instskip(SKIP_1) | instid1(VALU_DEP_1)
	v_add_nc_u32_e32 v20, v19, v20
	v_mul_lo_u32 v21, v18, s12
	v_sub_nc_u32_e32 v17, v17, v21
	v_mul_lo_u32 v21, v19, s15
	s_delay_alu instid0(VALU_DEP_4) | instskip(NEXT) | instid1(VALU_DEP_3)
	v_lshrrev_b32_e32 v20, s36, v20
	v_mad_u32 v15, v17, s21, v15
	v_mad_u32 v14, v17, s20, v14
	s_delay_alu instid0(VALU_DEP_4) | instskip(NEXT) | instid1(VALU_DEP_4)
	v_sub_nc_u32_e32 v17, v18, v21
	v_mul_hi_u32 v22, s38, v20
	v_mul_lo_u32 v18, v20, s18
	s_delay_alu instid0(VALU_DEP_3) | instskip(SKIP_1) | instid1(VALU_DEP_4)
	v_mad_u32 v15, v17, s23, v15
	v_mad_u32 v14, v17, s22, v14
	v_add_nc_u32_e32 v21, v20, v22
	s_delay_alu instid0(VALU_DEP_1) | instskip(NEXT) | instid1(VALU_DEP_1)
	v_dual_sub_nc_u32 v18, v19, v18 :: v_dual_lshrrev_b32 v17, s39, v21
	v_mad_u32 v15, v18, s25, v15
	s_delay_alu instid0(VALU_DEP_4) | instskip(NEXT) | instid1(VALU_DEP_3)
	v_mad_u32 v14, v18, s24, v14
	v_mul_lo_u32 v19, v17, s37
	s_delay_alu instid0(VALU_DEP_1) | instskip(NEXT) | instid1(VALU_DEP_1)
	v_sub_nc_u32_e32 v18, v20, v19
	v_mad_u32 v15, v18, s27, v15
	s_delay_alu instid0(VALU_DEP_4)
	v_mad_u32 v14, v18, s26, v14
	s_cbranch_scc1 .LBB33_118
; %bb.119:
	s_and_b32 s6, s1, 3
	s_mov_b32 s1, 0
	s_cmp_eq_u32 s6, 0
	s_cbranch_scc0 .LBB33_123
	s_branch .LBB33_125
.LBB33_120:
	s_mov_b32 s8, -1
                                        ; implicit-def: $vgpr15
	s_branch .LBB33_125
.LBB33_121:
	v_dual_mov_b32 v15, 0 :: v_dual_mov_b32 v14, 0
	s_branch .LBB33_125
.LBB33_122:
	v_mov_b64_e32 v[14:15], 0
	v_mov_b32_e32 v17, v16
	s_mov_b32 s0, 0
	s_and_b32 s6, s1, 3
	s_mov_b32 s1, 0
	s_cmp_eq_u32 s6, 0
	s_cbranch_scc1 .LBB33_125
.LBB33_123:
	s_lshl_b32 s4, s0, 3
	s_mov_b32 s5, s1
	s_mul_u64 s[10:11], s[0:1], 12
	s_add_nc_u64 s[4:5], s[2:3], s[4:5]
	s_delay_alu instid0(SALU_CYCLE_1)
	s_add_nc_u64 s[0:1], s[4:5], 0xc4
	s_add_nc_u64 s[4:5], s[2:3], s[10:11]
.LBB33_124:                             ; =>This Inner Loop Header: Depth=1
	s_load_b96 s[12:14], s[4:5], 0x4
	s_load_b64 s[10:11], s[0:1], 0x0
	s_add_co_i32 s6, s6, -1
	s_wait_xcnt 0x0
	s_add_nc_u64 s[4:5], s[4:5], 12
	s_cmp_lg_u32 s6, 0
	s_add_nc_u64 s[0:1], s[0:1], 8
	s_wait_kmcnt 0x0
	v_mul_hi_u32 v18, s13, v17
	s_delay_alu instid0(VALU_DEP_1) | instskip(NEXT) | instid1(VALU_DEP_1)
	v_add_nc_u32_e32 v18, v17, v18
	v_lshrrev_b32_e32 v18, s14, v18
	s_delay_alu instid0(VALU_DEP_1) | instskip(NEXT) | instid1(VALU_DEP_1)
	v_mul_lo_u32 v19, v18, s12
	v_sub_nc_u32_e32 v17, v17, v19
	s_delay_alu instid0(VALU_DEP_1)
	v_mad_u32 v15, v17, s11, v15
	v_mad_u32 v14, v17, s10, v14
	v_mov_b32_e32 v17, v18
	s_cbranch_scc1 .LBB33_124
.LBB33_125:
	s_and_not1_b32 vcc_lo, exec_lo, s8
	s_cbranch_vccnz .LBB33_128
; %bb.126:
	s_clause 0x1
	s_load_b96 s[4:6], s[2:3], 0x4
	s_load_b64 s[0:1], s[2:3], 0xc4
	s_cmp_lt_u32 s28, 2
	s_wait_kmcnt 0x0
	v_mul_hi_u32 v14, s5, v16
	s_delay_alu instid0(VALU_DEP_1) | instskip(NEXT) | instid1(VALU_DEP_1)
	v_add_nc_u32_e32 v14, v16, v14
	v_lshrrev_b32_e32 v17, s6, v14
	s_delay_alu instid0(VALU_DEP_1) | instskip(NEXT) | instid1(VALU_DEP_1)
	v_mul_lo_u32 v14, v17, s4
	v_sub_nc_u32_e32 v14, v16, v14
	s_delay_alu instid0(VALU_DEP_1)
	v_mul_lo_u32 v15, v14, s1
	v_mul_lo_u32 v14, v14, s0
	s_cbranch_scc1 .LBB33_128
; %bb.127:
	s_clause 0x1
	s_load_b96 s[4:6], s[2:3], 0x10
	s_load_b64 s[0:1], s[2:3], 0xcc
	s_wait_kmcnt 0x0
	v_mul_hi_u32 v16, s5, v17
	s_delay_alu instid0(VALU_DEP_1) | instskip(NEXT) | instid1(VALU_DEP_1)
	v_add_nc_u32_e32 v16, v17, v16
	v_lshrrev_b32_e32 v16, s6, v16
	s_delay_alu instid0(VALU_DEP_1) | instskip(NEXT) | instid1(VALU_DEP_1)
	v_mul_lo_u32 v16, v16, s4
	v_sub_nc_u32_e32 v16, v17, v16
	s_delay_alu instid0(VALU_DEP_1)
	v_mad_u32 v14, v16, s0, v14
	v_mad_u32 v15, v16, s1, v15
.LBB33_128:
	s_load_b128 s[4:7], s[2:3], 0x148
                                        ; implicit-def: $vgpr18
                                        ; implicit-def: $vgpr17
	s_mov_b32 s1, exec_lo
	s_wait_kmcnt 0x0
	global_load_u16 v3, v3, s[6:7]
	s_wait_loadcnt 0x0
	v_lshlrev_b32_e32 v3, 16, v3
	s_delay_alu instid0(VALU_DEP_1)
	v_and_b32_e32 v16, 0x7fffffff, v3
	v_cmpx_ngt_f32_e64 0x48000000, |v3|
	s_xor_b32 s2, exec_lo, s1
	s_cbranch_execz .LBB33_130
; %bb.129:
	s_mov_b32 s0, 0x7fffff
	v_mov_b32_e32 v19, 0
	v_and_or_b32 v18, v16, s0, 0x800000
	s_mov_b64 s[0:1], 0xfe5163ab
	v_lshrrev_b32_e32 v17, 23, v16
	s_delay_alu instid0(VALU_DEP_2) | instskip(NEXT) | instid1(VALU_DEP_1)
	v_mul_u64_e32 v[20:21], s[0:1], v[18:19]
	v_dual_mov_b32 v22, v21 :: v_dual_mov_b32 v23, v19
	v_dual_mov_b32 v25, v19 :: v_dual_mov_b32 v27, v19
	;; [unrolled: 1-line block ×3, first 2 shown]
	s_delay_alu instid0(VALU_DEP_3) | instskip(NEXT) | instid1(VALU_DEP_1)
	v_mad_nc_u64_u32 v[22:23], 0x3c439041, v18, v[22:23]
	v_mov_b32_e32 v24, v23
	s_delay_alu instid0(VALU_DEP_1) | instskip(NEXT) | instid1(VALU_DEP_1)
	v_mad_nc_u64_u32 v[24:25], 0xdb629599, v18, v[24:25]
	v_mov_b32_e32 v26, v25
	s_delay_alu instid0(VALU_DEP_1) | instskip(NEXT) | instid1(VALU_DEP_1)
	;; [unrolled: 3-line block ×3, first 2 shown]
	v_mad_nc_u64_u32 v[28:29], 0xfc2757d1, v18, v[28:29]
	v_dual_mov_b32 v31, v19 :: v_dual_mov_b32 v30, v29
	s_delay_alu instid0(VALU_DEP_1) | instskip(NEXT) | instid1(VALU_DEP_1)
	v_mad_nc_u64_u32 v[30:31], 0x4e441529, v18, v[30:31]
	v_dual_mov_b32 v32, v31 :: v_dual_add_nc_u32 v17, 0xffffff88, v17
	s_delay_alu instid0(VALU_DEP_1) | instskip(NEXT) | instid1(VALU_DEP_2)
	v_cmp_lt_u32_e32 vcc_lo, 63, v17
	v_mad_nc_u64_u32 v[18:19], 0xa2f9836e, v18, v[32:33]
	v_cndmask_b32_e64 v21, 0, 0xffffffc0, vcc_lo
	v_dual_cndmask_b32 v23, v30, v26 :: v_dual_cndmask_b32 v20, v24, v20
	s_delay_alu instid0(VALU_DEP_2) | instskip(NEXT) | instid1(VALU_DEP_1)
	v_add_nc_u32_e32 v17, v21, v17
	v_cmp_lt_u32_e64 s0, 31, v17
	v_dual_cndmask_b32 v18, v18, v28 :: v_dual_cndmask_b32 v19, v19, v30
	s_delay_alu instid0(VALU_DEP_2) | instskip(NEXT) | instid1(VALU_DEP_1)
	v_cndmask_b32_e64 v21, 0, 0xffffffe0, s0
	v_add_nc_u32_e32 v17, v21, v17
	s_delay_alu instid0(VALU_DEP_1) | instskip(NEXT) | instid1(VALU_DEP_1)
	v_cmp_lt_u32_e64 s1, 31, v17
	v_cndmask_b32_e64 v21, 0, 0xffffffe0, s1
	s_delay_alu instid0(VALU_DEP_1) | instskip(SKIP_2) | instid1(VALU_DEP_3)
	v_dual_cndmask_b32 v25, v28, v24, vcc_lo :: v_dual_add_nc_u32 v17, v21, v17
	v_cndmask_b32_e32 v21, v26, v22, vcc_lo
	v_dual_cndmask_b32 v22, v18, v23, s0 :: v_dual_cndmask_b32 v18, v19, v18, s0
	v_cndmask_b32_e64 v19, v23, v25, s0
	s_delay_alu instid0(VALU_DEP_4) | instskip(NEXT) | instid1(VALU_DEP_4)
	v_sub_nc_u32_e32 v23, 32, v17
	v_cndmask_b32_e64 v25, v25, v21, s0
	v_cmp_eq_u32_e32 vcc_lo, 0, v17
	v_cndmask_b32_e64 v18, v18, v22, s1
	s_delay_alu instid0(VALU_DEP_3) | instskip(NEXT) | instid1(VALU_DEP_1)
	v_dual_cndmask_b32 v22, v22, v19, s1 :: v_dual_cndmask_b32 v19, v19, v25, s1
	v_alignbit_b32 v26, v18, v22, v23
	s_delay_alu instid0(VALU_DEP_2) | instskip(NEXT) | instid1(VALU_DEP_2)
	v_alignbit_b32 v24, v22, v19, v23
	v_dual_cndmask_b32 v17, v26, v18, vcc_lo :: v_dual_cndmask_b32 v18, v21, v20, s0
	s_delay_alu instid0(VALU_DEP_1) | instskip(NEXT) | instid1(VALU_DEP_1)
	v_bfe_u32 v21, v17, 29, 1
	v_dual_cndmask_b32 v20, v24, v22, vcc_lo :: v_dual_sub_nc_u32 v24, 0, v21
	s_delay_alu instid0(VALU_DEP_1) | instskip(NEXT) | instid1(VALU_DEP_1)
	v_alignbit_b32 v22, v17, v20, 30
	v_dual_cndmask_b32 v18, v25, v18, s1 :: v_dual_bitop2_b32 v22, v22, v24 bitop3:0x14
	s_delay_alu instid0(VALU_DEP_1) | instskip(NEXT) | instid1(VALU_DEP_1)
	v_alignbit_b32 v23, v19, v18, v23
	v_cndmask_b32_e32 v19, v23, v19, vcc_lo
	s_delay_alu instid0(VALU_DEP_3) | instskip(NEXT) | instid1(VALU_DEP_2)
	v_clz_i32_u32_e32 v23, v22
	v_alignbit_b32 v18, v19, v18, 30
	s_delay_alu instid0(VALU_DEP_2) | instskip(NEXT) | instid1(VALU_DEP_2)
	v_min_u32_e32 v23, 32, v23
	v_xor_b32_e32 v18, v18, v24
	v_alignbit_b32 v20, v20, v19, 30
	s_delay_alu instid0(VALU_DEP_1) | instskip(SKIP_1) | instid1(VALU_DEP_1)
	v_dual_lshlrev_b32 v25, 23, v23 :: v_dual_bitop2_b32 v19, v20, v24 bitop3:0x14
	v_dual_sub_nc_u32 v20, 31, v23 :: v_dual_lshrrev_b32 v24, 29, v17
	v_alignbit_b32 v22, v22, v19, v20
	v_alignbit_b32 v18, v19, v18, v20
	s_delay_alu instid0(VALU_DEP_3) | instskip(NEXT) | instid1(VALU_DEP_2)
	v_lshlrev_b32_e32 v19, 31, v24
	v_alignbit_b32 v20, v22, v18, 9
	s_delay_alu instid0(VALU_DEP_2) | instskip(NEXT) | instid1(VALU_DEP_2)
	v_dual_lshrrev_b32 v22, 9, v22 :: v_dual_bitop2_b32 v24, 0.5, v19 bitop3:0x54
	v_clz_i32_u32_e32 v26, v20
	s_delay_alu instid0(VALU_DEP_2) | instskip(SKIP_1) | instid1(VALU_DEP_3)
	v_sub_nc_u32_e32 v24, v24, v25
	v_or_b32_e32 v19, 0x33000000, v19
	v_min_u32_e32 v25, 32, v26
	s_delay_alu instid0(VALU_DEP_1) | instskip(NEXT) | instid1(VALU_DEP_4)
	v_add_lshl_u32 v23, v25, v23, 23
	v_or_b32_e32 v22, v22, v24
	v_not_b32_e32 v24, v25
	s_delay_alu instid0(VALU_DEP_2) | instskip(NEXT) | instid1(VALU_DEP_2)
	v_dual_mul_f32 v26, 0x3fc90fda, v22 :: v_dual_sub_nc_u32 v19, v19, v23
	v_alignbit_b32 v18, v20, v18, v24
	s_delay_alu instid0(VALU_DEP_2) | instskip(NEXT) | instid1(VALU_DEP_2)
	v_fma_f32 v20, 0x3fc90fda, v22, -v26
	v_lshrrev_b32_e32 v18, 9, v18
	s_delay_alu instid0(VALU_DEP_2) | instskip(NEXT) | instid1(VALU_DEP_2)
	v_fmamk_f32 v20, v22, 0x33a22168, v20
	v_or_b32_e32 v18, v19, v18
	s_delay_alu instid0(VALU_DEP_1) | instskip(NEXT) | instid1(VALU_DEP_1)
	v_fmac_f32_e32 v20, 0x3fc90fda, v18
	v_dual_add_f32 v17, v26, v20 :: v_dual_lshrrev_b32 v18, 30, v17
	s_delay_alu instid0(VALU_DEP_1)
	v_add_nc_u32_e32 v18, v21, v18
.LBB33_130:
	s_and_not1_saveexec_b32 s0, s2
; %bb.131:
	v_mul_f32_e64 v17, 0x3f22f983, |v3|
	s_delay_alu instid0(VALU_DEP_1) | instskip(NEXT) | instid1(VALU_DEP_1)
	v_rndne_f32_e32 v18, v17
	v_fma_f32 v17, 0xbfc90fda, v18, |v3|
	s_delay_alu instid0(VALU_DEP_1) | instskip(NEXT) | instid1(VALU_DEP_1)
	v_fmamk_f32 v17, v18, 0xb3a22168, v17
	v_fmamk_f32 v17, v18, 0xa7c234c4, v17
	v_cvt_i32_f32_e32 v18, v18
; %bb.132:
	s_or_b32 exec_lo, exec_lo, s0
	global_load_u16 v5, v5, s[6:7]
                                        ; implicit-def: $vgpr20
                                        ; implicit-def: $vgpr21
	s_mov_b32 s1, exec_lo
	s_wait_loadcnt 0x0
	v_lshlrev_b32_e32 v5, 16, v5
	s_delay_alu instid0(VALU_DEP_1)
	v_and_b32_e32 v19, 0x7fffffff, v5
	v_cmpx_ngt_f32_e64 0x48000000, |v5|
	s_xor_b32 s2, exec_lo, s1
	s_cbranch_execz .LBB33_134
; %bb.133:
	s_mov_b32 s0, 0x7fffff
	v_mov_b32_e32 v21, 0
	v_and_or_b32 v20, v19, s0, 0x800000
	s_mov_b64 s[0:1], 0xfe5163ab
	s_delay_alu instid0(VALU_DEP_1) | instid1(SALU_CYCLE_1)
	v_mul_u64_e32 v[22:23], s[0:1], v[20:21]
	s_delay_alu instid0(VALU_DEP_1) | instskip(SKIP_2) | instid1(VALU_DEP_3)
	v_dual_mov_b32 v24, v23 :: v_dual_mov_b32 v25, v21
	v_dual_mov_b32 v27, v21 :: v_dual_mov_b32 v29, v21
	v_dual_mov_b32 v31, v21 :: v_dual_lshrrev_b32 v23, 23, v19
	v_mad_nc_u64_u32 v[24:25], 0x3c439041, v20, v[24:25]
	s_delay_alu instid0(VALU_DEP_1) | instskip(NEXT) | instid1(VALU_DEP_1)
	v_mov_b32_e32 v26, v25
	v_mad_nc_u64_u32 v[26:27], 0xdb629599, v20, v[26:27]
	s_delay_alu instid0(VALU_DEP_1) | instskip(NEXT) | instid1(VALU_DEP_1)
	v_mov_b32_e32 v28, v27
	;; [unrolled: 3-line block ×3, first 2 shown]
	v_mad_nc_u64_u32 v[30:31], 0xfc2757d1, v20, v[30:31]
	s_delay_alu instid0(VALU_DEP_1) | instskip(NEXT) | instid1(VALU_DEP_1)
	v_dual_mov_b32 v33, v21 :: v_dual_mov_b32 v32, v31
	v_mad_nc_u64_u32 v[32:33], 0x4e441529, v20, v[32:33]
	s_delay_alu instid0(VALU_DEP_1) | instskip(NEXT) | instid1(VALU_DEP_1)
	v_dual_mov_b32 v34, v33 :: v_dual_add_nc_u32 v23, 0xffffff88, v23
	v_cmp_lt_u32_e32 vcc_lo, 63, v23
	v_mov_b32_e32 v35, v21
	v_cndmask_b32_e64 v25, 0, 0xffffffc0, vcc_lo
	s_delay_alu instid0(VALU_DEP_2) | instskip(SKIP_1) | instid1(VALU_DEP_3)
	v_mad_nc_u64_u32 v[20:21], 0xa2f9836e, v20, v[34:35]
	v_dual_cndmask_b32 v27, v32, v28, vcc_lo :: v_dual_cndmask_b32 v29, v30, v26, vcc_lo
	v_dual_cndmask_b32 v24, v28, v24 :: v_dual_add_nc_u32 v23, v25, v23
	v_cndmask_b32_e32 v22, v26, v22, vcc_lo
	s_delay_alu instid0(VALU_DEP_2) | instskip(SKIP_1) | instid1(VALU_DEP_2)
	v_cmp_lt_u32_e64 s0, 31, v23
	v_dual_cndmask_b32 v20, v20, v30 :: v_dual_cndmask_b32 v21, v21, v32
	v_cndmask_b32_e64 v25, 0, 0xffffffe0, s0
	s_delay_alu instid0(VALU_DEP_4) | instskip(NEXT) | instid1(VALU_DEP_2)
	v_dual_cndmask_b32 v28, v29, v24, s0 :: v_dual_cndmask_b32 v22, v24, v22, s0
	v_add_nc_u32_e32 v23, v25, v23
	s_delay_alu instid0(VALU_DEP_1) | instskip(NEXT) | instid1(VALU_DEP_1)
	v_cmp_lt_u32_e64 s1, 31, v23
	v_cndmask_b32_e64 v25, 0, 0xffffffe0, s1
	s_delay_alu instid0(VALU_DEP_1) | instskip(SKIP_1) | instid1(VALU_DEP_2)
	v_dual_cndmask_b32 v22, v28, v22, s1 :: v_dual_add_nc_u32 v23, v25, v23
	v_dual_cndmask_b32 v25, v20, v27, s0 :: v_dual_cndmask_b32 v20, v21, v20, s0
	v_dual_cndmask_b32 v21, v27, v29, s0 :: v_dual_sub_nc_u32 v27, 32, v23
	v_cmp_eq_u32_e32 vcc_lo, 0, v23
	s_delay_alu instid0(VALU_DEP_3) | instskip(NEXT) | instid1(VALU_DEP_3)
	v_cndmask_b32_e64 v20, v20, v25, s1
	v_cndmask_b32_e64 v25, v25, v21, s1
	;; [unrolled: 1-line block ×3, first 2 shown]
	s_delay_alu instid0(VALU_DEP_2) | instskip(NEXT) | instid1(VALU_DEP_2)
	v_alignbit_b32 v29, v20, v25, v27
	v_alignbit_b32 v26, v25, v21, v27
	;; [unrolled: 1-line block ×3, first 2 shown]
	s_delay_alu instid0(VALU_DEP_2) | instskip(NEXT) | instid1(VALU_DEP_2)
	v_dual_cndmask_b32 v20, v29, v20 :: v_dual_cndmask_b32 v23, v26, v25
	v_cndmask_b32_e32 v21, v27, v21, vcc_lo
	s_delay_alu instid0(VALU_DEP_2) | instskip(NEXT) | instid1(VALU_DEP_3)
	v_bfe_u32 v24, v20, 29, 1
	v_alignbit_b32 v25, v20, v23, 30
	s_delay_alu instid0(VALU_DEP_3) | instskip(SKIP_1) | instid1(VALU_DEP_4)
	v_alignbit_b32 v23, v23, v21, 30
	v_alignbit_b32 v21, v21, v22, 30
	v_sub_nc_u32_e32 v26, 0, v24
	s_delay_alu instid0(VALU_DEP_1) | instskip(NEXT) | instid1(VALU_DEP_4)
	v_xor_b32_e32 v25, v25, v26
	v_xor_b32_e32 v22, v23, v26
	s_delay_alu instid0(VALU_DEP_4) | instskip(SKIP_1) | instid1(VALU_DEP_4)
	v_dual_lshrrev_b32 v26, 29, v20 :: v_dual_bitop2_b32 v21, v21, v26 bitop3:0x14
	v_lshrrev_b32_e32 v20, 30, v20
	v_clz_i32_u32_e32 v27, v25
	s_delay_alu instid0(VALU_DEP_2) | instskip(NEXT) | instid1(VALU_DEP_2)
	v_add_nc_u32_e32 v20, v24, v20
	v_min_u32_e32 v27, 32, v27
	s_delay_alu instid0(VALU_DEP_1) | instskip(NEXT) | instid1(VALU_DEP_1)
	v_dual_sub_nc_u32 v23, 31, v27 :: v_dual_lshlrev_b32 v28, 23, v27
	v_alignbit_b32 v25, v25, v22, v23
	v_alignbit_b32 v21, v22, v21, v23
	v_lshlrev_b32_e32 v22, 31, v26
	s_delay_alu instid0(VALU_DEP_2) | instskip(NEXT) | instid1(VALU_DEP_2)
	v_alignbit_b32 v23, v25, v21, 9
	v_dual_lshrrev_b32 v25, 9, v25 :: v_dual_bitop2_b32 v26, 0.5, v22 bitop3:0x54
	v_or_b32_e32 v22, 0x33000000, v22
	s_delay_alu instid0(VALU_DEP_3) | instskip(NEXT) | instid1(VALU_DEP_3)
	v_clz_i32_u32_e32 v29, v23
	v_sub_nc_u32_e32 v26, v26, v28
	s_delay_alu instid0(VALU_DEP_2) | instskip(NEXT) | instid1(VALU_DEP_1)
	v_min_u32_e32 v28, 32, v29
	v_add_lshl_u32 v27, v28, v27, 23
	s_delay_alu instid0(VALU_DEP_3) | instskip(SKIP_1) | instid1(VALU_DEP_2)
	v_or_b32_e32 v25, v25, v26
	v_not_b32_e32 v26, v28
	v_dual_mul_f32 v29, 0x3fc90fda, v25 :: v_dual_sub_nc_u32 v22, v22, v27
	s_delay_alu instid0(VALU_DEP_2) | instskip(NEXT) | instid1(VALU_DEP_2)
	v_alignbit_b32 v21, v23, v21, v26
	v_fma_f32 v23, 0x3fc90fda, v25, -v29
	s_delay_alu instid0(VALU_DEP_2) | instskip(NEXT) | instid1(VALU_DEP_2)
	v_lshrrev_b32_e32 v21, 9, v21
	v_fmamk_f32 v23, v25, 0x33a22168, v23
	s_delay_alu instid0(VALU_DEP_2) | instskip(NEXT) | instid1(VALU_DEP_1)
	v_or_b32_e32 v21, v22, v21
	v_fmac_f32_e32 v23, 0x3fc90fda, v21
	s_delay_alu instid0(VALU_DEP_1)
	v_add_f32_e32 v21, v29, v23
.LBB33_134:
	s_and_not1_saveexec_b32 s0, s2
; %bb.135:
	v_mul_f32_e64 v20, 0x3f22f983, |v5|
	s_delay_alu instid0(VALU_DEP_1) | instskip(NEXT) | instid1(VALU_DEP_1)
	v_rndne_f32_e32 v20, v20
	v_fma_f32 v21, 0xbfc90fda, v20, |v5|
	s_delay_alu instid0(VALU_DEP_1) | instskip(NEXT) | instid1(VALU_DEP_1)
	v_fmamk_f32 v21, v20, 0xb3a22168, v21
	v_fmamk_f32 v21, v20, 0xa7c234c4, v21
	v_cvt_i32_f32_e32 v20, v20
; %bb.136:
	s_or_b32 exec_lo, exec_lo, s0
	global_load_u16 v7, v7, s[6:7]
                                        ; implicit-def: $vgpr24
                                        ; implicit-def: $vgpr23
	s_mov_b32 s1, exec_lo
	s_wait_loadcnt 0x0
	v_lshlrev_b32_e32 v7, 16, v7
	s_delay_alu instid0(VALU_DEP_1)
	v_and_b32_e32 v22, 0x7fffffff, v7
	v_cmpx_ngt_f32_e64 0x48000000, |v7|
	s_xor_b32 s2, exec_lo, s1
	s_cbranch_execz .LBB33_138
; %bb.137:
	s_mov_b32 s0, 0x7fffff
	v_mov_b32_e32 v25, 0
	v_and_or_b32 v24, v22, s0, 0x800000
	s_mov_b64 s[0:1], 0xfe5163ab
	v_lshrrev_b32_e32 v23, 23, v22
	s_delay_alu instid0(VALU_DEP_2) | instskip(NEXT) | instid1(VALU_DEP_1)
	v_mul_u64_e32 v[26:27], s[0:1], v[24:25]
	v_dual_mov_b32 v28, v27 :: v_dual_mov_b32 v29, v25
	v_dual_mov_b32 v31, v25 :: v_dual_mov_b32 v33, v25
	v_dual_mov_b32 v35, v25 :: v_dual_mov_b32 v39, v25
	s_delay_alu instid0(VALU_DEP_3) | instskip(NEXT) | instid1(VALU_DEP_1)
	v_mad_nc_u64_u32 v[28:29], 0x3c439041, v24, v[28:29]
	v_mov_b32_e32 v30, v29
	s_delay_alu instid0(VALU_DEP_1) | instskip(NEXT) | instid1(VALU_DEP_1)
	v_mad_nc_u64_u32 v[30:31], 0xdb629599, v24, v[30:31]
	v_mov_b32_e32 v32, v31
	s_delay_alu instid0(VALU_DEP_1) | instskip(NEXT) | instid1(VALU_DEP_1)
	v_mad_nc_u64_u32 v[32:33], 0xf534ddc0, v24, v[32:33]
	v_mov_b32_e32 v34, v33
	s_delay_alu instid0(VALU_DEP_1) | instskip(NEXT) | instid1(VALU_DEP_1)
	v_mad_nc_u64_u32 v[34:35], 0xfc2757d1, v24, v[34:35]
	v_dual_mov_b32 v37, v25 :: v_dual_mov_b32 v36, v35
	s_delay_alu instid0(VALU_DEP_1) | instskip(NEXT) | instid1(VALU_DEP_1)
	v_mad_nc_u64_u32 v[36:37], 0x4e441529, v24, v[36:37]
	v_dual_mov_b32 v38, v37 :: v_dual_add_nc_u32 v23, 0xffffff88, v23
	s_delay_alu instid0(VALU_DEP_1) | instskip(NEXT) | instid1(VALU_DEP_2)
	v_cmp_lt_u32_e32 vcc_lo, 63, v23
	v_mad_nc_u64_u32 v[24:25], 0xa2f9836e, v24, v[38:39]
	v_cndmask_b32_e64 v27, 0, 0xffffffc0, vcc_lo
	v_dual_cndmask_b32 v29, v36, v32 :: v_dual_cndmask_b32 v26, v30, v26
	s_delay_alu instid0(VALU_DEP_2) | instskip(NEXT) | instid1(VALU_DEP_1)
	v_add_nc_u32_e32 v23, v27, v23
	v_cmp_lt_u32_e64 s0, 31, v23
	v_dual_cndmask_b32 v24, v24, v34 :: v_dual_cndmask_b32 v25, v25, v36
	s_delay_alu instid0(VALU_DEP_2) | instskip(NEXT) | instid1(VALU_DEP_1)
	v_cndmask_b32_e64 v27, 0, 0xffffffe0, s0
	v_add_nc_u32_e32 v23, v27, v23
	s_delay_alu instid0(VALU_DEP_1) | instskip(NEXT) | instid1(VALU_DEP_1)
	v_cmp_lt_u32_e64 s1, 31, v23
	v_cndmask_b32_e64 v27, 0, 0xffffffe0, s1
	s_delay_alu instid0(VALU_DEP_1) | instskip(SKIP_2) | instid1(VALU_DEP_3)
	v_dual_cndmask_b32 v31, v34, v30, vcc_lo :: v_dual_add_nc_u32 v23, v27, v23
	v_cndmask_b32_e32 v27, v32, v28, vcc_lo
	v_dual_cndmask_b32 v28, v24, v29, s0 :: v_dual_cndmask_b32 v24, v25, v24, s0
	v_cndmask_b32_e64 v25, v29, v31, s0
	s_delay_alu instid0(VALU_DEP_4) | instskip(NEXT) | instid1(VALU_DEP_4)
	v_sub_nc_u32_e32 v29, 32, v23
	v_cndmask_b32_e64 v31, v31, v27, s0
	v_cmp_eq_u32_e32 vcc_lo, 0, v23
	v_cndmask_b32_e64 v24, v24, v28, s1
	s_delay_alu instid0(VALU_DEP_3) | instskip(NEXT) | instid1(VALU_DEP_1)
	v_dual_cndmask_b32 v28, v28, v25, s1 :: v_dual_cndmask_b32 v25, v25, v31, s1
	v_alignbit_b32 v32, v24, v28, v29
	s_delay_alu instid0(VALU_DEP_2) | instskip(NEXT) | instid1(VALU_DEP_2)
	v_alignbit_b32 v30, v28, v25, v29
	v_dual_cndmask_b32 v23, v32, v24, vcc_lo :: v_dual_cndmask_b32 v24, v27, v26, s0
	s_delay_alu instid0(VALU_DEP_1) | instskip(NEXT) | instid1(VALU_DEP_1)
	v_bfe_u32 v27, v23, 29, 1
	v_dual_cndmask_b32 v26, v30, v28, vcc_lo :: v_dual_sub_nc_u32 v30, 0, v27
	s_delay_alu instid0(VALU_DEP_1) | instskip(NEXT) | instid1(VALU_DEP_1)
	v_alignbit_b32 v28, v23, v26, 30
	v_dual_cndmask_b32 v24, v31, v24, s1 :: v_dual_bitop2_b32 v28, v28, v30 bitop3:0x14
	s_delay_alu instid0(VALU_DEP_1) | instskip(NEXT) | instid1(VALU_DEP_1)
	v_alignbit_b32 v29, v25, v24, v29
	v_cndmask_b32_e32 v25, v29, v25, vcc_lo
	s_delay_alu instid0(VALU_DEP_3) | instskip(NEXT) | instid1(VALU_DEP_2)
	v_clz_i32_u32_e32 v29, v28
	v_alignbit_b32 v24, v25, v24, 30
	s_delay_alu instid0(VALU_DEP_2) | instskip(NEXT) | instid1(VALU_DEP_2)
	v_min_u32_e32 v29, 32, v29
	v_xor_b32_e32 v24, v24, v30
	v_alignbit_b32 v26, v26, v25, 30
	s_delay_alu instid0(VALU_DEP_1) | instskip(SKIP_1) | instid1(VALU_DEP_1)
	v_dual_lshlrev_b32 v31, 23, v29 :: v_dual_bitop2_b32 v25, v26, v30 bitop3:0x14
	v_dual_sub_nc_u32 v26, 31, v29 :: v_dual_lshrrev_b32 v30, 29, v23
	v_alignbit_b32 v28, v28, v25, v26
	v_alignbit_b32 v24, v25, v24, v26
	s_delay_alu instid0(VALU_DEP_3) | instskip(NEXT) | instid1(VALU_DEP_2)
	v_lshlrev_b32_e32 v25, 31, v30
	v_alignbit_b32 v26, v28, v24, 9
	s_delay_alu instid0(VALU_DEP_2) | instskip(NEXT) | instid1(VALU_DEP_2)
	v_dual_lshrrev_b32 v28, 9, v28 :: v_dual_bitop2_b32 v30, 0.5, v25 bitop3:0x54
	v_clz_i32_u32_e32 v32, v26
	s_delay_alu instid0(VALU_DEP_2) | instskip(SKIP_1) | instid1(VALU_DEP_3)
	v_sub_nc_u32_e32 v30, v30, v31
	v_or_b32_e32 v25, 0x33000000, v25
	v_min_u32_e32 v31, 32, v32
	s_delay_alu instid0(VALU_DEP_1) | instskip(NEXT) | instid1(VALU_DEP_4)
	v_add_lshl_u32 v29, v31, v29, 23
	v_or_b32_e32 v28, v28, v30
	v_not_b32_e32 v30, v31
	s_delay_alu instid0(VALU_DEP_2) | instskip(NEXT) | instid1(VALU_DEP_2)
	v_dual_mul_f32 v32, 0x3fc90fda, v28 :: v_dual_sub_nc_u32 v25, v25, v29
	v_alignbit_b32 v24, v26, v24, v30
	s_delay_alu instid0(VALU_DEP_2) | instskip(NEXT) | instid1(VALU_DEP_2)
	v_fma_f32 v26, 0x3fc90fda, v28, -v32
	v_lshrrev_b32_e32 v24, 9, v24
	s_delay_alu instid0(VALU_DEP_2) | instskip(NEXT) | instid1(VALU_DEP_2)
	v_fmamk_f32 v26, v28, 0x33a22168, v26
	v_or_b32_e32 v24, v25, v24
	s_delay_alu instid0(VALU_DEP_1) | instskip(NEXT) | instid1(VALU_DEP_1)
	v_fmac_f32_e32 v26, 0x3fc90fda, v24
	v_dual_add_f32 v23, v32, v26 :: v_dual_lshrrev_b32 v24, 30, v23
	s_delay_alu instid0(VALU_DEP_1)
	v_add_nc_u32_e32 v24, v27, v24
.LBB33_138:
	s_and_not1_saveexec_b32 s0, s2
; %bb.139:
	v_mul_f32_e64 v23, 0x3f22f983, |v7|
	s_delay_alu instid0(VALU_DEP_1) | instskip(NEXT) | instid1(VALU_DEP_1)
	v_rndne_f32_e32 v24, v23
	v_fma_f32 v23, 0xbfc90fda, v24, |v7|
	s_delay_alu instid0(VALU_DEP_1) | instskip(NEXT) | instid1(VALU_DEP_1)
	v_fmamk_f32 v23, v24, 0xb3a22168, v23
	v_fmamk_f32 v23, v24, 0xa7c234c4, v23
	v_cvt_i32_f32_e32 v24, v24
; %bb.140:
	s_or_b32 exec_lo, exec_lo, s0
	global_load_u16 v9, v9, s[6:7]
                                        ; implicit-def: $vgpr27
                                        ; implicit-def: $vgpr26
	s_mov_b32 s1, exec_lo
	s_wait_loadcnt 0x0
	v_lshlrev_b32_e32 v9, 16, v9
	s_delay_alu instid0(VALU_DEP_1)
	v_and_b32_e32 v25, 0x7fffffff, v9
	v_cmpx_ngt_f32_e64 0x48000000, |v9|
	s_xor_b32 s2, exec_lo, s1
	s_cbranch_execz .LBB33_142
; %bb.141:
	s_mov_b32 s0, 0x7fffff
	v_mov_b32_e32 v27, 0
	v_and_or_b32 v26, v25, s0, 0x800000
	s_mov_b64 s[0:1], 0xfe5163ab
	s_delay_alu instid0(VALU_DEP_1) | instid1(SALU_CYCLE_1)
	v_mul_u64_e32 v[28:29], s[0:1], v[26:27]
	s_delay_alu instid0(VALU_DEP_1) | instskip(SKIP_2) | instid1(VALU_DEP_3)
	v_dual_mov_b32 v30, v29 :: v_dual_mov_b32 v31, v27
	v_dual_mov_b32 v33, v27 :: v_dual_mov_b32 v35, v27
	v_dual_mov_b32 v37, v27 :: v_dual_lshrrev_b32 v29, 23, v25
	v_mad_nc_u64_u32 v[30:31], 0x3c439041, v26, v[30:31]
	s_delay_alu instid0(VALU_DEP_1) | instskip(NEXT) | instid1(VALU_DEP_1)
	v_mov_b32_e32 v32, v31
	v_mad_nc_u64_u32 v[32:33], 0xdb629599, v26, v[32:33]
	s_delay_alu instid0(VALU_DEP_1) | instskip(NEXT) | instid1(VALU_DEP_1)
	v_mov_b32_e32 v34, v33
	;; [unrolled: 3-line block ×3, first 2 shown]
	v_mad_nc_u64_u32 v[36:37], 0xfc2757d1, v26, v[36:37]
	s_delay_alu instid0(VALU_DEP_1) | instskip(NEXT) | instid1(VALU_DEP_1)
	v_dual_mov_b32 v39, v27 :: v_dual_mov_b32 v38, v37
	v_mad_nc_u64_u32 v[38:39], 0x4e441529, v26, v[38:39]
	s_delay_alu instid0(VALU_DEP_1) | instskip(NEXT) | instid1(VALU_DEP_1)
	v_dual_mov_b32 v40, v39 :: v_dual_add_nc_u32 v29, 0xffffff88, v29
	v_cmp_lt_u32_e32 vcc_lo, 63, v29
	v_mov_b32_e32 v41, v27
	v_cndmask_b32_e64 v31, 0, 0xffffffc0, vcc_lo
	s_delay_alu instid0(VALU_DEP_2) | instskip(SKIP_1) | instid1(VALU_DEP_3)
	v_mad_nc_u64_u32 v[26:27], 0xa2f9836e, v26, v[40:41]
	v_dual_cndmask_b32 v33, v38, v34, vcc_lo :: v_dual_cndmask_b32 v35, v36, v32, vcc_lo
	v_dual_cndmask_b32 v30, v34, v30 :: v_dual_add_nc_u32 v29, v31, v29
	v_cndmask_b32_e32 v28, v32, v28, vcc_lo
	s_delay_alu instid0(VALU_DEP_2) | instskip(SKIP_1) | instid1(VALU_DEP_2)
	v_cmp_lt_u32_e64 s0, 31, v29
	v_dual_cndmask_b32 v26, v26, v36 :: v_dual_cndmask_b32 v27, v27, v38
	v_cndmask_b32_e64 v31, 0, 0xffffffe0, s0
	s_delay_alu instid0(VALU_DEP_4) | instskip(NEXT) | instid1(VALU_DEP_2)
	v_dual_cndmask_b32 v34, v35, v30, s0 :: v_dual_cndmask_b32 v28, v30, v28, s0
	v_add_nc_u32_e32 v29, v31, v29
	s_delay_alu instid0(VALU_DEP_1) | instskip(NEXT) | instid1(VALU_DEP_1)
	v_cmp_lt_u32_e64 s1, 31, v29
	v_cndmask_b32_e64 v31, 0, 0xffffffe0, s1
	s_delay_alu instid0(VALU_DEP_1) | instskip(SKIP_1) | instid1(VALU_DEP_2)
	v_dual_cndmask_b32 v28, v34, v28, s1 :: v_dual_add_nc_u32 v29, v31, v29
	v_dual_cndmask_b32 v31, v26, v33, s0 :: v_dual_cndmask_b32 v26, v27, v26, s0
	v_dual_cndmask_b32 v27, v33, v35, s0 :: v_dual_sub_nc_u32 v33, 32, v29
	v_cmp_eq_u32_e32 vcc_lo, 0, v29
	s_delay_alu instid0(VALU_DEP_3) | instskip(NEXT) | instid1(VALU_DEP_3)
	v_cndmask_b32_e64 v26, v26, v31, s1
	v_cndmask_b32_e64 v31, v31, v27, s1
	;; [unrolled: 1-line block ×3, first 2 shown]
	s_delay_alu instid0(VALU_DEP_2) | instskip(NEXT) | instid1(VALU_DEP_2)
	v_alignbit_b32 v35, v26, v31, v33
	v_alignbit_b32 v32, v31, v27, v33
	;; [unrolled: 1-line block ×3, first 2 shown]
	s_delay_alu instid0(VALU_DEP_2) | instskip(NEXT) | instid1(VALU_DEP_2)
	v_dual_cndmask_b32 v26, v35, v26 :: v_dual_cndmask_b32 v29, v32, v31
	v_cndmask_b32_e32 v27, v33, v27, vcc_lo
	s_delay_alu instid0(VALU_DEP_2) | instskip(NEXT) | instid1(VALU_DEP_3)
	v_bfe_u32 v30, v26, 29, 1
	v_alignbit_b32 v31, v26, v29, 30
	s_delay_alu instid0(VALU_DEP_3) | instskip(SKIP_1) | instid1(VALU_DEP_4)
	v_alignbit_b32 v29, v29, v27, 30
	v_alignbit_b32 v27, v27, v28, 30
	v_sub_nc_u32_e32 v32, 0, v30
	s_delay_alu instid0(VALU_DEP_1) | instskip(NEXT) | instid1(VALU_DEP_4)
	v_xor_b32_e32 v31, v31, v32
	v_xor_b32_e32 v28, v29, v32
	s_delay_alu instid0(VALU_DEP_4) | instskip(NEXT) | instid1(VALU_DEP_3)
	v_dual_lshrrev_b32 v32, 29, v26 :: v_dual_bitop2_b32 v27, v27, v32 bitop3:0x14
	v_clz_i32_u32_e32 v33, v31
	s_delay_alu instid0(VALU_DEP_1) | instskip(NEXT) | instid1(VALU_DEP_1)
	v_min_u32_e32 v33, 32, v33
	v_dual_sub_nc_u32 v29, 31, v33 :: v_dual_lshlrev_b32 v34, 23, v33
	s_delay_alu instid0(VALU_DEP_1) | instskip(SKIP_2) | instid1(VALU_DEP_2)
	v_alignbit_b32 v31, v31, v28, v29
	v_alignbit_b32 v27, v28, v27, v29
	v_lshlrev_b32_e32 v28, 31, v32
	v_alignbit_b32 v29, v31, v27, 9
	s_delay_alu instid0(VALU_DEP_2) | instskip(SKIP_1) | instid1(VALU_DEP_3)
	v_dual_lshrrev_b32 v31, 9, v31 :: v_dual_bitop2_b32 v32, 0.5, v28 bitop3:0x54
	v_or_b32_e32 v28, 0x33000000, v28
	v_clz_i32_u32_e32 v35, v29
	s_delay_alu instid0(VALU_DEP_3) | instskip(NEXT) | instid1(VALU_DEP_2)
	v_sub_nc_u32_e32 v32, v32, v34
	v_min_u32_e32 v34, 32, v35
	s_delay_alu instid0(VALU_DEP_1) | instskip(NEXT) | instid1(VALU_DEP_3)
	v_add_lshl_u32 v33, v34, v33, 23
	v_or_b32_e32 v31, v31, v32
	v_not_b32_e32 v32, v34
	s_delay_alu instid0(VALU_DEP_2) | instskip(NEXT) | instid1(VALU_DEP_2)
	v_dual_mul_f32 v35, 0x3fc90fda, v31 :: v_dual_sub_nc_u32 v28, v28, v33
	v_alignbit_b32 v27, v29, v27, v32
	s_delay_alu instid0(VALU_DEP_2) | instskip(NEXT) | instid1(VALU_DEP_2)
	v_fma_f32 v29, 0x3fc90fda, v31, -v35
	v_lshrrev_b32_e32 v27, 9, v27
	s_delay_alu instid0(VALU_DEP_2) | instskip(NEXT) | instid1(VALU_DEP_2)
	v_fmamk_f32 v29, v31, 0x33a22168, v29
	v_or_b32_e32 v27, v28, v27
	s_delay_alu instid0(VALU_DEP_1) | instskip(NEXT) | instid1(VALU_DEP_1)
	v_fmac_f32_e32 v29, 0x3fc90fda, v27
	v_dual_add_f32 v26, v35, v29 :: v_dual_lshrrev_b32 v27, 30, v26
	s_delay_alu instid0(VALU_DEP_1)
	v_add_nc_u32_e32 v27, v30, v27
.LBB33_142:
	s_and_not1_saveexec_b32 s0, s2
; %bb.143:
	v_mul_f32_e64 v26, 0x3f22f983, |v9|
	s_delay_alu instid0(VALU_DEP_1) | instskip(NEXT) | instid1(VALU_DEP_1)
	v_rndne_f32_e32 v27, v26
	v_fma_f32 v26, 0xbfc90fda, v27, |v9|
	s_delay_alu instid0(VALU_DEP_1) | instskip(NEXT) | instid1(VALU_DEP_1)
	v_fmamk_f32 v26, v27, 0xb3a22168, v26
	v_fmamk_f32 v26, v27, 0xa7c234c4, v26
	v_cvt_i32_f32_e32 v27, v27
; %bb.144:
	s_or_b32 exec_lo, exec_lo, s0
	global_load_u16 v11, v11, s[6:7]
                                        ; implicit-def: $vgpr30
                                        ; implicit-def: $vgpr29
	s_mov_b32 s1, exec_lo
	s_wait_loadcnt 0x0
	v_lshlrev_b32_e32 v11, 16, v11
	s_delay_alu instid0(VALU_DEP_1)
	v_and_b32_e32 v28, 0x7fffffff, v11
	v_cmpx_ngt_f32_e64 0x48000000, |v11|
	s_xor_b32 s2, exec_lo, s1
	s_cbranch_execz .LBB33_146
; %bb.145:
	s_mov_b32 s0, 0x7fffff
	v_mov_b32_e32 v31, 0
	v_and_or_b32 v30, v28, s0, 0x800000
	s_mov_b64 s[0:1], 0xfe5163ab
	v_lshrrev_b32_e32 v29, 23, v28
	s_delay_alu instid0(VALU_DEP_2) | instskip(NEXT) | instid1(VALU_DEP_1)
	v_mul_u64_e32 v[32:33], s[0:1], v[30:31]
	v_dual_mov_b32 v34, v33 :: v_dual_mov_b32 v35, v31
	v_dual_mov_b32 v37, v31 :: v_dual_mov_b32 v39, v31
	;; [unrolled: 1-line block ×3, first 2 shown]
	s_delay_alu instid0(VALU_DEP_3) | instskip(NEXT) | instid1(VALU_DEP_1)
	v_mad_nc_u64_u32 v[34:35], 0x3c439041, v30, v[34:35]
	v_mov_b32_e32 v36, v35
	s_delay_alu instid0(VALU_DEP_1) | instskip(NEXT) | instid1(VALU_DEP_1)
	v_mad_nc_u64_u32 v[36:37], 0xdb629599, v30, v[36:37]
	v_mov_b32_e32 v38, v37
	s_delay_alu instid0(VALU_DEP_1) | instskip(NEXT) | instid1(VALU_DEP_1)
	;; [unrolled: 3-line block ×3, first 2 shown]
	v_mad_nc_u64_u32 v[40:41], 0xfc2757d1, v30, v[40:41]
	v_dual_mov_b32 v43, v31 :: v_dual_mov_b32 v42, v41
	s_delay_alu instid0(VALU_DEP_1) | instskip(NEXT) | instid1(VALU_DEP_1)
	v_mad_nc_u64_u32 v[42:43], 0x4e441529, v30, v[42:43]
	v_dual_mov_b32 v44, v43 :: v_dual_add_nc_u32 v29, 0xffffff88, v29
	s_delay_alu instid0(VALU_DEP_1) | instskip(NEXT) | instid1(VALU_DEP_2)
	v_cmp_lt_u32_e32 vcc_lo, 63, v29
	v_mad_nc_u64_u32 v[30:31], 0xa2f9836e, v30, v[44:45]
	v_cndmask_b32_e64 v33, 0, 0xffffffc0, vcc_lo
	v_dual_cndmask_b32 v35, v42, v38 :: v_dual_cndmask_b32 v32, v36, v32
	s_delay_alu instid0(VALU_DEP_2) | instskip(NEXT) | instid1(VALU_DEP_1)
	v_add_nc_u32_e32 v29, v33, v29
	v_cmp_lt_u32_e64 s0, 31, v29
	v_dual_cndmask_b32 v30, v30, v40 :: v_dual_cndmask_b32 v31, v31, v42
	s_delay_alu instid0(VALU_DEP_2) | instskip(NEXT) | instid1(VALU_DEP_1)
	v_cndmask_b32_e64 v33, 0, 0xffffffe0, s0
	v_add_nc_u32_e32 v29, v33, v29
	s_delay_alu instid0(VALU_DEP_1) | instskip(NEXT) | instid1(VALU_DEP_1)
	v_cmp_lt_u32_e64 s1, 31, v29
	v_cndmask_b32_e64 v33, 0, 0xffffffe0, s1
	s_delay_alu instid0(VALU_DEP_1) | instskip(SKIP_2) | instid1(VALU_DEP_3)
	v_dual_cndmask_b32 v37, v40, v36, vcc_lo :: v_dual_add_nc_u32 v29, v33, v29
	v_cndmask_b32_e32 v33, v38, v34, vcc_lo
	v_dual_cndmask_b32 v34, v30, v35, s0 :: v_dual_cndmask_b32 v30, v31, v30, s0
	v_cndmask_b32_e64 v31, v35, v37, s0
	s_delay_alu instid0(VALU_DEP_4) | instskip(NEXT) | instid1(VALU_DEP_4)
	v_sub_nc_u32_e32 v35, 32, v29
	v_cndmask_b32_e64 v37, v37, v33, s0
	v_cmp_eq_u32_e32 vcc_lo, 0, v29
	v_cndmask_b32_e64 v30, v30, v34, s1
	s_delay_alu instid0(VALU_DEP_3) | instskip(NEXT) | instid1(VALU_DEP_1)
	v_dual_cndmask_b32 v34, v34, v31, s1 :: v_dual_cndmask_b32 v31, v31, v37, s1
	v_alignbit_b32 v38, v30, v34, v35
	s_delay_alu instid0(VALU_DEP_2) | instskip(NEXT) | instid1(VALU_DEP_2)
	v_alignbit_b32 v36, v34, v31, v35
	v_dual_cndmask_b32 v29, v38, v30, vcc_lo :: v_dual_cndmask_b32 v30, v33, v32, s0
	s_delay_alu instid0(VALU_DEP_1) | instskip(NEXT) | instid1(VALU_DEP_1)
	v_bfe_u32 v33, v29, 29, 1
	v_dual_cndmask_b32 v32, v36, v34, vcc_lo :: v_dual_sub_nc_u32 v36, 0, v33
	s_delay_alu instid0(VALU_DEP_1) | instskip(NEXT) | instid1(VALU_DEP_1)
	v_alignbit_b32 v34, v29, v32, 30
	v_dual_cndmask_b32 v30, v37, v30, s1 :: v_dual_bitop2_b32 v34, v34, v36 bitop3:0x14
	s_delay_alu instid0(VALU_DEP_1) | instskip(NEXT) | instid1(VALU_DEP_1)
	v_alignbit_b32 v35, v31, v30, v35
	v_cndmask_b32_e32 v31, v35, v31, vcc_lo
	s_delay_alu instid0(VALU_DEP_3) | instskip(NEXT) | instid1(VALU_DEP_2)
	v_clz_i32_u32_e32 v35, v34
	v_alignbit_b32 v30, v31, v30, 30
	s_delay_alu instid0(VALU_DEP_2) | instskip(NEXT) | instid1(VALU_DEP_2)
	v_min_u32_e32 v35, 32, v35
	v_xor_b32_e32 v30, v30, v36
	v_alignbit_b32 v32, v32, v31, 30
	s_delay_alu instid0(VALU_DEP_1) | instskip(SKIP_1) | instid1(VALU_DEP_1)
	v_dual_lshlrev_b32 v37, 23, v35 :: v_dual_bitop2_b32 v31, v32, v36 bitop3:0x14
	v_dual_sub_nc_u32 v32, 31, v35 :: v_dual_lshrrev_b32 v36, 29, v29
	v_alignbit_b32 v34, v34, v31, v32
	v_alignbit_b32 v30, v31, v30, v32
	s_delay_alu instid0(VALU_DEP_3) | instskip(NEXT) | instid1(VALU_DEP_2)
	v_lshlrev_b32_e32 v31, 31, v36
	v_alignbit_b32 v32, v34, v30, 9
	s_delay_alu instid0(VALU_DEP_2) | instskip(NEXT) | instid1(VALU_DEP_2)
	v_dual_lshrrev_b32 v34, 9, v34 :: v_dual_bitop2_b32 v36, 0.5, v31 bitop3:0x54
	v_clz_i32_u32_e32 v38, v32
	s_delay_alu instid0(VALU_DEP_2) | instskip(SKIP_1) | instid1(VALU_DEP_3)
	v_sub_nc_u32_e32 v36, v36, v37
	v_or_b32_e32 v31, 0x33000000, v31
	v_min_u32_e32 v37, 32, v38
	s_delay_alu instid0(VALU_DEP_1) | instskip(NEXT) | instid1(VALU_DEP_4)
	v_add_lshl_u32 v35, v37, v35, 23
	v_or_b32_e32 v34, v34, v36
	v_not_b32_e32 v36, v37
	s_delay_alu instid0(VALU_DEP_2) | instskip(NEXT) | instid1(VALU_DEP_2)
	v_dual_mul_f32 v38, 0x3fc90fda, v34 :: v_dual_sub_nc_u32 v31, v31, v35
	v_alignbit_b32 v30, v32, v30, v36
	s_delay_alu instid0(VALU_DEP_2) | instskip(NEXT) | instid1(VALU_DEP_2)
	v_fma_f32 v32, 0x3fc90fda, v34, -v38
	v_lshrrev_b32_e32 v30, 9, v30
	s_delay_alu instid0(VALU_DEP_2) | instskip(NEXT) | instid1(VALU_DEP_2)
	v_fmamk_f32 v32, v34, 0x33a22168, v32
	v_or_b32_e32 v30, v31, v30
	s_delay_alu instid0(VALU_DEP_1) | instskip(NEXT) | instid1(VALU_DEP_1)
	v_fmac_f32_e32 v32, 0x3fc90fda, v30
	v_dual_add_f32 v29, v38, v32 :: v_dual_lshrrev_b32 v30, 30, v29
	s_delay_alu instid0(VALU_DEP_1)
	v_add_nc_u32_e32 v30, v33, v30
.LBB33_146:
	s_and_not1_saveexec_b32 s0, s2
; %bb.147:
	v_mul_f32_e64 v29, 0x3f22f983, |v11|
	s_delay_alu instid0(VALU_DEP_1) | instskip(NEXT) | instid1(VALU_DEP_1)
	v_rndne_f32_e32 v30, v29
	v_fma_f32 v29, 0xbfc90fda, v30, |v11|
	s_delay_alu instid0(VALU_DEP_1) | instskip(NEXT) | instid1(VALU_DEP_1)
	v_fmamk_f32 v29, v30, 0xb3a22168, v29
	v_fmamk_f32 v29, v30, 0xa7c234c4, v29
	v_cvt_i32_f32_e32 v30, v30
; %bb.148:
	s_or_b32 exec_lo, exec_lo, s0
	global_load_u16 v13, v13, s[6:7]
                                        ; implicit-def: $vgpr33
                                        ; implicit-def: $vgpr32
	s_mov_b32 s1, exec_lo
	s_wait_loadcnt 0x0
	v_lshlrev_b32_e32 v13, 16, v13
	s_delay_alu instid0(VALU_DEP_1)
	v_and_b32_e32 v31, 0x7fffffff, v13
	v_cmpx_ngt_f32_e64 0x48000000, |v13|
	s_xor_b32 s2, exec_lo, s1
	s_cbranch_execz .LBB33_150
; %bb.149:
	s_mov_b32 s0, 0x7fffff
	v_mov_b32_e32 v33, 0
	v_and_or_b32 v32, v31, s0, 0x800000
	s_mov_b64 s[0:1], 0xfe5163ab
	s_delay_alu instid0(VALU_DEP_1) | instid1(SALU_CYCLE_1)
	v_mul_u64_e32 v[34:35], s[0:1], v[32:33]
	s_delay_alu instid0(VALU_DEP_1) | instskip(SKIP_2) | instid1(VALU_DEP_3)
	v_dual_mov_b32 v36, v35 :: v_dual_mov_b32 v37, v33
	v_dual_mov_b32 v39, v33 :: v_dual_mov_b32 v41, v33
	v_dual_mov_b32 v43, v33 :: v_dual_lshrrev_b32 v35, 23, v31
	v_mad_nc_u64_u32 v[36:37], 0x3c439041, v32, v[36:37]
	s_delay_alu instid0(VALU_DEP_1) | instskip(NEXT) | instid1(VALU_DEP_1)
	v_mov_b32_e32 v38, v37
	v_mad_nc_u64_u32 v[38:39], 0xdb629599, v32, v[38:39]
	s_delay_alu instid0(VALU_DEP_1) | instskip(NEXT) | instid1(VALU_DEP_1)
	v_mov_b32_e32 v40, v39
	;; [unrolled: 3-line block ×3, first 2 shown]
	v_mad_nc_u64_u32 v[42:43], 0xfc2757d1, v32, v[42:43]
	s_delay_alu instid0(VALU_DEP_1) | instskip(NEXT) | instid1(VALU_DEP_1)
	v_dual_mov_b32 v45, v33 :: v_dual_mov_b32 v44, v43
	v_mad_nc_u64_u32 v[44:45], 0x4e441529, v32, v[44:45]
	s_delay_alu instid0(VALU_DEP_1) | instskip(NEXT) | instid1(VALU_DEP_1)
	v_dual_mov_b32 v46, v45 :: v_dual_add_nc_u32 v35, 0xffffff88, v35
	v_cmp_lt_u32_e32 vcc_lo, 63, v35
	v_mov_b32_e32 v47, v33
	v_cndmask_b32_e64 v37, 0, 0xffffffc0, vcc_lo
	s_delay_alu instid0(VALU_DEP_2) | instskip(SKIP_1) | instid1(VALU_DEP_3)
	v_mad_nc_u64_u32 v[32:33], 0xa2f9836e, v32, v[46:47]
	v_dual_cndmask_b32 v39, v44, v40, vcc_lo :: v_dual_cndmask_b32 v41, v42, v38, vcc_lo
	v_dual_cndmask_b32 v36, v40, v36 :: v_dual_add_nc_u32 v35, v37, v35
	v_cndmask_b32_e32 v34, v38, v34, vcc_lo
	s_delay_alu instid0(VALU_DEP_2) | instskip(SKIP_1) | instid1(VALU_DEP_2)
	v_cmp_lt_u32_e64 s0, 31, v35
	v_dual_cndmask_b32 v32, v32, v42 :: v_dual_cndmask_b32 v33, v33, v44
	v_cndmask_b32_e64 v37, 0, 0xffffffe0, s0
	s_delay_alu instid0(VALU_DEP_4) | instskip(NEXT) | instid1(VALU_DEP_2)
	v_dual_cndmask_b32 v40, v41, v36, s0 :: v_dual_cndmask_b32 v34, v36, v34, s0
	v_add_nc_u32_e32 v35, v37, v35
	s_delay_alu instid0(VALU_DEP_1) | instskip(NEXT) | instid1(VALU_DEP_1)
	v_cmp_lt_u32_e64 s1, 31, v35
	v_cndmask_b32_e64 v37, 0, 0xffffffe0, s1
	s_delay_alu instid0(VALU_DEP_1) | instskip(SKIP_1) | instid1(VALU_DEP_2)
	v_dual_cndmask_b32 v34, v40, v34, s1 :: v_dual_add_nc_u32 v35, v37, v35
	v_dual_cndmask_b32 v37, v32, v39, s0 :: v_dual_cndmask_b32 v32, v33, v32, s0
	v_dual_cndmask_b32 v33, v39, v41, s0 :: v_dual_sub_nc_u32 v39, 32, v35
	v_cmp_eq_u32_e32 vcc_lo, 0, v35
	s_delay_alu instid0(VALU_DEP_3) | instskip(NEXT) | instid1(VALU_DEP_3)
	v_cndmask_b32_e64 v32, v32, v37, s1
	v_cndmask_b32_e64 v37, v37, v33, s1
	v_cndmask_b32_e64 v33, v33, v40, s1
	s_delay_alu instid0(VALU_DEP_2) | instskip(NEXT) | instid1(VALU_DEP_2)
	v_alignbit_b32 v41, v32, v37, v39
	v_alignbit_b32 v38, v37, v33, v39
	;; [unrolled: 1-line block ×3, first 2 shown]
	s_delay_alu instid0(VALU_DEP_2) | instskip(NEXT) | instid1(VALU_DEP_2)
	v_dual_cndmask_b32 v32, v41, v32 :: v_dual_cndmask_b32 v35, v38, v37
	v_cndmask_b32_e32 v33, v39, v33, vcc_lo
	s_delay_alu instid0(VALU_DEP_2) | instskip(NEXT) | instid1(VALU_DEP_3)
	v_bfe_u32 v36, v32, 29, 1
	v_alignbit_b32 v37, v32, v35, 30
	s_delay_alu instid0(VALU_DEP_3) | instskip(SKIP_1) | instid1(VALU_DEP_4)
	v_alignbit_b32 v35, v35, v33, 30
	v_alignbit_b32 v33, v33, v34, 30
	v_sub_nc_u32_e32 v38, 0, v36
	s_delay_alu instid0(VALU_DEP_1) | instskip(NEXT) | instid1(VALU_DEP_4)
	v_xor_b32_e32 v37, v37, v38
	v_xor_b32_e32 v34, v35, v38
	s_delay_alu instid0(VALU_DEP_4) | instskip(NEXT) | instid1(VALU_DEP_3)
	v_dual_lshrrev_b32 v38, 29, v32 :: v_dual_bitop2_b32 v33, v33, v38 bitop3:0x14
	v_clz_i32_u32_e32 v39, v37
	s_delay_alu instid0(VALU_DEP_1) | instskip(NEXT) | instid1(VALU_DEP_1)
	v_min_u32_e32 v39, 32, v39
	v_dual_sub_nc_u32 v35, 31, v39 :: v_dual_lshlrev_b32 v40, 23, v39
	s_delay_alu instid0(VALU_DEP_1) | instskip(SKIP_2) | instid1(VALU_DEP_2)
	v_alignbit_b32 v37, v37, v34, v35
	v_alignbit_b32 v33, v34, v33, v35
	v_lshlrev_b32_e32 v34, 31, v38
	v_alignbit_b32 v35, v37, v33, 9
	s_delay_alu instid0(VALU_DEP_2) | instskip(SKIP_1) | instid1(VALU_DEP_3)
	v_dual_lshrrev_b32 v37, 9, v37 :: v_dual_bitop2_b32 v38, 0.5, v34 bitop3:0x54
	v_or_b32_e32 v34, 0x33000000, v34
	v_clz_i32_u32_e32 v41, v35
	s_delay_alu instid0(VALU_DEP_3) | instskip(NEXT) | instid1(VALU_DEP_2)
	v_sub_nc_u32_e32 v38, v38, v40
	v_min_u32_e32 v40, 32, v41
	s_delay_alu instid0(VALU_DEP_1) | instskip(NEXT) | instid1(VALU_DEP_3)
	v_add_lshl_u32 v39, v40, v39, 23
	v_or_b32_e32 v37, v37, v38
	v_not_b32_e32 v38, v40
	s_delay_alu instid0(VALU_DEP_2) | instskip(NEXT) | instid1(VALU_DEP_2)
	v_dual_mul_f32 v41, 0x3fc90fda, v37 :: v_dual_sub_nc_u32 v34, v34, v39
	v_alignbit_b32 v33, v35, v33, v38
	s_delay_alu instid0(VALU_DEP_2) | instskip(NEXT) | instid1(VALU_DEP_2)
	v_fma_f32 v35, 0x3fc90fda, v37, -v41
	v_lshrrev_b32_e32 v33, 9, v33
	s_delay_alu instid0(VALU_DEP_2) | instskip(NEXT) | instid1(VALU_DEP_2)
	v_fmamk_f32 v35, v37, 0x33a22168, v35
	v_or_b32_e32 v33, v34, v33
	s_delay_alu instid0(VALU_DEP_1) | instskip(NEXT) | instid1(VALU_DEP_1)
	v_fmac_f32_e32 v35, 0x3fc90fda, v33
	v_dual_add_f32 v32, v41, v35 :: v_dual_lshrrev_b32 v33, 30, v32
	s_delay_alu instid0(VALU_DEP_1)
	v_add_nc_u32_e32 v33, v36, v33
.LBB33_150:
	s_and_not1_saveexec_b32 s0, s2
; %bb.151:
	v_mul_f32_e64 v32, 0x3f22f983, |v13|
	s_delay_alu instid0(VALU_DEP_1) | instskip(NEXT) | instid1(VALU_DEP_1)
	v_rndne_f32_e32 v33, v32
	v_fma_f32 v32, 0xbfc90fda, v33, |v13|
	s_delay_alu instid0(VALU_DEP_1) | instskip(NEXT) | instid1(VALU_DEP_1)
	v_fmamk_f32 v32, v33, 0xb3a22168, v32
	v_fmamk_f32 v32, v33, 0xa7c234c4, v32
	v_cvt_i32_f32_e32 v33, v33
; %bb.152:
	s_or_b32 exec_lo, exec_lo, s0
	global_load_u16 v1, v1, s[6:7]
                                        ; implicit-def: $vgpr39
                                        ; implicit-def: $vgpr38
	s_mov_b32 s1, exec_lo
	s_wait_loadcnt 0x0
	v_lshlrev_b32_e32 v34, 16, v1
	s_delay_alu instid0(VALU_DEP_1)
	v_and_b32_e32 v35, 0x7fffffff, v34
	s_wait_xcnt 0x0
	v_cmpx_ngt_f32_e64 0x48000000, |v34|
	s_xor_b32 s2, exec_lo, s1
	s_cbranch_execz .LBB33_154
; %bb.153:
	s_mov_b32 s0, 0x7fffff
	v_mov_b32_e32 v37, 0
	v_and_or_b32 v36, v35, s0, 0x800000
	s_mov_b64 s[0:1], 0xfe5163ab
	v_lshrrev_b32_e32 v1, 23, v35
	s_delay_alu instid0(VALU_DEP_2) | instskip(NEXT) | instid1(VALU_DEP_1)
	v_mul_u64_e32 v[38:39], s[0:1], v[36:37]
	v_dual_mov_b32 v40, v39 :: v_dual_mov_b32 v41, v37
	v_dual_mov_b32 v43, v37 :: v_dual_mov_b32 v45, v37
	;; [unrolled: 1-line block ×3, first 2 shown]
	s_delay_alu instid0(VALU_DEP_3) | instskip(NEXT) | instid1(VALU_DEP_1)
	v_mad_nc_u64_u32 v[40:41], 0x3c439041, v36, v[40:41]
	v_mov_b32_e32 v42, v41
	s_delay_alu instid0(VALU_DEP_1) | instskip(NEXT) | instid1(VALU_DEP_1)
	v_mad_nc_u64_u32 v[42:43], 0xdb629599, v36, v[42:43]
	v_mov_b32_e32 v44, v43
	s_delay_alu instid0(VALU_DEP_1) | instskip(NEXT) | instid1(VALU_DEP_1)
	;; [unrolled: 3-line block ×3, first 2 shown]
	v_mad_nc_u64_u32 v[46:47], 0xfc2757d1, v36, v[46:47]
	v_dual_mov_b32 v49, v37 :: v_dual_mov_b32 v48, v47
	s_delay_alu instid0(VALU_DEP_1) | instskip(NEXT) | instid1(VALU_DEP_1)
	v_mad_nc_u64_u32 v[48:49], 0x4e441529, v36, v[48:49]
	v_dual_mov_b32 v50, v49 :: v_dual_add_nc_u32 v1, 0xffffff88, v1
	s_delay_alu instid0(VALU_DEP_1) | instskip(NEXT) | instid1(VALU_DEP_2)
	v_cmp_lt_u32_e32 vcc_lo, 63, v1
	v_mad_nc_u64_u32 v[36:37], 0xa2f9836e, v36, v[50:51]
	v_cndmask_b32_e64 v39, 0, 0xffffffc0, vcc_lo
	v_dual_cndmask_b32 v41, v48, v44 :: v_dual_cndmask_b32 v38, v42, v38
	s_delay_alu instid0(VALU_DEP_2) | instskip(NEXT) | instid1(VALU_DEP_1)
	v_add_nc_u32_e32 v1, v39, v1
	v_cmp_lt_u32_e64 s0, 31, v1
	v_dual_cndmask_b32 v36, v36, v46 :: v_dual_cndmask_b32 v37, v37, v48
	s_delay_alu instid0(VALU_DEP_2) | instskip(NEXT) | instid1(VALU_DEP_1)
	v_cndmask_b32_e64 v39, 0, 0xffffffe0, s0
	v_add_nc_u32_e32 v1, v39, v1
	s_delay_alu instid0(VALU_DEP_1) | instskip(NEXT) | instid1(VALU_DEP_1)
	v_cmp_lt_u32_e64 s1, 31, v1
	v_cndmask_b32_e64 v39, 0, 0xffffffe0, s1
	s_delay_alu instid0(VALU_DEP_1) | instskip(SKIP_2) | instid1(VALU_DEP_3)
	v_dual_cndmask_b32 v43, v46, v42, vcc_lo :: v_dual_add_nc_u32 v1, v39, v1
	v_cndmask_b32_e32 v39, v44, v40, vcc_lo
	v_dual_cndmask_b32 v40, v36, v41, s0 :: v_dual_cndmask_b32 v36, v37, v36, s0
	v_dual_cndmask_b32 v37, v41, v43, s0 :: v_dual_sub_nc_u32 v41, 32, v1
	s_delay_alu instid0(VALU_DEP_3) | instskip(SKIP_1) | instid1(VALU_DEP_4)
	v_cndmask_b32_e64 v43, v43, v39, s0
	v_cmp_eq_u32_e32 vcc_lo, 0, v1
	v_cndmask_b32_e64 v36, v36, v40, s1
	s_delay_alu instid0(VALU_DEP_3) | instskip(NEXT) | instid1(VALU_DEP_1)
	v_dual_cndmask_b32 v40, v40, v37, s1 :: v_dual_cndmask_b32 v37, v37, v43, s1
	v_alignbit_b32 v44, v36, v40, v41
	s_delay_alu instid0(VALU_DEP_2) | instskip(NEXT) | instid1(VALU_DEP_2)
	v_alignbit_b32 v42, v40, v37, v41
	v_dual_cndmask_b32 v1, v44, v36, vcc_lo :: v_dual_cndmask_b32 v36, v39, v38, s0
	s_delay_alu instid0(VALU_DEP_1) | instskip(NEXT) | instid1(VALU_DEP_1)
	v_bfe_u32 v39, v1, 29, 1
	v_dual_cndmask_b32 v38, v42, v40, vcc_lo :: v_dual_sub_nc_u32 v42, 0, v39
	s_delay_alu instid0(VALU_DEP_1) | instskip(NEXT) | instid1(VALU_DEP_1)
	v_alignbit_b32 v40, v1, v38, 30
	v_dual_cndmask_b32 v36, v43, v36, s1 :: v_dual_bitop2_b32 v40, v40, v42 bitop3:0x14
	s_delay_alu instid0(VALU_DEP_1) | instskip(NEXT) | instid1(VALU_DEP_1)
	v_alignbit_b32 v41, v37, v36, v41
	v_cndmask_b32_e32 v37, v41, v37, vcc_lo
	s_delay_alu instid0(VALU_DEP_3) | instskip(NEXT) | instid1(VALU_DEP_2)
	v_clz_i32_u32_e32 v41, v40
	v_alignbit_b32 v36, v37, v36, 30
	s_delay_alu instid0(VALU_DEP_2) | instskip(NEXT) | instid1(VALU_DEP_2)
	v_min_u32_e32 v41, 32, v41
	v_xor_b32_e32 v36, v36, v42
	v_alignbit_b32 v38, v38, v37, 30
	s_delay_alu instid0(VALU_DEP_1) | instskip(SKIP_1) | instid1(VALU_DEP_1)
	v_dual_lshlrev_b32 v43, 23, v41 :: v_dual_bitop2_b32 v37, v38, v42 bitop3:0x14
	v_sub_nc_u32_e32 v38, 31, v41
	v_alignbit_b32 v40, v40, v37, v38
	v_lshrrev_b32_e32 v42, 29, v1
	v_alignbit_b32 v36, v37, v36, v38
	v_lshrrev_b32_e32 v1, 30, v1
	s_delay_alu instid0(VALU_DEP_2) | instskip(NEXT) | instid1(VALU_DEP_4)
	v_alignbit_b32 v38, v40, v36, 9
	v_dual_lshrrev_b32 v40, 9, v40 :: v_dual_lshlrev_b32 v37, 31, v42
	s_delay_alu instid0(VALU_DEP_3) | instskip(NEXT) | instid1(VALU_DEP_3)
	v_add_nc_u32_e32 v39, v39, v1
	v_clz_i32_u32_e32 v44, v38
	s_delay_alu instid0(VALU_DEP_3) | instskip(SKIP_1) | instid1(VALU_DEP_2)
	v_or_b32_e32 v42, 0.5, v37
	v_or_b32_e32 v37, 0x33000000, v37
	v_sub_nc_u32_e32 v42, v42, v43
	s_delay_alu instid0(VALU_DEP_4) | instskip(NEXT) | instid1(VALU_DEP_1)
	v_min_u32_e32 v43, 32, v44
	v_add_lshl_u32 v41, v43, v41, 23
	s_delay_alu instid0(VALU_DEP_1) | instskip(SKIP_1) | instid1(VALU_DEP_2)
	v_dual_sub_nc_u32 v37, v37, v41 :: v_dual_bitop2_b32 v40, v40, v42 bitop3:0x54
	v_not_b32_e32 v42, v43
	v_mul_f32_e32 v44, 0x3fc90fda, v40
	s_delay_alu instid0(VALU_DEP_2) | instskip(NEXT) | instid1(VALU_DEP_2)
	v_alignbit_b32 v36, v38, v36, v42
	v_fma_f32 v38, 0x3fc90fda, v40, -v44
	s_delay_alu instid0(VALU_DEP_2) | instskip(NEXT) | instid1(VALU_DEP_2)
	v_lshrrev_b32_e32 v36, 9, v36
	v_fmamk_f32 v38, v40, 0x33a22168, v38
	s_delay_alu instid0(VALU_DEP_2) | instskip(NEXT) | instid1(VALU_DEP_1)
	v_or_b32_e32 v36, v37, v36
	v_fmac_f32_e32 v38, 0x3fc90fda, v36
	s_delay_alu instid0(VALU_DEP_1)
	v_add_f32_e32 v38, v44, v38
.LBB33_154:
	s_and_not1_saveexec_b32 s0, s2
; %bb.155:
	v_mul_f32_e64 v1, 0x3f22f983, |v34|
	s_delay_alu instid0(VALU_DEP_1) | instskip(NEXT) | instid1(VALU_DEP_1)
	v_rndne_f32_e32 v1, v1
	v_fma_f32 v36, 0xbfc90fda, v1, |v34|
	v_cvt_i32_f32_e32 v39, v1
	s_delay_alu instid0(VALU_DEP_2) | instskip(NEXT) | instid1(VALU_DEP_1)
	v_fmamk_f32 v36, v1, 0xb3a22168, v36
	v_fmamk_f32 v38, v1, 0xa7c234c4, v36
; %bb.156:
	s_or_b32 exec_lo, exec_lo, s0
	global_load_u16 v1, v15, s[6:7]
                                        ; implicit-def: $vgpr37
                                        ; implicit-def: $vgpr36
	s_mov_b32 s1, exec_lo
	s_wait_loadcnt 0x0
	v_lshlrev_b32_e32 v1, 16, v1
	s_wait_xcnt 0x0
	s_delay_alu instid0(VALU_DEP_1)
	v_and_b32_e32 v15, 0x7fffffff, v1
	v_cmpx_ngt_f32_e64 0x48000000, |v1|
	s_xor_b32 s2, exec_lo, s1
	s_cbranch_execz .LBB33_158
; %bb.157:
	s_mov_b32 s0, 0x7fffff
	v_mov_b32_e32 v37, 0
	v_and_or_b32 v36, v15, s0, 0x800000
	s_mov_b64 s[0:1], 0xfe5163ab
	s_delay_alu instid0(VALU_DEP_1) | instid1(SALU_CYCLE_1)
	v_mul_u64_e32 v[40:41], s[0:1], v[36:37]
	s_delay_alu instid0(VALU_DEP_1) | instskip(SKIP_2) | instid1(VALU_DEP_3)
	v_dual_mov_b32 v42, v41 :: v_dual_mov_b32 v43, v37
	v_dual_mov_b32 v45, v37 :: v_dual_mov_b32 v47, v37
	v_dual_mov_b32 v49, v37 :: v_dual_lshrrev_b32 v41, 23, v15
	v_mad_nc_u64_u32 v[42:43], 0x3c439041, v36, v[42:43]
	s_delay_alu instid0(VALU_DEP_1) | instskip(NEXT) | instid1(VALU_DEP_1)
	v_dual_mov_b32 v53, v37 :: v_dual_mov_b32 v44, v43
	v_mad_nc_u64_u32 v[44:45], 0xdb629599, v36, v[44:45]
	s_delay_alu instid0(VALU_DEP_1) | instskip(NEXT) | instid1(VALU_DEP_1)
	v_mov_b32_e32 v46, v45
	v_mad_nc_u64_u32 v[46:47], 0xf534ddc0, v36, v[46:47]
	s_delay_alu instid0(VALU_DEP_1) | instskip(NEXT) | instid1(VALU_DEP_1)
	v_mov_b32_e32 v48, v47
	v_mad_nc_u64_u32 v[48:49], 0xfc2757d1, v36, v[48:49]
	s_delay_alu instid0(VALU_DEP_1) | instskip(NEXT) | instid1(VALU_DEP_1)
	v_dual_mov_b32 v51, v37 :: v_dual_mov_b32 v50, v49
	v_mad_nc_u64_u32 v[50:51], 0x4e441529, v36, v[50:51]
	s_delay_alu instid0(VALU_DEP_1) | instskip(NEXT) | instid1(VALU_DEP_1)
	v_dual_mov_b32 v52, v51 :: v_dual_add_nc_u32 v41, 0xffffff88, v41
	v_cmp_lt_u32_e32 vcc_lo, 63, v41
	s_delay_alu instid0(VALU_DEP_2) | instskip(SKIP_2) | instid1(VALU_DEP_2)
	v_mad_nc_u64_u32 v[36:37], 0xa2f9836e, v36, v[52:53]
	v_cndmask_b32_e64 v43, 0, 0xffffffc0, vcc_lo
	v_dual_cndmask_b32 v45, v50, v46 :: v_dual_cndmask_b32 v40, v44, v40
	v_add_nc_u32_e32 v41, v43, v41
	s_delay_alu instid0(VALU_DEP_1) | instskip(SKIP_2) | instid1(VALU_DEP_3)
	v_cmp_lt_u32_e64 s0, 31, v41
	v_dual_cndmask_b32 v36, v36, v48 :: v_dual_cndmask_b32 v37, v37, v50
	v_cndmask_b32_e32 v42, v46, v42, vcc_lo
	v_cndmask_b32_e64 v43, 0, 0xffffffe0, s0
	s_delay_alu instid0(VALU_DEP_1) | instskip(NEXT) | instid1(VALU_DEP_1)
	v_add_nc_u32_e32 v41, v43, v41
	v_cmp_lt_u32_e64 s1, 31, v41
	s_delay_alu instid0(VALU_DEP_1) | instskip(NEXT) | instid1(VALU_DEP_1)
	v_cndmask_b32_e64 v43, 0, 0xffffffe0, s1
	v_dual_cndmask_b32 v47, v48, v44, vcc_lo :: v_dual_add_nc_u32 v41, v43, v41
	v_dual_cndmask_b32 v43, v36, v45, s0 :: v_dual_cndmask_b32 v36, v37, v36, s0
	s_delay_alu instid0(VALU_DEP_2) | instskip(NEXT) | instid1(VALU_DEP_3)
	v_dual_cndmask_b32 v37, v45, v47, s0 :: v_dual_cndmask_b32 v46, v47, v42, s0
	v_sub_nc_u32_e32 v45, 32, v41
	v_cmp_eq_u32_e32 vcc_lo, 0, v41
	s_delay_alu instid0(VALU_DEP_3) | instskip(NEXT) | instid1(VALU_DEP_4)
	v_dual_cndmask_b32 v36, v36, v43, s1 :: v_dual_cndmask_b32 v43, v43, v37, s1
	v_dual_cndmask_b32 v37, v37, v46, s1 :: v_dual_cndmask_b32 v40, v42, v40, s0
	s_delay_alu instid0(VALU_DEP_2) | instskip(NEXT) | instid1(VALU_DEP_2)
	v_alignbit_b32 v47, v36, v43, v45
	v_alignbit_b32 v44, v43, v37, v45
	s_delay_alu instid0(VALU_DEP_1) | instskip(NEXT) | instid1(VALU_DEP_1)
	v_dual_cndmask_b32 v36, v47, v36 :: v_dual_cndmask_b32 v41, v44, v43
	v_bfe_u32 v42, v36, 29, 1
	s_delay_alu instid0(VALU_DEP_2) | instskip(NEXT) | instid1(VALU_DEP_2)
	v_alignbit_b32 v43, v36, v41, 30
	v_dual_sub_nc_u32 v44, 0, v42 :: v_dual_cndmask_b32 v40, v46, v40, s1
	s_delay_alu instid0(VALU_DEP_1) | instskip(NEXT) | instid1(VALU_DEP_2)
	v_xor_b32_e32 v43, v43, v44
	v_alignbit_b32 v45, v37, v40, v45
	s_delay_alu instid0(VALU_DEP_1) | instskip(NEXT) | instid1(VALU_DEP_3)
	v_cndmask_b32_e32 v37, v45, v37, vcc_lo
	v_clz_i32_u32_e32 v45, v43
	s_delay_alu instid0(VALU_DEP_2) | instskip(NEXT) | instid1(VALU_DEP_2)
	v_alignbit_b32 v41, v41, v37, 30
	v_min_u32_e32 v45, 32, v45
	v_alignbit_b32 v37, v37, v40, 30
	s_delay_alu instid0(VALU_DEP_2) | instskip(NEXT) | instid1(VALU_DEP_2)
	v_dual_lshlrev_b32 v46, 23, v45 :: v_dual_bitop2_b32 v40, v41, v44 bitop3:0x14
	v_dual_sub_nc_u32 v41, 31, v45 :: v_dual_bitop2_b32 v37, v37, v44 bitop3:0x14
	s_delay_alu instid0(VALU_DEP_1) | instskip(SKIP_1) | instid1(VALU_DEP_3)
	v_alignbit_b32 v43, v43, v40, v41
	v_lshrrev_b32_e32 v44, 29, v36
	v_alignbit_b32 v37, v40, v37, v41
	s_delay_alu instid0(VALU_DEP_1) | instskip(NEXT) | instid1(VALU_DEP_3)
	v_alignbit_b32 v41, v43, v37, 9
	v_dual_lshrrev_b32 v43, 9, v43 :: v_dual_lshlrev_b32 v40, 31, v44
	s_delay_alu instid0(VALU_DEP_2) | instskip(NEXT) | instid1(VALU_DEP_2)
	v_clz_i32_u32_e32 v47, v41
	v_or_b32_e32 v44, 0.5, v40
	v_or_b32_e32 v40, 0x33000000, v40
	s_delay_alu instid0(VALU_DEP_2) | instskip(NEXT) | instid1(VALU_DEP_4)
	v_sub_nc_u32_e32 v44, v44, v46
	v_min_u32_e32 v46, 32, v47
	s_delay_alu instid0(VALU_DEP_2) | instskip(NEXT) | instid1(VALU_DEP_2)
	v_or_b32_e32 v43, v43, v44
	v_not_b32_e32 v44, v46
	v_add_lshl_u32 v45, v46, v45, 23
	s_delay_alu instid0(VALU_DEP_2) | instskip(NEXT) | instid1(VALU_DEP_2)
	v_alignbit_b32 v37, v41, v37, v44
	v_sub_nc_u32_e32 v40, v40, v45
	s_delay_alu instid0(VALU_DEP_2) | instskip(SKIP_1) | instid1(VALU_DEP_2)
	v_lshrrev_b32_e32 v37, 9, v37
	v_mul_f32_e32 v47, 0x3fc90fda, v43
	v_or_b32_e32 v37, v40, v37
	s_delay_alu instid0(VALU_DEP_2) | instskip(NEXT) | instid1(VALU_DEP_1)
	v_fma_f32 v41, 0x3fc90fda, v43, -v47
	v_fmamk_f32 v41, v43, 0x33a22168, v41
	s_delay_alu instid0(VALU_DEP_1) | instskip(NEXT) | instid1(VALU_DEP_1)
	v_fmac_f32_e32 v41, 0x3fc90fda, v37
	v_dual_add_f32 v36, v47, v41 :: v_dual_lshrrev_b32 v37, 30, v36
	s_delay_alu instid0(VALU_DEP_1)
	v_add_nc_u32_e32 v37, v42, v37
.LBB33_158:
	s_and_not1_saveexec_b32 s0, s2
; %bb.159:
	v_mul_f32_e64 v36, 0x3f22f983, |v1|
	s_delay_alu instid0(VALU_DEP_1) | instskip(NEXT) | instid1(VALU_DEP_1)
	v_rndne_f32_e32 v37, v36
	v_fma_f32 v36, 0xbfc90fda, v37, |v1|
	s_delay_alu instid0(VALU_DEP_1) | instskip(NEXT) | instid1(VALU_DEP_1)
	v_fmamk_f32 v36, v37, 0xb3a22168, v36
	v_fmamk_f32 v36, v37, 0xa7c234c4, v36
	v_cvt_i32_f32_e32 v37, v37
; %bb.160:
	s_or_b32 exec_lo, exec_lo, s0
	v_dual_mul_f32 v40, v38, v38 :: v_dual_bitop2_b32 v41, 1, v39 bitop3:0x40
	s_mov_b32 s0, 0xb94c1982
	s_mov_b32 s1, 0x37d75334
	v_dual_mul_f32 v44, v32, v32 :: v_dual_bitop2_b32 v45, 1, v33 bitop3:0x40
	s_delay_alu instid0(VALU_DEP_2) | instskip(SKIP_1) | instid1(VALU_DEP_3)
	v_dual_fmaak_f32 v42, s0, v40, 0x3c0881c4 :: v_dual_lshlrev_b32 v39, 30, v39
	v_cmp_eq_u32_e32 vcc_lo, 0, v41
	v_dual_fmaak_f32 v46, s0, v44, 0x3c0881c4 :: v_dual_lshlrev_b32 v33, 30, v33
	s_delay_alu instid0(VALU_DEP_3) | instskip(SKIP_2) | instid1(VALU_DEP_4)
	v_fmaak_f32 v42, v40, v42, 0xbe2aaa9d
	v_fmaak_f32 v43, s1, v40, 0xbab64f3b
	v_bitop3_b32 v35, v35, v39, 0x80000000 bitop3:0x78
	v_fmaak_f32 v46, v44, v46, 0xbe2aaa9d
	s_delay_alu instid0(VALU_DEP_4) | instskip(NEXT) | instid1(VALU_DEP_4)
	v_dual_mul_f32 v48, v29, v29 :: v_dual_mul_f32 v42, v40, v42
	v_fmaak_f32 v43, v40, v43, 0x3d2aabf7
	v_fmaak_f32 v47, s1, v44, 0xbab64f3b
	s_delay_alu instid0(VALU_DEP_4) | instskip(SKIP_1) | instid1(VALU_DEP_4)
	v_mul_f32_e32 v39, v44, v46
	v_bitop3_b32 v31, v31, v33, 0x80000000 bitop3:0x78
	v_dual_fmac_f32 v38, v38, v42 :: v_dual_fmaak_f32 v43, v40, v43, 0xbf000004
	s_delay_alu instid0(VALU_DEP_3) | instskip(NEXT) | instid1(VALU_DEP_2)
	v_dual_fmac_f32 v32, v32, v39 :: v_dual_fmaak_f32 v39, s0, v48, 0x3c0881c4
	v_fma_f32 v40, v40, v43, 1.0
	s_delay_alu instid0(VALU_DEP_1) | instskip(SKIP_2) | instid1(VALU_DEP_3)
	v_cndmask_b32_e32 v38, v40, v38, vcc_lo
	v_cmp_eq_u32_e32 vcc_lo, 0, v45
	v_fmaak_f32 v47, v44, v47, 0x3d2aabf7
	v_xor3_b32 v35, v35, v38, v34
	s_delay_alu instid0(VALU_DEP_2) | instskip(NEXT) | instid1(VALU_DEP_1)
	v_fmaak_f32 v42, v44, v47, 0xbf000004
	v_fma_f32 v33, v44, v42, 1.0
	s_delay_alu instid0(VALU_DEP_1) | instskip(SKIP_3) | instid1(VALU_DEP_4)
	v_cndmask_b32_e32 v32, v33, v32, vcc_lo
	v_cmp_class_f32_e64 vcc_lo, v34, 0x1f8
	v_fmaak_f32 v34, v48, v39, 0xbe2aaa9d
	v_dual_lshlrev_b32 v30, 30, v30 :: v_dual_bitop2_b32 v39, 1, v30 bitop3:0x40
	v_xor3_b32 v31, v31, v32, v13
	v_cndmask_b32_e32 v33, 0x7fc00000, v35, vcc_lo
	v_cmp_class_f32_e64 vcc_lo, v13, 0x1f8
	s_delay_alu instid0(VALU_DEP_4) | instskip(NEXT) | instid1(VALU_DEP_3)
	v_bitop3_b32 v28, v28, v30, 0x80000000 bitop3:0x78
	v_bfe_u32 v32, v33, 16, 1
	v_cndmask_b32_e32 v13, 0x7fc00000, v31, vcc_lo
	s_delay_alu instid0(VALU_DEP_2) | instskip(NEXT) | instid1(VALU_DEP_1)
	v_add3_u32 v31, v33, v32, 0x7fff
	v_dual_fmaak_f32 v38, s1, v48, 0xbab64f3b :: v_dual_lshrrev_b32 v31, 16, v31
	s_delay_alu instid0(VALU_DEP_1) | instskip(SKIP_1) | instid1(VALU_DEP_1)
	v_fmaak_f32 v35, v48, v38, 0x3d2aabf7
	v_mul_f32_e32 v38, v26, v26
	v_fmaak_f32 v32, s0, v38, 0x3c0881c4
	s_delay_alu instid0(VALU_DEP_1) | instskip(NEXT) | instid1(VALU_DEP_1)
	v_fmaak_f32 v32, v38, v32, 0xbe2aaa9d
	v_dual_mul_f32 v30, v38, v32 :: v_dual_mul_f32 v34, v48, v34
	s_delay_alu instid0(VALU_DEP_1) | instskip(NEXT) | instid1(VALU_DEP_2)
	v_dual_fmaak_f32 v35, v48, v35, 0xbf000004 :: v_dual_fmac_f32 v26, v26, v30
	v_fmac_f32_e32 v29, v29, v34
	v_fmaak_f32 v34, s1, v38, 0xbab64f3b
	s_delay_alu instid0(VALU_DEP_3) | instskip(SKIP_1) | instid1(VALU_DEP_2)
	v_fma_f32 v35, v48, v35, 1.0
	v_cmp_eq_u32_e32 vcc_lo, 0, v39
	v_dual_fmaak_f32 v34, v38, v34, 0x3d2aabf7 :: v_dual_cndmask_b32 v29, v35, v29
	v_cmp_class_f32_e64 vcc_lo, v11, 0x1f8
	s_delay_alu instid0(VALU_DEP_2) | instskip(SKIP_1) | instid1(VALU_DEP_4)
	v_fmaak_f32 v32, v38, v34, 0xbf000004
	v_bfe_u32 v34, v13, 16, 1
	v_xor3_b32 v28, v28, v29, v11
	s_delay_alu instid0(VALU_DEP_3) | instskip(SKIP_1) | instid1(VALU_DEP_3)
	v_fma_f32 v30, v38, v32, 1.0
	v_dual_lshlrev_b32 v27, 30, v27 :: v_dual_bitop2_b32 v29, 1, v27 bitop3:0x40
	v_cndmask_b32_e32 v11, 0x7fc00000, v28, vcc_lo
	s_delay_alu instid0(VALU_DEP_2) | instskip(NEXT) | instid1(VALU_DEP_3)
	v_cmp_eq_u32_e32 vcc_lo, 0, v29
	v_bitop3_b32 v25, v25, v27, 0x80000000 bitop3:0x78
	v_add3_u32 v27, v13, v34, 0x7fff
	v_cndmask_b32_e32 v26, v30, v26, vcc_lo
	v_cmp_o_f32_e32 vcc_lo, v33, v33
	s_delay_alu instid0(VALU_DEP_3) | instskip(NEXT) | instid1(VALU_DEP_3)
	v_lshrrev_b32_e32 v27, 16, v27
	v_xor3_b32 v25, v25, v26, v9
	v_mul_f32_e32 v26, v23, v23
	v_bfe_u32 v28, v11, 16, 1
	s_delay_alu instid0(VALU_DEP_1) | instskip(SKIP_2) | instid1(VALU_DEP_3)
	v_add3_u32 v28, v11, v28, 0x7fff
	v_cndmask_b32_e32 v29, 0x7fc0, v31, vcc_lo
	v_cmp_class_f32_e64 vcc_lo, v9, 0x1f8
	v_dual_mul_f32 v31, v21, v21 :: v_dual_lshrrev_b32 v28, 16, v28
	v_cndmask_b32_e32 v9, 0x7fc00000, v25, vcc_lo
	v_cmp_o_f32_e32 vcc_lo, v13, v13
	v_fmaak_f32 v25, s0, v26, 0x3c0881c4
	s_delay_alu instid0(VALU_DEP_4)
	v_fmaak_f32 v32, s1, v31, 0xbab64f3b
	v_cndmask_b32_e32 v13, 0x7fc0, v27, vcc_lo
	v_cmp_o_f32_e32 vcc_lo, v11, v11
	v_fmaak_f32 v27, s1, v26, 0xbab64f3b
	v_cndmask_b32_e32 v11, 0x7fc0, v28, vcc_lo
	v_fmaak_f32 v28, s0, v31, 0x3c0881c4
	v_fmaak_f32 v25, v26, v25, 0xbe2aaa9d
	s_delay_alu instid0(VALU_DEP_4) | instskip(NEXT) | instid1(VALU_DEP_2)
	v_fmaak_f32 v27, v26, v27, 0x3d2aabf7
	v_mul_f32_e32 v25, v26, v25
	s_delay_alu instid0(VALU_DEP_1) | instskip(SKIP_3) | instid1(VALU_DEP_3)
	v_fmac_f32_e32 v23, v23, v25
	v_fmaak_f32 v25, v31, v28, 0xbe2aaa9d
	v_dual_lshlrev_b32 v24, 30, v24 :: v_dual_bitop2_b32 v28, 1, v24 bitop3:0x40
	v_bfe_u32 v30, v9, 16, 1
	v_mul_f32_e32 v25, v31, v25
	s_delay_alu instid0(VALU_DEP_3) | instskip(NEXT) | instid1(VALU_DEP_4)
	v_cmp_eq_u32_e32 vcc_lo, 0, v28
	v_bitop3_b32 v22, v22, v24, 0x80000000 bitop3:0x78
	v_mul_f32_e32 v24, v17, v17
	v_add3_u32 v30, v9, v30, 0x7fff
	v_dual_fmac_f32 v21, v21, v25 :: v_dual_bitop2_b32 v25, 1, v20 bitop3:0x40
	v_dual_fmaak_f32 v27, v26, v27, 0xbf000004 :: v_dual_lshlrev_b32 v20, 30, v20
	s_delay_alu instid0(VALU_DEP_1) | instskip(NEXT) | instid1(VALU_DEP_2)
	v_bitop3_b32 v19, v19, v20, 0x80000000 bitop3:0x78
	v_fma_f32 v26, v26, v27, 1.0
	v_fmaak_f32 v27, v31, v32, 0x3d2aabf7
	s_delay_alu instid0(VALU_DEP_2) | instskip(SKIP_2) | instid1(VALU_DEP_1)
	v_cndmask_b32_e32 v23, v26, v23, vcc_lo
	v_cmp_eq_u32_e32 vcc_lo, 0, v25
	v_fmaak_f32 v25, s1, v24, 0xbab64f3b
	v_fmaak_f32 v25, v24, v25, 0x3d2aabf7
	v_dual_fmaak_f32 v26, v31, v27, 0xbf000004 :: v_dual_mul_f32 v27, v36, v36
	v_xor3_b32 v22, v22, v23, v7
	v_fmaak_f32 v23, s0, v24, 0x3c0881c4
	s_delay_alu instid0(VALU_DEP_4) | instskip(NEXT) | instid1(VALU_DEP_4)
	v_fmaak_f32 v25, v24, v25, 0xbf000004
	v_fma_f32 v26, v31, v26, 1.0
	v_fmaak_f32 v28, s1, v27, 0xbab64f3b
	s_delay_alu instid0(VALU_DEP_2) | instskip(SKIP_2) | instid1(VALU_DEP_1)
	v_cndmask_b32_e32 v21, v26, v21, vcc_lo
	v_fmaak_f32 v26, s0, v27, 0x3c0881c4
	v_fmaak_f32 v23, v24, v23, 0xbe2aaa9d
	v_dual_mul_f32 v20, v24, v23 :: v_dual_fmaak_f32 v23, v27, v26, 0xbe2aaa9d
	v_fmaak_f32 v26, v27, v28, 0x3d2aabf7
	v_xor3_b32 v19, v19, v21, v5
	s_delay_alu instid0(VALU_DEP_3) | instskip(SKIP_2) | instid1(VALU_DEP_3)
	v_dual_fmac_f32 v17, v17, v20 :: v_dual_mul_f32 v20, v27, v23
	v_fma_f32 v23, v24, v25, 1.0
	v_dual_lshlrev_b32 v18, 30, v18 :: v_dual_bitop2_b32 v24, 1, v18 bitop3:0x40
	v_dual_fmac_f32 v36, v36, v20 :: v_dual_lshlrev_b32 v25, 30, v37
	v_fmaak_f32 v21, v27, v26, 0xbf000004
	s_delay_alu instid0(VALU_DEP_3) | instskip(NEXT) | instid1(VALU_DEP_4)
	v_cmp_eq_u32_e32 vcc_lo, 0, v24
	v_bitop3_b32 v16, v16, v18, 0x80000000 bitop3:0x78
	s_delay_alu instid0(VALU_DEP_4) | instskip(NEXT) | instid1(VALU_DEP_4)
	v_bitop3_b32 v15, v15, v25, 0x80000000 bitop3:0x78
	v_fma_f32 v20, v27, v21, 1.0
	v_and_b32_e32 v21, 1, v37
	v_cndmask_b32_e32 v17, v23, v17, vcc_lo
	s_delay_alu instid0(VALU_DEP_2) | instskip(NEXT) | instid1(VALU_DEP_2)
	v_cmp_eq_u32_e32 vcc_lo, 0, v21
	v_xor3_b32 v16, v16, v17, v3
	v_cndmask_b32_e32 v18, v20, v36, vcc_lo
	v_cmp_class_f32_e64 vcc_lo, v7, 0x1f8
	s_delay_alu instid0(VALU_DEP_2) | instskip(SKIP_4) | instid1(VALU_DEP_2)
	v_xor3_b32 v15, v15, v18, v1
	v_cndmask_b32_e32 v7, 0x7fc00000, v22, vcc_lo
	v_cmp_class_f32_e64 vcc_lo, v5, 0x1f8
	v_dual_cndmask_b32 v5, 0x7fc00000, v19 :: v_dual_lshrrev_b32 v18, 16, v30
	v_cmp_class_f32_e64 vcc_lo, v3, 0x1f8
	v_bfe_u32 v17, v5, 16, 1
	v_cndmask_b32_e32 v3, 0x7fc00000, v16, vcc_lo
	v_cmp_class_f32_e64 vcc_lo, v1, 0x1f8
	v_bfe_u32 v16, v7, 16, 1
	s_delay_alu instid0(VALU_DEP_4) | instskip(SKIP_3) | instid1(VALU_DEP_4)
	v_add3_u32 v17, v5, v17, 0x7fff
	v_cndmask_b32_e32 v1, 0x7fc00000, v15, vcc_lo
	v_bfe_u32 v15, v3, 16, 1
	v_cmp_o_f32_e32 vcc_lo, v9, v9
	v_lshrrev_b32_e32 v17, 16, v17
	v_add3_u32 v16, v7, v16, 0x7fff
	v_bfe_u32 v19, v1, 16, 1
	v_add3_u32 v15, v3, v15, 0x7fff
	v_cndmask_b32_e32 v9, 0x7fc0, v18, vcc_lo
	v_cmp_o_f32_e32 vcc_lo, v5, v5
	v_lshrrev_b32_e32 v16, 16, v16
	v_add3_u32 v18, v1, v19, 0x7fff
	v_lshrrev_b32_e32 v15, 16, v15
	v_cndmask_b32_e32 v5, 0x7fc0, v17, vcc_lo
	v_cmp_o_f32_e32 vcc_lo, v3, v3
	s_delay_alu instid0(VALU_DEP_4) | instskip(NEXT) | instid1(VALU_DEP_4)
	v_lshrrev_b32_e32 v17, 16, v18
	v_cndmask_b32_e32 v3, 0x7fc0, v15, vcc_lo
	v_cmp_o_f32_e32 vcc_lo, v7, v7
	v_cndmask_b32_e32 v7, 0x7fc0, v16, vcc_lo
	v_cmp_o_f32_e32 vcc_lo, v1, v1
	v_cndmask_b32_e32 v1, 0x7fc0, v17, vcc_lo
	s_clause 0x7
	global_store_b16 v2, v3, s[4:5]
	global_store_b16 v4, v5, s[4:5]
	;; [unrolled: 1-line block ×8, first 2 shown]
	s_endpgm
.LBB33_161:
	v_dual_mov_b32 v3, 0 :: v_dual_mov_b32 v2, 0
	s_branch .LBB33_167
.LBB33_162:
	v_dual_mov_b32 v3, 0 :: v_dual_mov_b32 v2, 0
	s_branch .LBB33_187
.LBB33_163:
	v_mov_b64_e32 v[2:3], 0
	v_mov_b32_e32 v1, v0
	s_mov_b32 s0, 0
.LBB33_164:
	s_and_b32 s16, s1, 3
	s_mov_b32 s1, 0
	s_cmp_eq_u32 s16, 0
	s_cbranch_scc1 .LBB33_167
; %bb.165:
	s_lshl_b32 s24, s0, 3
	s_mov_b32 s25, s1
	s_mul_u64 s[26:27], s[0:1], 12
	s_add_nc_u64 s[24:25], s[2:3], s[24:25]
	s_delay_alu instid0(SALU_CYCLE_1)
	s_add_nc_u64 s[0:1], s[24:25], 0xc4
	s_add_nc_u64 s[24:25], s[2:3], s[26:27]
.LBB33_166:                             ; =>This Inner Loop Header: Depth=1
	s_load_b96 s[40:42], s[24:25], 0x4
	s_load_b64 s[26:27], s[0:1], 0x0
	s_add_co_i32 s16, s16, -1
	s_wait_xcnt 0x0
	s_add_nc_u64 s[24:25], s[24:25], 12
	s_cmp_lg_u32 s16, 0
	s_add_nc_u64 s[0:1], s[0:1], 8
	s_wait_kmcnt 0x0
	v_mul_hi_u32 v4, s41, v1
	s_delay_alu instid0(VALU_DEP_1) | instskip(NEXT) | instid1(VALU_DEP_1)
	v_add_nc_u32_e32 v4, v1, v4
	v_lshrrev_b32_e32 v4, s42, v4
	s_delay_alu instid0(VALU_DEP_1) | instskip(NEXT) | instid1(VALU_DEP_1)
	v_mul_lo_u32 v5, v4, s40
	v_sub_nc_u32_e32 v1, v1, v5
	s_delay_alu instid0(VALU_DEP_1)
	v_mad_u32 v3, v1, s27, v3
	v_mad_u32 v2, v1, s26, v2
	v_mov_b32_e32 v1, v4
	s_cbranch_scc1 .LBB33_166
.LBB33_167:
	s_cbranch_execnz .LBB33_170
.LBB33_168:
	v_mov_b32_e32 v1, 0
	s_and_not1_b32 vcc_lo, exec_lo, s33
	s_delay_alu instid0(VALU_DEP_1) | instskip(NEXT) | instid1(VALU_DEP_1)
	v_mul_u64_e32 v[2:3], s[18:19], v[0:1]
	v_add_nc_u32_e32 v2, v0, v3
	s_delay_alu instid0(VALU_DEP_1) | instskip(NEXT) | instid1(VALU_DEP_1)
	v_lshrrev_b32_e32 v4, s10, v2
	v_mul_lo_u32 v2, v4, s8
	s_delay_alu instid0(VALU_DEP_1) | instskip(NEXT) | instid1(VALU_DEP_1)
	v_sub_nc_u32_e32 v2, v0, v2
	v_mul_lo_u32 v3, v2, s13
	v_mul_lo_u32 v2, v2, s12
	s_cbranch_vccnz .LBB33_170
; %bb.169:
	v_mov_b32_e32 v5, v1
	s_delay_alu instid0(VALU_DEP_1) | instskip(NEXT) | instid1(VALU_DEP_1)
	v_mul_u64_e32 v[6:7], s[20:21], v[4:5]
	v_add_nc_u32_e32 v1, v4, v7
	s_delay_alu instid0(VALU_DEP_1) | instskip(NEXT) | instid1(VALU_DEP_1)
	v_lshrrev_b32_e32 v1, s17, v1
	v_mul_lo_u32 v1, v1, s11
	s_delay_alu instid0(VALU_DEP_1) | instskip(NEXT) | instid1(VALU_DEP_1)
	v_sub_nc_u32_e32 v1, v4, v1
	v_mad_u32 v2, v1, s14, v2
	v_mad_u32 v3, v1, s15, v3
.LBB33_170:
	global_load_u16 v1, v3, s[6:7]
                                        ; implicit-def: $vgpr5
                                        ; implicit-def: $vgpr4
	s_mov_b32 s1, exec_lo
	s_wait_loadcnt 0x0
	v_lshlrev_b32_e32 v1, 16, v1
	s_delay_alu instid0(VALU_DEP_1)
	v_and_b32_e32 v3, 0x7fffffff, v1
	v_cmpx_ngt_f32_e64 0x48000000, |v1|
	s_xor_b32 s16, exec_lo, s1
	s_cbranch_execz .LBB33_172
; %bb.171:
	s_mov_b32 s0, 0x7fffff
	v_mov_b32_e32 v5, 0
	v_and_or_b32 v4, v3, s0, 0x800000
	s_mov_b64 s[0:1], 0xfe5163ab
	s_delay_alu instid0(VALU_DEP_1) | instid1(SALU_CYCLE_1)
	v_mul_u64_e32 v[6:7], s[0:1], v[4:5]
	s_delay_alu instid0(VALU_DEP_1) | instskip(SKIP_2) | instid1(VALU_DEP_3)
	v_dual_mov_b32 v8, v7 :: v_dual_mov_b32 v9, v5
	v_dual_mov_b32 v11, v5 :: v_dual_mov_b32 v13, v5
	v_dual_mov_b32 v15, v5 :: v_dual_lshrrev_b32 v7, 23, v3
	v_mad_nc_u64_u32 v[8:9], 0x3c439041, v4, v[8:9]
	s_delay_alu instid0(VALU_DEP_1) | instskip(NEXT) | instid1(VALU_DEP_1)
	v_mov_b32_e32 v10, v9
	v_mad_nc_u64_u32 v[10:11], 0xdb629599, v4, v[10:11]
	s_delay_alu instid0(VALU_DEP_1) | instskip(NEXT) | instid1(VALU_DEP_1)
	v_mov_b32_e32 v12, v11
	v_mad_nc_u64_u32 v[12:13], 0xf534ddc0, v4, v[12:13]
	s_delay_alu instid0(VALU_DEP_1) | instskip(NEXT) | instid1(VALU_DEP_1)
	v_mov_b32_e32 v14, v13
	v_mad_nc_u64_u32 v[14:15], 0xfc2757d1, v4, v[14:15]
	s_delay_alu instid0(VALU_DEP_1) | instskip(NEXT) | instid1(VALU_DEP_1)
	v_dual_mov_b32 v17, v5 :: v_dual_mov_b32 v16, v15
	v_mad_nc_u64_u32 v[16:17], 0x4e441529, v4, v[16:17]
	s_delay_alu instid0(VALU_DEP_1) | instskip(NEXT) | instid1(VALU_DEP_1)
	v_dual_mov_b32 v18, v17 :: v_dual_add_nc_u32 v7, 0xffffff88, v7
	v_cmp_lt_u32_e32 vcc_lo, 63, v7
	v_mov_b32_e32 v19, v5
	v_cndmask_b32_e64 v9, 0, 0xffffffc0, vcc_lo
	s_delay_alu instid0(VALU_DEP_2) | instskip(SKIP_1) | instid1(VALU_DEP_3)
	v_mad_nc_u64_u32 v[4:5], 0xa2f9836e, v4, v[18:19]
	v_dual_cndmask_b32 v11, v16, v12, vcc_lo :: v_dual_cndmask_b32 v13, v14, v10, vcc_lo
	v_dual_cndmask_b32 v8, v12, v8 :: v_dual_add_nc_u32 v7, v9, v7
	v_cndmask_b32_e32 v6, v10, v6, vcc_lo
	s_delay_alu instid0(VALU_DEP_2) | instskip(SKIP_1) | instid1(VALU_DEP_2)
	v_cmp_lt_u32_e64 s0, 31, v7
	v_dual_cndmask_b32 v4, v4, v14 :: v_dual_cndmask_b32 v5, v5, v16
	v_cndmask_b32_e64 v9, 0, 0xffffffe0, s0
	s_delay_alu instid0(VALU_DEP_4) | instskip(NEXT) | instid1(VALU_DEP_2)
	v_dual_cndmask_b32 v12, v13, v8, s0 :: v_dual_cndmask_b32 v6, v8, v6, s0
	v_add_nc_u32_e32 v7, v9, v7
	s_delay_alu instid0(VALU_DEP_1) | instskip(NEXT) | instid1(VALU_DEP_1)
	v_cmp_lt_u32_e64 s1, 31, v7
	v_cndmask_b32_e64 v9, 0, 0xffffffe0, s1
	s_delay_alu instid0(VALU_DEP_1) | instskip(SKIP_1) | instid1(VALU_DEP_2)
	v_dual_cndmask_b32 v6, v12, v6, s1 :: v_dual_add_nc_u32 v7, v9, v7
	v_dual_cndmask_b32 v9, v4, v11, s0 :: v_dual_cndmask_b32 v4, v5, v4, s0
	v_dual_cndmask_b32 v5, v11, v13, s0 :: v_dual_sub_nc_u32 v11, 32, v7
	v_cmp_eq_u32_e32 vcc_lo, 0, v7
	s_delay_alu instid0(VALU_DEP_3) | instskip(NEXT) | instid1(VALU_DEP_3)
	v_cndmask_b32_e64 v4, v4, v9, s1
	v_cndmask_b32_e64 v9, v9, v5, s1
	;; [unrolled: 1-line block ×3, first 2 shown]
	s_delay_alu instid0(VALU_DEP_2) | instskip(NEXT) | instid1(VALU_DEP_2)
	v_alignbit_b32 v13, v4, v9, v11
	v_alignbit_b32 v10, v9, v5, v11
	v_alignbit_b32 v11, v5, v6, v11
	s_delay_alu instid0(VALU_DEP_2) | instskip(NEXT) | instid1(VALU_DEP_2)
	v_dual_cndmask_b32 v4, v13, v4 :: v_dual_cndmask_b32 v7, v10, v9
	v_cndmask_b32_e32 v5, v11, v5, vcc_lo
	s_delay_alu instid0(VALU_DEP_2) | instskip(NEXT) | instid1(VALU_DEP_3)
	v_bfe_u32 v8, v4, 29, 1
	v_alignbit_b32 v9, v4, v7, 30
	s_delay_alu instid0(VALU_DEP_3) | instskip(SKIP_1) | instid1(VALU_DEP_4)
	v_alignbit_b32 v7, v7, v5, 30
	v_alignbit_b32 v5, v5, v6, 30
	v_sub_nc_u32_e32 v10, 0, v8
	s_delay_alu instid0(VALU_DEP_1) | instskip(NEXT) | instid1(VALU_DEP_4)
	v_xor_b32_e32 v9, v9, v10
	v_xor_b32_e32 v6, v7, v10
	s_delay_alu instid0(VALU_DEP_4) | instskip(NEXT) | instid1(VALU_DEP_3)
	v_dual_lshrrev_b32 v10, 29, v4 :: v_dual_bitop2_b32 v5, v5, v10 bitop3:0x14
	v_clz_i32_u32_e32 v11, v9
	s_delay_alu instid0(VALU_DEP_1) | instskip(NEXT) | instid1(VALU_DEP_1)
	v_min_u32_e32 v11, 32, v11
	v_dual_sub_nc_u32 v7, 31, v11 :: v_dual_lshlrev_b32 v12, 23, v11
	s_delay_alu instid0(VALU_DEP_1) | instskip(SKIP_2) | instid1(VALU_DEP_2)
	v_alignbit_b32 v9, v9, v6, v7
	v_alignbit_b32 v5, v6, v5, v7
	v_lshlrev_b32_e32 v6, 31, v10
	v_alignbit_b32 v7, v9, v5, 9
	s_delay_alu instid0(VALU_DEP_2) | instskip(SKIP_1) | instid1(VALU_DEP_3)
	v_dual_lshrrev_b32 v9, 9, v9 :: v_dual_bitop2_b32 v10, 0.5, v6 bitop3:0x54
	v_or_b32_e32 v6, 0x33000000, v6
	v_clz_i32_u32_e32 v13, v7
	s_delay_alu instid0(VALU_DEP_3) | instskip(NEXT) | instid1(VALU_DEP_2)
	v_sub_nc_u32_e32 v10, v10, v12
	v_min_u32_e32 v12, 32, v13
	s_delay_alu instid0(VALU_DEP_1) | instskip(NEXT) | instid1(VALU_DEP_3)
	v_add_lshl_u32 v11, v12, v11, 23
	v_or_b32_e32 v9, v9, v10
	v_not_b32_e32 v10, v12
	s_delay_alu instid0(VALU_DEP_2) | instskip(NEXT) | instid1(VALU_DEP_2)
	v_dual_mul_f32 v13, 0x3fc90fda, v9 :: v_dual_sub_nc_u32 v6, v6, v11
	v_alignbit_b32 v5, v7, v5, v10
	s_delay_alu instid0(VALU_DEP_2) | instskip(NEXT) | instid1(VALU_DEP_2)
	v_fma_f32 v7, 0x3fc90fda, v9, -v13
	v_lshrrev_b32_e32 v5, 9, v5
	s_delay_alu instid0(VALU_DEP_2) | instskip(NEXT) | instid1(VALU_DEP_2)
	v_fmamk_f32 v7, v9, 0x33a22168, v7
	v_or_b32_e32 v5, v6, v5
	s_delay_alu instid0(VALU_DEP_1) | instskip(NEXT) | instid1(VALU_DEP_1)
	v_fmac_f32_e32 v7, 0x3fc90fda, v5
	v_dual_add_f32 v4, v13, v7 :: v_dual_lshrrev_b32 v5, 30, v4
	s_delay_alu instid0(VALU_DEP_1)
	v_add_nc_u32_e32 v5, v8, v5
.LBB33_172:
	s_and_not1_saveexec_b32 s0, s16
; %bb.173:
	v_mul_f32_e64 v4, 0x3f22f983, |v1|
	s_delay_alu instid0(VALU_DEP_1) | instskip(NEXT) | instid1(VALU_DEP_1)
	v_rndne_f32_e32 v5, v4
	v_fma_f32 v4, 0xbfc90fda, v5, |v1|
	s_delay_alu instid0(VALU_DEP_1) | instskip(NEXT) | instid1(VALU_DEP_1)
	v_fmamk_f32 v4, v5, 0xb3a22168, v4
	v_fmamk_f32 v4, v5, 0xa7c234c4, v4
	v_cvt_i32_f32_e32 v5, v5
; %bb.174:
	s_or_b32 exec_lo, exec_lo, s0
	s_delay_alu instid0(VALU_DEP_1) | instskip(SKIP_3) | instid1(VALU_DEP_2)
	v_dual_mul_f32 v6, v4, v4 :: v_dual_bitop2_b32 v9, 1, v5 bitop3:0x40
	s_mov_b32 s0, 0xb94c1982
	s_mov_b32 s1, 0x37d75334
	v_add_nc_u32_e32 v0, 0x80, v0
	v_fmaak_f32 v7, s0, v6, 0x3c0881c4
	v_cmp_eq_u32_e32 vcc_lo, 0, v9
	v_lshlrev_b32_e32 v5, 30, v5
	s_delay_alu instid0(VALU_DEP_3) | instskip(SKIP_1) | instid1(VALU_DEP_3)
	v_fmaak_f32 v7, v6, v7, 0xbe2aaa9d
	v_fmaak_f32 v8, s1, v6, 0xbab64f3b
	v_bitop3_b32 v3, v3, v5, 0x80000000 bitop3:0x78
	s_delay_alu instid0(VALU_DEP_2) | instskip(NEXT) | instid1(VALU_DEP_1)
	v_dual_mul_f32 v7, v6, v7 :: v_dual_fmaak_f32 v8, v6, v8, 0x3d2aabf7
	v_fmac_f32_e32 v4, v4, v7
	s_delay_alu instid0(VALU_DEP_2) | instskip(NEXT) | instid1(VALU_DEP_1)
	v_fmaak_f32 v8, v6, v8, 0xbf000004
	v_fma_f32 v6, v6, v8, 1.0
	s_delay_alu instid0(VALU_DEP_1) | instskip(SKIP_1) | instid1(VALU_DEP_2)
	v_cndmask_b32_e32 v4, v6, v4, vcc_lo
	v_cmp_class_f32_e64 vcc_lo, v1, 0x1f8
	v_xor3_b32 v3, v3, v4, v1
	s_delay_alu instid0(VALU_DEP_1) | instskip(NEXT) | instid1(VALU_DEP_1)
	v_cndmask_b32_e32 v1, 0x7fc00000, v3, vcc_lo
	v_bfe_u32 v3, v1, 16, 1
	v_cmp_o_f32_e32 vcc_lo, v1, v1
	s_delay_alu instid0(VALU_DEP_2) | instskip(NEXT) | instid1(VALU_DEP_1)
	v_add3_u32 v3, v1, v3, 0x7fff
	v_lshrrev_b32_e32 v3, 16, v3
	s_delay_alu instid0(VALU_DEP_1) | instskip(SKIP_3) | instid1(SALU_CYCLE_1)
	v_cndmask_b32_e32 v1, 0x7fc0, v3, vcc_lo
	global_store_b16 v2, v1, s[4:5]
	s_wait_xcnt 0x0
	s_or_b32 exec_lo, exec_lo, s9
	s_mov_b32 s9, exec_lo
	v_cmpx_gt_i32_e64 s34, v0
	s_cbranch_execnz .LBB33_15
.LBB33_175:
	s_or_b32 exec_lo, exec_lo, s9
	s_delay_alu instid0(SALU_CYCLE_1)
	s_mov_b32 s9, exec_lo
	v_cmpx_gt_i32_e64 s34, v0
	s_cbranch_execz .LBB33_195
.LBB33_176:
	s_and_not1_b32 vcc_lo, exec_lo, s30
	s_cbranch_vccnz .LBB33_181
; %bb.177:
	s_and_not1_b32 vcc_lo, exec_lo, s36
	s_cbranch_vccnz .LBB33_182
; %bb.178:
	s_add_co_i32 s1, s35, 1
	s_cmp_eq_u32 s29, 2
	s_cbranch_scc1 .LBB33_203
; %bb.179:
	v_dual_mov_b32 v2, 0 :: v_dual_mov_b32 v3, 0
	v_mov_b32_e32 v1, v0
	s_and_b32 s0, s1, 28
	s_mov_b32 s16, 0
	s_mov_b64 s[24:25], s[2:3]
	s_mov_b64 s[26:27], s[22:23]
.LBB33_180:                             ; =>This Inner Loop Header: Depth=1
	s_clause 0x1
	s_load_b256 s[40:47], s[24:25], 0x4
	s_load_b128 s[56:59], s[24:25], 0x24
	s_load_b256 s[48:55], s[26:27], 0x0
	s_add_co_i32 s16, s16, 4
	s_wait_xcnt 0x0
	s_add_nc_u64 s[24:25], s[24:25], 48
	s_cmp_eq_u32 s0, s16
	s_add_nc_u64 s[26:27], s[26:27], 32
	s_wait_kmcnt 0x0
	v_mul_hi_u32 v4, s41, v1
	s_delay_alu instid0(VALU_DEP_1) | instskip(NEXT) | instid1(VALU_DEP_1)
	v_add_nc_u32_e32 v4, v1, v4
	v_lshrrev_b32_e32 v4, s42, v4
	s_delay_alu instid0(VALU_DEP_1) | instskip(NEXT) | instid1(VALU_DEP_1)
	v_mul_hi_u32 v5, s44, v4
	v_add_nc_u32_e32 v5, v4, v5
	s_delay_alu instid0(VALU_DEP_1) | instskip(NEXT) | instid1(VALU_DEP_1)
	v_lshrrev_b32_e32 v5, s45, v5
	v_mul_hi_u32 v6, s47, v5
	s_delay_alu instid0(VALU_DEP_1) | instskip(SKIP_1) | instid1(VALU_DEP_1)
	v_add_nc_u32_e32 v6, v5, v6
	v_mul_lo_u32 v7, v4, s40
	v_sub_nc_u32_e32 v1, v1, v7
	v_mul_lo_u32 v7, v5, s43
	s_delay_alu instid0(VALU_DEP_4) | instskip(NEXT) | instid1(VALU_DEP_3)
	v_lshrrev_b32_e32 v6, s56, v6
	v_mad_u32 v3, v1, s49, v3
	v_mad_u32 v1, v1, s48, v2
	s_delay_alu instid0(VALU_DEP_4) | instskip(NEXT) | instid1(VALU_DEP_4)
	v_sub_nc_u32_e32 v2, v4, v7
	v_mul_hi_u32 v8, s58, v6
	v_mul_lo_u32 v4, v6, s46
	s_delay_alu instid0(VALU_DEP_3) | instskip(SKIP_1) | instid1(VALU_DEP_4)
	v_mad_u32 v3, v2, s51, v3
	v_mad_u32 v2, v2, s50, v1
	v_add_nc_u32_e32 v7, v6, v8
	s_delay_alu instid0(VALU_DEP_1) | instskip(NEXT) | instid1(VALU_DEP_1)
	v_dual_sub_nc_u32 v4, v5, v4 :: v_dual_lshrrev_b32 v1, s59, v7
	v_mad_u32 v3, v4, s53, v3
	s_delay_alu instid0(VALU_DEP_4) | instskip(NEXT) | instid1(VALU_DEP_3)
	v_mad_u32 v2, v4, s52, v2
	v_mul_lo_u32 v5, v1, s57
	s_delay_alu instid0(VALU_DEP_1) | instskip(NEXT) | instid1(VALU_DEP_1)
	v_sub_nc_u32_e32 v4, v6, v5
	v_mad_u32 v3, v4, s55, v3
	s_delay_alu instid0(VALU_DEP_4)
	v_mad_u32 v2, v4, s54, v2
	s_cbranch_scc0 .LBB33_180
	s_branch .LBB33_204
.LBB33_181:
                                        ; implicit-def: $vgpr3
	s_branch .LBB33_208
.LBB33_182:
	v_dual_mov_b32 v3, 0 :: v_dual_mov_b32 v2, 0
	s_branch .LBB33_207
.LBB33_183:
	v_mov_b64_e32 v[2:3], 0
	v_mov_b32_e32 v1, v0
	s_mov_b32 s0, 0
.LBB33_184:
	s_and_b32 s16, s1, 3
	s_mov_b32 s1, 0
	s_cmp_eq_u32 s16, 0
	s_cbranch_scc1 .LBB33_187
; %bb.185:
	s_lshl_b32 s24, s0, 3
	s_mov_b32 s25, s1
	s_mul_u64 s[26:27], s[0:1], 12
	s_add_nc_u64 s[24:25], s[2:3], s[24:25]
	s_delay_alu instid0(SALU_CYCLE_1)
	s_add_nc_u64 s[0:1], s[24:25], 0xc4
	s_add_nc_u64 s[24:25], s[2:3], s[26:27]
.LBB33_186:                             ; =>This Inner Loop Header: Depth=1
	s_load_b96 s[40:42], s[24:25], 0x4
	s_load_b64 s[26:27], s[0:1], 0x0
	s_add_co_i32 s16, s16, -1
	s_wait_xcnt 0x0
	s_add_nc_u64 s[24:25], s[24:25], 12
	s_cmp_lg_u32 s16, 0
	s_add_nc_u64 s[0:1], s[0:1], 8
	s_wait_kmcnt 0x0
	v_mul_hi_u32 v4, s41, v1
	s_delay_alu instid0(VALU_DEP_1) | instskip(NEXT) | instid1(VALU_DEP_1)
	v_add_nc_u32_e32 v4, v1, v4
	v_lshrrev_b32_e32 v4, s42, v4
	s_delay_alu instid0(VALU_DEP_1) | instskip(NEXT) | instid1(VALU_DEP_1)
	v_mul_lo_u32 v5, v4, s40
	v_sub_nc_u32_e32 v1, v1, v5
	s_delay_alu instid0(VALU_DEP_1)
	v_mad_u32 v3, v1, s27, v3
	v_mad_u32 v2, v1, s26, v2
	v_mov_b32_e32 v1, v4
	s_cbranch_scc1 .LBB33_186
.LBB33_187:
	s_cbranch_execnz .LBB33_190
.LBB33_188:
	v_mov_b32_e32 v1, 0
	s_and_not1_b32 vcc_lo, exec_lo, s33
	s_delay_alu instid0(VALU_DEP_1) | instskip(NEXT) | instid1(VALU_DEP_1)
	v_mul_u64_e32 v[2:3], s[18:19], v[0:1]
	v_add_nc_u32_e32 v2, v0, v3
	s_delay_alu instid0(VALU_DEP_1) | instskip(NEXT) | instid1(VALU_DEP_1)
	v_lshrrev_b32_e32 v4, s10, v2
	v_mul_lo_u32 v2, v4, s8
	s_delay_alu instid0(VALU_DEP_1) | instskip(NEXT) | instid1(VALU_DEP_1)
	v_sub_nc_u32_e32 v2, v0, v2
	v_mul_lo_u32 v3, v2, s13
	v_mul_lo_u32 v2, v2, s12
	s_cbranch_vccnz .LBB33_190
; %bb.189:
	v_mov_b32_e32 v5, v1
	s_delay_alu instid0(VALU_DEP_1) | instskip(NEXT) | instid1(VALU_DEP_1)
	v_mul_u64_e32 v[6:7], s[20:21], v[4:5]
	v_add_nc_u32_e32 v1, v4, v7
	s_delay_alu instid0(VALU_DEP_1) | instskip(NEXT) | instid1(VALU_DEP_1)
	v_lshrrev_b32_e32 v1, s17, v1
	v_mul_lo_u32 v1, v1, s11
	s_delay_alu instid0(VALU_DEP_1) | instskip(NEXT) | instid1(VALU_DEP_1)
	v_sub_nc_u32_e32 v1, v4, v1
	v_mad_u32 v2, v1, s14, v2
	v_mad_u32 v3, v1, s15, v3
.LBB33_190:
	global_load_u16 v1, v3, s[6:7]
                                        ; implicit-def: $vgpr5
                                        ; implicit-def: $vgpr4
	s_mov_b32 s1, exec_lo
	s_wait_loadcnt 0x0
	v_lshlrev_b32_e32 v1, 16, v1
	s_wait_xcnt 0x0
	s_delay_alu instid0(VALU_DEP_1)
	v_and_b32_e32 v3, 0x7fffffff, v1
	v_cmpx_ngt_f32_e64 0x48000000, |v1|
	s_xor_b32 s16, exec_lo, s1
	s_cbranch_execz .LBB33_192
; %bb.191:
	s_mov_b32 s0, 0x7fffff
	v_mov_b32_e32 v5, 0
	v_and_or_b32 v4, v3, s0, 0x800000
	s_mov_b64 s[0:1], 0xfe5163ab
	s_delay_alu instid0(VALU_DEP_1) | instid1(SALU_CYCLE_1)
	v_mul_u64_e32 v[6:7], s[0:1], v[4:5]
	s_delay_alu instid0(VALU_DEP_1) | instskip(SKIP_2) | instid1(VALU_DEP_3)
	v_dual_mov_b32 v8, v7 :: v_dual_mov_b32 v9, v5
	v_dual_mov_b32 v11, v5 :: v_dual_mov_b32 v13, v5
	v_dual_mov_b32 v15, v5 :: v_dual_lshrrev_b32 v7, 23, v3
	v_mad_nc_u64_u32 v[8:9], 0x3c439041, v4, v[8:9]
	s_delay_alu instid0(VALU_DEP_1) | instskip(NEXT) | instid1(VALU_DEP_1)
	v_mov_b32_e32 v10, v9
	v_mad_nc_u64_u32 v[10:11], 0xdb629599, v4, v[10:11]
	s_delay_alu instid0(VALU_DEP_1) | instskip(NEXT) | instid1(VALU_DEP_1)
	v_mov_b32_e32 v12, v11
	;; [unrolled: 3-line block ×3, first 2 shown]
	v_mad_nc_u64_u32 v[14:15], 0xfc2757d1, v4, v[14:15]
	s_delay_alu instid0(VALU_DEP_1) | instskip(NEXT) | instid1(VALU_DEP_1)
	v_dual_mov_b32 v17, v5 :: v_dual_mov_b32 v16, v15
	v_mad_nc_u64_u32 v[16:17], 0x4e441529, v4, v[16:17]
	s_delay_alu instid0(VALU_DEP_1) | instskip(NEXT) | instid1(VALU_DEP_1)
	v_dual_mov_b32 v18, v17 :: v_dual_add_nc_u32 v7, 0xffffff88, v7
	v_cmp_lt_u32_e32 vcc_lo, 63, v7
	v_mov_b32_e32 v19, v5
	v_cndmask_b32_e64 v9, 0, 0xffffffc0, vcc_lo
	s_delay_alu instid0(VALU_DEP_2) | instskip(SKIP_1) | instid1(VALU_DEP_3)
	v_mad_nc_u64_u32 v[4:5], 0xa2f9836e, v4, v[18:19]
	v_dual_cndmask_b32 v11, v16, v12, vcc_lo :: v_dual_cndmask_b32 v13, v14, v10, vcc_lo
	v_dual_cndmask_b32 v8, v12, v8 :: v_dual_add_nc_u32 v7, v9, v7
	v_cndmask_b32_e32 v6, v10, v6, vcc_lo
	s_delay_alu instid0(VALU_DEP_2) | instskip(SKIP_1) | instid1(VALU_DEP_2)
	v_cmp_lt_u32_e64 s0, 31, v7
	v_dual_cndmask_b32 v4, v4, v14 :: v_dual_cndmask_b32 v5, v5, v16
	v_cndmask_b32_e64 v9, 0, 0xffffffe0, s0
	s_delay_alu instid0(VALU_DEP_4) | instskip(NEXT) | instid1(VALU_DEP_2)
	v_dual_cndmask_b32 v12, v13, v8, s0 :: v_dual_cndmask_b32 v6, v8, v6, s0
	v_add_nc_u32_e32 v7, v9, v7
	s_delay_alu instid0(VALU_DEP_1) | instskip(NEXT) | instid1(VALU_DEP_1)
	v_cmp_lt_u32_e64 s1, 31, v7
	v_cndmask_b32_e64 v9, 0, 0xffffffe0, s1
	s_delay_alu instid0(VALU_DEP_1) | instskip(SKIP_1) | instid1(VALU_DEP_2)
	v_dual_cndmask_b32 v6, v12, v6, s1 :: v_dual_add_nc_u32 v7, v9, v7
	v_dual_cndmask_b32 v9, v4, v11, s0 :: v_dual_cndmask_b32 v4, v5, v4, s0
	v_dual_cndmask_b32 v5, v11, v13, s0 :: v_dual_sub_nc_u32 v11, 32, v7
	v_cmp_eq_u32_e32 vcc_lo, 0, v7
	s_delay_alu instid0(VALU_DEP_3) | instskip(NEXT) | instid1(VALU_DEP_3)
	v_cndmask_b32_e64 v4, v4, v9, s1
	v_cndmask_b32_e64 v9, v9, v5, s1
	;; [unrolled: 1-line block ×3, first 2 shown]
	s_delay_alu instid0(VALU_DEP_2) | instskip(NEXT) | instid1(VALU_DEP_2)
	v_alignbit_b32 v13, v4, v9, v11
	v_alignbit_b32 v10, v9, v5, v11
	;; [unrolled: 1-line block ×3, first 2 shown]
	s_delay_alu instid0(VALU_DEP_2) | instskip(NEXT) | instid1(VALU_DEP_2)
	v_dual_cndmask_b32 v4, v13, v4 :: v_dual_cndmask_b32 v7, v10, v9
	v_cndmask_b32_e32 v5, v11, v5, vcc_lo
	s_delay_alu instid0(VALU_DEP_2) | instskip(NEXT) | instid1(VALU_DEP_3)
	v_bfe_u32 v8, v4, 29, 1
	v_alignbit_b32 v9, v4, v7, 30
	s_delay_alu instid0(VALU_DEP_3) | instskip(SKIP_1) | instid1(VALU_DEP_4)
	v_alignbit_b32 v7, v7, v5, 30
	v_alignbit_b32 v5, v5, v6, 30
	v_sub_nc_u32_e32 v10, 0, v8
	s_delay_alu instid0(VALU_DEP_1) | instskip(NEXT) | instid1(VALU_DEP_4)
	v_xor_b32_e32 v9, v9, v10
	v_xor_b32_e32 v6, v7, v10
	s_delay_alu instid0(VALU_DEP_4) | instskip(NEXT) | instid1(VALU_DEP_3)
	v_dual_lshrrev_b32 v10, 29, v4 :: v_dual_bitop2_b32 v5, v5, v10 bitop3:0x14
	v_clz_i32_u32_e32 v11, v9
	s_delay_alu instid0(VALU_DEP_1) | instskip(NEXT) | instid1(VALU_DEP_1)
	v_min_u32_e32 v11, 32, v11
	v_dual_sub_nc_u32 v7, 31, v11 :: v_dual_lshlrev_b32 v12, 23, v11
	s_delay_alu instid0(VALU_DEP_1) | instskip(SKIP_2) | instid1(VALU_DEP_2)
	v_alignbit_b32 v9, v9, v6, v7
	v_alignbit_b32 v5, v6, v5, v7
	v_lshlrev_b32_e32 v6, 31, v10
	v_alignbit_b32 v7, v9, v5, 9
	s_delay_alu instid0(VALU_DEP_2) | instskip(SKIP_1) | instid1(VALU_DEP_3)
	v_dual_lshrrev_b32 v9, 9, v9 :: v_dual_bitop2_b32 v10, 0.5, v6 bitop3:0x54
	v_or_b32_e32 v6, 0x33000000, v6
	v_clz_i32_u32_e32 v13, v7
	s_delay_alu instid0(VALU_DEP_3) | instskip(NEXT) | instid1(VALU_DEP_2)
	v_sub_nc_u32_e32 v10, v10, v12
	v_min_u32_e32 v12, 32, v13
	s_delay_alu instid0(VALU_DEP_1) | instskip(NEXT) | instid1(VALU_DEP_3)
	v_add_lshl_u32 v11, v12, v11, 23
	v_or_b32_e32 v9, v9, v10
	v_not_b32_e32 v10, v12
	s_delay_alu instid0(VALU_DEP_2) | instskip(NEXT) | instid1(VALU_DEP_2)
	v_dual_mul_f32 v13, 0x3fc90fda, v9 :: v_dual_sub_nc_u32 v6, v6, v11
	v_alignbit_b32 v5, v7, v5, v10
	s_delay_alu instid0(VALU_DEP_2) | instskip(NEXT) | instid1(VALU_DEP_2)
	v_fma_f32 v7, 0x3fc90fda, v9, -v13
	v_lshrrev_b32_e32 v5, 9, v5
	s_delay_alu instid0(VALU_DEP_2) | instskip(NEXT) | instid1(VALU_DEP_2)
	v_fmamk_f32 v7, v9, 0x33a22168, v7
	v_or_b32_e32 v5, v6, v5
	s_delay_alu instid0(VALU_DEP_1) | instskip(NEXT) | instid1(VALU_DEP_1)
	v_fmac_f32_e32 v7, 0x3fc90fda, v5
	v_dual_add_f32 v4, v13, v7 :: v_dual_lshrrev_b32 v5, 30, v4
	s_delay_alu instid0(VALU_DEP_1)
	v_add_nc_u32_e32 v5, v8, v5
.LBB33_192:
	s_and_not1_saveexec_b32 s0, s16
; %bb.193:
	v_mul_f32_e64 v4, 0x3f22f983, |v1|
	s_delay_alu instid0(VALU_DEP_1) | instskip(NEXT) | instid1(VALU_DEP_1)
	v_rndne_f32_e32 v5, v4
	v_fma_f32 v4, 0xbfc90fda, v5, |v1|
	s_delay_alu instid0(VALU_DEP_1) | instskip(NEXT) | instid1(VALU_DEP_1)
	v_fmamk_f32 v4, v5, 0xb3a22168, v4
	v_fmamk_f32 v4, v5, 0xa7c234c4, v4
	v_cvt_i32_f32_e32 v5, v5
; %bb.194:
	s_or_b32 exec_lo, exec_lo, s0
	s_delay_alu instid0(VALU_DEP_1) | instskip(SKIP_3) | instid1(VALU_DEP_2)
	v_dual_mul_f32 v6, v4, v4 :: v_dual_bitop2_b32 v9, 1, v5 bitop3:0x40
	s_mov_b32 s0, 0xb94c1982
	s_mov_b32 s1, 0x37d75334
	v_add_nc_u32_e32 v0, 0x80, v0
	v_fmaak_f32 v7, s0, v6, 0x3c0881c4
	v_cmp_eq_u32_e32 vcc_lo, 0, v9
	v_lshlrev_b32_e32 v5, 30, v5
	s_delay_alu instid0(VALU_DEP_3) | instskip(SKIP_1) | instid1(VALU_DEP_3)
	v_fmaak_f32 v7, v6, v7, 0xbe2aaa9d
	v_fmaak_f32 v8, s1, v6, 0xbab64f3b
	v_bitop3_b32 v3, v3, v5, 0x80000000 bitop3:0x78
	s_delay_alu instid0(VALU_DEP_2) | instskip(NEXT) | instid1(VALU_DEP_1)
	v_dual_mul_f32 v7, v6, v7 :: v_dual_fmaak_f32 v8, v6, v8, 0x3d2aabf7
	v_fmac_f32_e32 v4, v4, v7
	s_delay_alu instid0(VALU_DEP_2) | instskip(NEXT) | instid1(VALU_DEP_1)
	v_fmaak_f32 v8, v6, v8, 0xbf000004
	v_fma_f32 v6, v6, v8, 1.0
	s_delay_alu instid0(VALU_DEP_1) | instskip(SKIP_1) | instid1(VALU_DEP_2)
	v_cndmask_b32_e32 v4, v6, v4, vcc_lo
	v_cmp_class_f32_e64 vcc_lo, v1, 0x1f8
	v_xor3_b32 v3, v3, v4, v1
	s_delay_alu instid0(VALU_DEP_1) | instskip(NEXT) | instid1(VALU_DEP_1)
	v_cndmask_b32_e32 v1, 0x7fc00000, v3, vcc_lo
	v_bfe_u32 v3, v1, 16, 1
	v_cmp_o_f32_e32 vcc_lo, v1, v1
	s_delay_alu instid0(VALU_DEP_2) | instskip(NEXT) | instid1(VALU_DEP_1)
	v_add3_u32 v3, v1, v3, 0x7fff
	v_lshrrev_b32_e32 v3, 16, v3
	s_delay_alu instid0(VALU_DEP_1) | instskip(SKIP_3) | instid1(SALU_CYCLE_1)
	v_cndmask_b32_e32 v1, 0x7fc0, v3, vcc_lo
	global_store_b16 v2, v1, s[4:5]
	s_wait_xcnt 0x0
	s_or_b32 exec_lo, exec_lo, s9
	s_mov_b32 s9, exec_lo
	v_cmpx_gt_i32_e64 s34, v0
	s_cbranch_execnz .LBB33_176
.LBB33_195:
	s_or_b32 exec_lo, exec_lo, s9
	s_delay_alu instid0(SALU_CYCLE_1)
	s_mov_b32 s9, exec_lo
	v_cmpx_gt_i32_e64 s34, v0
	s_cbranch_execz .LBB33_215
.LBB33_196:
	s_and_not1_b32 vcc_lo, exec_lo, s30
	s_cbranch_vccnz .LBB33_201
; %bb.197:
	s_and_not1_b32 vcc_lo, exec_lo, s36
	s_cbranch_vccnz .LBB33_202
; %bb.198:
	s_add_co_i32 s1, s35, 1
	s_cmp_eq_u32 s29, 2
	s_cbranch_scc1 .LBB33_223
; %bb.199:
	v_dual_mov_b32 v2, 0 :: v_dual_mov_b32 v3, 0
	v_mov_b32_e32 v1, v0
	s_and_b32 s0, s1, 28
	s_mov_b32 s16, 0
	s_mov_b64 s[24:25], s[2:3]
	s_mov_b64 s[26:27], s[22:23]
.LBB33_200:                             ; =>This Inner Loop Header: Depth=1
	s_clause 0x1
	s_load_b256 s[40:47], s[24:25], 0x4
	s_load_b128 s[56:59], s[24:25], 0x24
	s_load_b256 s[48:55], s[26:27], 0x0
	s_add_co_i32 s16, s16, 4
	s_wait_xcnt 0x0
	s_add_nc_u64 s[24:25], s[24:25], 48
	s_cmp_eq_u32 s0, s16
	s_add_nc_u64 s[26:27], s[26:27], 32
	s_wait_kmcnt 0x0
	v_mul_hi_u32 v4, s41, v1
	s_delay_alu instid0(VALU_DEP_1) | instskip(NEXT) | instid1(VALU_DEP_1)
	v_add_nc_u32_e32 v4, v1, v4
	v_lshrrev_b32_e32 v4, s42, v4
	s_delay_alu instid0(VALU_DEP_1) | instskip(NEXT) | instid1(VALU_DEP_1)
	v_mul_hi_u32 v5, s44, v4
	v_add_nc_u32_e32 v5, v4, v5
	s_delay_alu instid0(VALU_DEP_1) | instskip(NEXT) | instid1(VALU_DEP_1)
	v_lshrrev_b32_e32 v5, s45, v5
	v_mul_hi_u32 v6, s47, v5
	s_delay_alu instid0(VALU_DEP_1) | instskip(SKIP_1) | instid1(VALU_DEP_1)
	v_add_nc_u32_e32 v6, v5, v6
	v_mul_lo_u32 v7, v4, s40
	v_sub_nc_u32_e32 v1, v1, v7
	v_mul_lo_u32 v7, v5, s43
	s_delay_alu instid0(VALU_DEP_4) | instskip(NEXT) | instid1(VALU_DEP_3)
	v_lshrrev_b32_e32 v6, s56, v6
	v_mad_u32 v3, v1, s49, v3
	v_mad_u32 v1, v1, s48, v2
	s_delay_alu instid0(VALU_DEP_4) | instskip(NEXT) | instid1(VALU_DEP_4)
	v_sub_nc_u32_e32 v2, v4, v7
	v_mul_hi_u32 v8, s58, v6
	v_mul_lo_u32 v4, v6, s46
	s_delay_alu instid0(VALU_DEP_3) | instskip(SKIP_1) | instid1(VALU_DEP_4)
	v_mad_u32 v3, v2, s51, v3
	v_mad_u32 v2, v2, s50, v1
	v_add_nc_u32_e32 v7, v6, v8
	s_delay_alu instid0(VALU_DEP_1) | instskip(NEXT) | instid1(VALU_DEP_1)
	v_dual_sub_nc_u32 v4, v5, v4 :: v_dual_lshrrev_b32 v1, s59, v7
	v_mad_u32 v3, v4, s53, v3
	s_delay_alu instid0(VALU_DEP_4) | instskip(NEXT) | instid1(VALU_DEP_3)
	v_mad_u32 v2, v4, s52, v2
	v_mul_lo_u32 v5, v1, s57
	s_delay_alu instid0(VALU_DEP_1) | instskip(NEXT) | instid1(VALU_DEP_1)
	v_sub_nc_u32_e32 v4, v6, v5
	v_mad_u32 v3, v4, s55, v3
	s_delay_alu instid0(VALU_DEP_4)
	v_mad_u32 v2, v4, s54, v2
	s_cbranch_scc0 .LBB33_200
	s_branch .LBB33_224
.LBB33_201:
                                        ; implicit-def: $vgpr3
	s_branch .LBB33_228
.LBB33_202:
	v_dual_mov_b32 v3, 0 :: v_dual_mov_b32 v2, 0
	s_branch .LBB33_227
.LBB33_203:
	v_mov_b64_e32 v[2:3], 0
	v_mov_b32_e32 v1, v0
	s_mov_b32 s0, 0
.LBB33_204:
	s_and_b32 s16, s1, 3
	s_mov_b32 s1, 0
	s_cmp_eq_u32 s16, 0
	s_cbranch_scc1 .LBB33_207
; %bb.205:
	s_lshl_b32 s24, s0, 3
	s_mov_b32 s25, s1
	s_mul_u64 s[26:27], s[0:1], 12
	s_add_nc_u64 s[24:25], s[2:3], s[24:25]
	s_delay_alu instid0(SALU_CYCLE_1)
	s_add_nc_u64 s[0:1], s[24:25], 0xc4
	s_add_nc_u64 s[24:25], s[2:3], s[26:27]
.LBB33_206:                             ; =>This Inner Loop Header: Depth=1
	s_load_b96 s[40:42], s[24:25], 0x4
	s_load_b64 s[26:27], s[0:1], 0x0
	s_add_co_i32 s16, s16, -1
	s_wait_xcnt 0x0
	s_add_nc_u64 s[24:25], s[24:25], 12
	s_cmp_lg_u32 s16, 0
	s_add_nc_u64 s[0:1], s[0:1], 8
	s_wait_kmcnt 0x0
	v_mul_hi_u32 v4, s41, v1
	s_delay_alu instid0(VALU_DEP_1) | instskip(NEXT) | instid1(VALU_DEP_1)
	v_add_nc_u32_e32 v4, v1, v4
	v_lshrrev_b32_e32 v4, s42, v4
	s_delay_alu instid0(VALU_DEP_1) | instskip(NEXT) | instid1(VALU_DEP_1)
	v_mul_lo_u32 v5, v4, s40
	v_sub_nc_u32_e32 v1, v1, v5
	s_delay_alu instid0(VALU_DEP_1)
	v_mad_u32 v3, v1, s27, v3
	v_mad_u32 v2, v1, s26, v2
	v_mov_b32_e32 v1, v4
	s_cbranch_scc1 .LBB33_206
.LBB33_207:
	s_cbranch_execnz .LBB33_210
.LBB33_208:
	v_mov_b32_e32 v1, 0
	s_and_not1_b32 vcc_lo, exec_lo, s33
	s_delay_alu instid0(VALU_DEP_1) | instskip(NEXT) | instid1(VALU_DEP_1)
	v_mul_u64_e32 v[2:3], s[18:19], v[0:1]
	v_add_nc_u32_e32 v2, v0, v3
	s_delay_alu instid0(VALU_DEP_1) | instskip(NEXT) | instid1(VALU_DEP_1)
	v_lshrrev_b32_e32 v4, s10, v2
	v_mul_lo_u32 v2, v4, s8
	s_delay_alu instid0(VALU_DEP_1) | instskip(NEXT) | instid1(VALU_DEP_1)
	v_sub_nc_u32_e32 v2, v0, v2
	v_mul_lo_u32 v3, v2, s13
	v_mul_lo_u32 v2, v2, s12
	s_cbranch_vccnz .LBB33_210
; %bb.209:
	v_mov_b32_e32 v5, v1
	s_delay_alu instid0(VALU_DEP_1) | instskip(NEXT) | instid1(VALU_DEP_1)
	v_mul_u64_e32 v[6:7], s[20:21], v[4:5]
	v_add_nc_u32_e32 v1, v4, v7
	s_delay_alu instid0(VALU_DEP_1) | instskip(NEXT) | instid1(VALU_DEP_1)
	v_lshrrev_b32_e32 v1, s17, v1
	v_mul_lo_u32 v1, v1, s11
	s_delay_alu instid0(VALU_DEP_1) | instskip(NEXT) | instid1(VALU_DEP_1)
	v_sub_nc_u32_e32 v1, v4, v1
	v_mad_u32 v2, v1, s14, v2
	v_mad_u32 v3, v1, s15, v3
.LBB33_210:
	global_load_u16 v1, v3, s[6:7]
                                        ; implicit-def: $vgpr5
                                        ; implicit-def: $vgpr4
	s_mov_b32 s1, exec_lo
	s_wait_loadcnt 0x0
	v_lshlrev_b32_e32 v1, 16, v1
	s_wait_xcnt 0x0
	s_delay_alu instid0(VALU_DEP_1)
	v_and_b32_e32 v3, 0x7fffffff, v1
	v_cmpx_ngt_f32_e64 0x48000000, |v1|
	s_xor_b32 s16, exec_lo, s1
	s_cbranch_execz .LBB33_212
; %bb.211:
	s_mov_b32 s0, 0x7fffff
	v_mov_b32_e32 v5, 0
	v_and_or_b32 v4, v3, s0, 0x800000
	s_mov_b64 s[0:1], 0xfe5163ab
	s_delay_alu instid0(VALU_DEP_1) | instid1(SALU_CYCLE_1)
	v_mul_u64_e32 v[6:7], s[0:1], v[4:5]
	s_delay_alu instid0(VALU_DEP_1) | instskip(SKIP_2) | instid1(VALU_DEP_3)
	v_dual_mov_b32 v8, v7 :: v_dual_mov_b32 v9, v5
	v_dual_mov_b32 v11, v5 :: v_dual_mov_b32 v13, v5
	v_dual_mov_b32 v15, v5 :: v_dual_lshrrev_b32 v7, 23, v3
	v_mad_nc_u64_u32 v[8:9], 0x3c439041, v4, v[8:9]
	s_delay_alu instid0(VALU_DEP_1) | instskip(NEXT) | instid1(VALU_DEP_1)
	v_mov_b32_e32 v10, v9
	v_mad_nc_u64_u32 v[10:11], 0xdb629599, v4, v[10:11]
	s_delay_alu instid0(VALU_DEP_1) | instskip(NEXT) | instid1(VALU_DEP_1)
	v_mov_b32_e32 v12, v11
	;; [unrolled: 3-line block ×3, first 2 shown]
	v_mad_nc_u64_u32 v[14:15], 0xfc2757d1, v4, v[14:15]
	s_delay_alu instid0(VALU_DEP_1) | instskip(NEXT) | instid1(VALU_DEP_1)
	v_dual_mov_b32 v17, v5 :: v_dual_mov_b32 v16, v15
	v_mad_nc_u64_u32 v[16:17], 0x4e441529, v4, v[16:17]
	s_delay_alu instid0(VALU_DEP_1) | instskip(NEXT) | instid1(VALU_DEP_1)
	v_dual_mov_b32 v18, v17 :: v_dual_add_nc_u32 v7, 0xffffff88, v7
	v_cmp_lt_u32_e32 vcc_lo, 63, v7
	v_mov_b32_e32 v19, v5
	v_cndmask_b32_e64 v9, 0, 0xffffffc0, vcc_lo
	s_delay_alu instid0(VALU_DEP_2) | instskip(SKIP_1) | instid1(VALU_DEP_3)
	v_mad_nc_u64_u32 v[4:5], 0xa2f9836e, v4, v[18:19]
	v_dual_cndmask_b32 v11, v16, v12, vcc_lo :: v_dual_cndmask_b32 v13, v14, v10, vcc_lo
	v_dual_cndmask_b32 v8, v12, v8 :: v_dual_add_nc_u32 v7, v9, v7
	v_cndmask_b32_e32 v6, v10, v6, vcc_lo
	s_delay_alu instid0(VALU_DEP_2) | instskip(SKIP_1) | instid1(VALU_DEP_2)
	v_cmp_lt_u32_e64 s0, 31, v7
	v_dual_cndmask_b32 v4, v4, v14 :: v_dual_cndmask_b32 v5, v5, v16
	v_cndmask_b32_e64 v9, 0, 0xffffffe0, s0
	s_delay_alu instid0(VALU_DEP_4) | instskip(NEXT) | instid1(VALU_DEP_2)
	v_dual_cndmask_b32 v12, v13, v8, s0 :: v_dual_cndmask_b32 v6, v8, v6, s0
	v_add_nc_u32_e32 v7, v9, v7
	s_delay_alu instid0(VALU_DEP_1) | instskip(NEXT) | instid1(VALU_DEP_1)
	v_cmp_lt_u32_e64 s1, 31, v7
	v_cndmask_b32_e64 v9, 0, 0xffffffe0, s1
	s_delay_alu instid0(VALU_DEP_1) | instskip(SKIP_1) | instid1(VALU_DEP_2)
	v_dual_cndmask_b32 v6, v12, v6, s1 :: v_dual_add_nc_u32 v7, v9, v7
	v_dual_cndmask_b32 v9, v4, v11, s0 :: v_dual_cndmask_b32 v4, v5, v4, s0
	v_dual_cndmask_b32 v5, v11, v13, s0 :: v_dual_sub_nc_u32 v11, 32, v7
	v_cmp_eq_u32_e32 vcc_lo, 0, v7
	s_delay_alu instid0(VALU_DEP_3) | instskip(NEXT) | instid1(VALU_DEP_3)
	v_cndmask_b32_e64 v4, v4, v9, s1
	v_cndmask_b32_e64 v9, v9, v5, s1
	;; [unrolled: 1-line block ×3, first 2 shown]
	s_delay_alu instid0(VALU_DEP_2) | instskip(NEXT) | instid1(VALU_DEP_2)
	v_alignbit_b32 v13, v4, v9, v11
	v_alignbit_b32 v10, v9, v5, v11
	;; [unrolled: 1-line block ×3, first 2 shown]
	s_delay_alu instid0(VALU_DEP_2) | instskip(NEXT) | instid1(VALU_DEP_2)
	v_dual_cndmask_b32 v4, v13, v4 :: v_dual_cndmask_b32 v7, v10, v9
	v_cndmask_b32_e32 v5, v11, v5, vcc_lo
	s_delay_alu instid0(VALU_DEP_2) | instskip(NEXT) | instid1(VALU_DEP_3)
	v_bfe_u32 v8, v4, 29, 1
	v_alignbit_b32 v9, v4, v7, 30
	s_delay_alu instid0(VALU_DEP_3) | instskip(SKIP_1) | instid1(VALU_DEP_4)
	v_alignbit_b32 v7, v7, v5, 30
	v_alignbit_b32 v5, v5, v6, 30
	v_sub_nc_u32_e32 v10, 0, v8
	s_delay_alu instid0(VALU_DEP_1) | instskip(NEXT) | instid1(VALU_DEP_4)
	v_xor_b32_e32 v9, v9, v10
	v_xor_b32_e32 v6, v7, v10
	s_delay_alu instid0(VALU_DEP_4) | instskip(NEXT) | instid1(VALU_DEP_3)
	v_dual_lshrrev_b32 v10, 29, v4 :: v_dual_bitop2_b32 v5, v5, v10 bitop3:0x14
	v_clz_i32_u32_e32 v11, v9
	s_delay_alu instid0(VALU_DEP_1) | instskip(NEXT) | instid1(VALU_DEP_1)
	v_min_u32_e32 v11, 32, v11
	v_dual_sub_nc_u32 v7, 31, v11 :: v_dual_lshlrev_b32 v12, 23, v11
	s_delay_alu instid0(VALU_DEP_1) | instskip(SKIP_2) | instid1(VALU_DEP_2)
	v_alignbit_b32 v9, v9, v6, v7
	v_alignbit_b32 v5, v6, v5, v7
	v_lshlrev_b32_e32 v6, 31, v10
	v_alignbit_b32 v7, v9, v5, 9
	s_delay_alu instid0(VALU_DEP_2) | instskip(SKIP_1) | instid1(VALU_DEP_3)
	v_dual_lshrrev_b32 v9, 9, v9 :: v_dual_bitop2_b32 v10, 0.5, v6 bitop3:0x54
	v_or_b32_e32 v6, 0x33000000, v6
	v_clz_i32_u32_e32 v13, v7
	s_delay_alu instid0(VALU_DEP_3) | instskip(NEXT) | instid1(VALU_DEP_2)
	v_sub_nc_u32_e32 v10, v10, v12
	v_min_u32_e32 v12, 32, v13
	s_delay_alu instid0(VALU_DEP_1) | instskip(NEXT) | instid1(VALU_DEP_3)
	v_add_lshl_u32 v11, v12, v11, 23
	v_or_b32_e32 v9, v9, v10
	v_not_b32_e32 v10, v12
	s_delay_alu instid0(VALU_DEP_2) | instskip(NEXT) | instid1(VALU_DEP_2)
	v_dual_mul_f32 v13, 0x3fc90fda, v9 :: v_dual_sub_nc_u32 v6, v6, v11
	v_alignbit_b32 v5, v7, v5, v10
	s_delay_alu instid0(VALU_DEP_2) | instskip(NEXT) | instid1(VALU_DEP_2)
	v_fma_f32 v7, 0x3fc90fda, v9, -v13
	v_lshrrev_b32_e32 v5, 9, v5
	s_delay_alu instid0(VALU_DEP_2) | instskip(NEXT) | instid1(VALU_DEP_2)
	v_fmamk_f32 v7, v9, 0x33a22168, v7
	v_or_b32_e32 v5, v6, v5
	s_delay_alu instid0(VALU_DEP_1) | instskip(NEXT) | instid1(VALU_DEP_1)
	v_fmac_f32_e32 v7, 0x3fc90fda, v5
	v_dual_add_f32 v4, v13, v7 :: v_dual_lshrrev_b32 v5, 30, v4
	s_delay_alu instid0(VALU_DEP_1)
	v_add_nc_u32_e32 v5, v8, v5
.LBB33_212:
	s_and_not1_saveexec_b32 s0, s16
; %bb.213:
	v_mul_f32_e64 v4, 0x3f22f983, |v1|
	s_delay_alu instid0(VALU_DEP_1) | instskip(NEXT) | instid1(VALU_DEP_1)
	v_rndne_f32_e32 v5, v4
	v_fma_f32 v4, 0xbfc90fda, v5, |v1|
	s_delay_alu instid0(VALU_DEP_1) | instskip(NEXT) | instid1(VALU_DEP_1)
	v_fmamk_f32 v4, v5, 0xb3a22168, v4
	v_fmamk_f32 v4, v5, 0xa7c234c4, v4
	v_cvt_i32_f32_e32 v5, v5
; %bb.214:
	s_or_b32 exec_lo, exec_lo, s0
	s_delay_alu instid0(VALU_DEP_1) | instskip(SKIP_3) | instid1(VALU_DEP_2)
	v_dual_mul_f32 v6, v4, v4 :: v_dual_bitop2_b32 v9, 1, v5 bitop3:0x40
	s_mov_b32 s0, 0xb94c1982
	s_mov_b32 s1, 0x37d75334
	v_add_nc_u32_e32 v0, 0x80, v0
	v_fmaak_f32 v7, s0, v6, 0x3c0881c4
	v_cmp_eq_u32_e32 vcc_lo, 0, v9
	v_lshlrev_b32_e32 v5, 30, v5
	s_delay_alu instid0(VALU_DEP_3) | instskip(SKIP_1) | instid1(VALU_DEP_3)
	v_fmaak_f32 v7, v6, v7, 0xbe2aaa9d
	v_fmaak_f32 v8, s1, v6, 0xbab64f3b
	v_bitop3_b32 v3, v3, v5, 0x80000000 bitop3:0x78
	s_delay_alu instid0(VALU_DEP_2) | instskip(NEXT) | instid1(VALU_DEP_1)
	v_dual_mul_f32 v7, v6, v7 :: v_dual_fmaak_f32 v8, v6, v8, 0x3d2aabf7
	v_fmac_f32_e32 v4, v4, v7
	s_delay_alu instid0(VALU_DEP_2) | instskip(NEXT) | instid1(VALU_DEP_1)
	v_fmaak_f32 v8, v6, v8, 0xbf000004
	v_fma_f32 v6, v6, v8, 1.0
	s_delay_alu instid0(VALU_DEP_1) | instskip(SKIP_1) | instid1(VALU_DEP_2)
	v_cndmask_b32_e32 v4, v6, v4, vcc_lo
	v_cmp_class_f32_e64 vcc_lo, v1, 0x1f8
	v_xor3_b32 v3, v3, v4, v1
	s_delay_alu instid0(VALU_DEP_1) | instskip(NEXT) | instid1(VALU_DEP_1)
	v_cndmask_b32_e32 v1, 0x7fc00000, v3, vcc_lo
	v_bfe_u32 v3, v1, 16, 1
	v_cmp_o_f32_e32 vcc_lo, v1, v1
	s_delay_alu instid0(VALU_DEP_2) | instskip(NEXT) | instid1(VALU_DEP_1)
	v_add3_u32 v3, v1, v3, 0x7fff
	v_lshrrev_b32_e32 v3, 16, v3
	s_delay_alu instid0(VALU_DEP_1) | instskip(SKIP_3) | instid1(SALU_CYCLE_1)
	v_cndmask_b32_e32 v1, 0x7fc0, v3, vcc_lo
	global_store_b16 v2, v1, s[4:5]
	s_wait_xcnt 0x0
	s_or_b32 exec_lo, exec_lo, s9
	s_mov_b32 s9, exec_lo
	v_cmpx_gt_i32_e64 s34, v0
	s_cbranch_execnz .LBB33_196
.LBB33_215:
	s_or_b32 exec_lo, exec_lo, s9
	s_delay_alu instid0(SALU_CYCLE_1)
	s_mov_b32 s9, exec_lo
	v_cmpx_gt_i32_e64 s34, v0
	s_cbranch_execz .LBB33_235
.LBB33_216:
	s_and_not1_b32 vcc_lo, exec_lo, s30
	s_cbranch_vccnz .LBB33_221
; %bb.217:
	s_and_not1_b32 vcc_lo, exec_lo, s36
	s_cbranch_vccnz .LBB33_222
; %bb.218:
	s_add_co_i32 s1, s35, 1
	s_cmp_eq_u32 s29, 2
	s_cbranch_scc1 .LBB33_243
; %bb.219:
	v_dual_mov_b32 v2, 0 :: v_dual_mov_b32 v3, 0
	v_mov_b32_e32 v1, v0
	s_and_b32 s0, s1, 28
	s_mov_b32 s16, 0
	s_mov_b64 s[24:25], s[2:3]
	s_mov_b64 s[26:27], s[22:23]
.LBB33_220:                             ; =>This Inner Loop Header: Depth=1
	s_clause 0x1
	s_load_b256 s[40:47], s[24:25], 0x4
	s_load_b128 s[56:59], s[24:25], 0x24
	s_load_b256 s[48:55], s[26:27], 0x0
	s_add_co_i32 s16, s16, 4
	s_wait_xcnt 0x0
	s_add_nc_u64 s[24:25], s[24:25], 48
	s_cmp_eq_u32 s0, s16
	s_add_nc_u64 s[26:27], s[26:27], 32
	s_wait_kmcnt 0x0
	v_mul_hi_u32 v4, s41, v1
	s_delay_alu instid0(VALU_DEP_1) | instskip(NEXT) | instid1(VALU_DEP_1)
	v_add_nc_u32_e32 v4, v1, v4
	v_lshrrev_b32_e32 v4, s42, v4
	s_delay_alu instid0(VALU_DEP_1) | instskip(NEXT) | instid1(VALU_DEP_1)
	v_mul_hi_u32 v5, s44, v4
	v_add_nc_u32_e32 v5, v4, v5
	s_delay_alu instid0(VALU_DEP_1) | instskip(NEXT) | instid1(VALU_DEP_1)
	v_lshrrev_b32_e32 v5, s45, v5
	v_mul_hi_u32 v6, s47, v5
	s_delay_alu instid0(VALU_DEP_1) | instskip(SKIP_1) | instid1(VALU_DEP_1)
	v_add_nc_u32_e32 v6, v5, v6
	v_mul_lo_u32 v7, v4, s40
	v_sub_nc_u32_e32 v1, v1, v7
	v_mul_lo_u32 v7, v5, s43
	s_delay_alu instid0(VALU_DEP_4) | instskip(NEXT) | instid1(VALU_DEP_3)
	v_lshrrev_b32_e32 v6, s56, v6
	v_mad_u32 v3, v1, s49, v3
	v_mad_u32 v1, v1, s48, v2
	s_delay_alu instid0(VALU_DEP_4) | instskip(NEXT) | instid1(VALU_DEP_4)
	v_sub_nc_u32_e32 v2, v4, v7
	v_mul_hi_u32 v8, s58, v6
	v_mul_lo_u32 v4, v6, s46
	s_delay_alu instid0(VALU_DEP_3) | instskip(SKIP_1) | instid1(VALU_DEP_4)
	v_mad_u32 v3, v2, s51, v3
	v_mad_u32 v2, v2, s50, v1
	v_add_nc_u32_e32 v7, v6, v8
	s_delay_alu instid0(VALU_DEP_1) | instskip(NEXT) | instid1(VALU_DEP_1)
	v_dual_sub_nc_u32 v4, v5, v4 :: v_dual_lshrrev_b32 v1, s59, v7
	v_mad_u32 v3, v4, s53, v3
	s_delay_alu instid0(VALU_DEP_4) | instskip(NEXT) | instid1(VALU_DEP_3)
	v_mad_u32 v2, v4, s52, v2
	v_mul_lo_u32 v5, v1, s57
	s_delay_alu instid0(VALU_DEP_1) | instskip(NEXT) | instid1(VALU_DEP_1)
	v_sub_nc_u32_e32 v4, v6, v5
	v_mad_u32 v3, v4, s55, v3
	s_delay_alu instid0(VALU_DEP_4)
	v_mad_u32 v2, v4, s54, v2
	s_cbranch_scc0 .LBB33_220
	s_branch .LBB33_244
.LBB33_221:
                                        ; implicit-def: $vgpr3
	s_branch .LBB33_248
.LBB33_222:
	v_dual_mov_b32 v3, 0 :: v_dual_mov_b32 v2, 0
	s_branch .LBB33_247
.LBB33_223:
	v_mov_b64_e32 v[2:3], 0
	v_mov_b32_e32 v1, v0
	s_mov_b32 s0, 0
.LBB33_224:
	s_and_b32 s16, s1, 3
	s_mov_b32 s1, 0
	s_cmp_eq_u32 s16, 0
	s_cbranch_scc1 .LBB33_227
; %bb.225:
	s_lshl_b32 s24, s0, 3
	s_mov_b32 s25, s1
	s_mul_u64 s[26:27], s[0:1], 12
	s_add_nc_u64 s[24:25], s[2:3], s[24:25]
	s_delay_alu instid0(SALU_CYCLE_1)
	s_add_nc_u64 s[0:1], s[24:25], 0xc4
	s_add_nc_u64 s[24:25], s[2:3], s[26:27]
.LBB33_226:                             ; =>This Inner Loop Header: Depth=1
	s_load_b96 s[40:42], s[24:25], 0x4
	s_load_b64 s[26:27], s[0:1], 0x0
	s_add_co_i32 s16, s16, -1
	s_wait_xcnt 0x0
	s_add_nc_u64 s[24:25], s[24:25], 12
	s_cmp_lg_u32 s16, 0
	s_add_nc_u64 s[0:1], s[0:1], 8
	s_wait_kmcnt 0x0
	v_mul_hi_u32 v4, s41, v1
	s_delay_alu instid0(VALU_DEP_1) | instskip(NEXT) | instid1(VALU_DEP_1)
	v_add_nc_u32_e32 v4, v1, v4
	v_lshrrev_b32_e32 v4, s42, v4
	s_delay_alu instid0(VALU_DEP_1) | instskip(NEXT) | instid1(VALU_DEP_1)
	v_mul_lo_u32 v5, v4, s40
	v_sub_nc_u32_e32 v1, v1, v5
	s_delay_alu instid0(VALU_DEP_1)
	v_mad_u32 v3, v1, s27, v3
	v_mad_u32 v2, v1, s26, v2
	v_mov_b32_e32 v1, v4
	s_cbranch_scc1 .LBB33_226
.LBB33_227:
	s_cbranch_execnz .LBB33_230
.LBB33_228:
	v_mov_b32_e32 v1, 0
	s_and_not1_b32 vcc_lo, exec_lo, s33
	s_delay_alu instid0(VALU_DEP_1) | instskip(NEXT) | instid1(VALU_DEP_1)
	v_mul_u64_e32 v[2:3], s[18:19], v[0:1]
	v_add_nc_u32_e32 v2, v0, v3
	s_delay_alu instid0(VALU_DEP_1) | instskip(NEXT) | instid1(VALU_DEP_1)
	v_lshrrev_b32_e32 v4, s10, v2
	v_mul_lo_u32 v2, v4, s8
	s_delay_alu instid0(VALU_DEP_1) | instskip(NEXT) | instid1(VALU_DEP_1)
	v_sub_nc_u32_e32 v2, v0, v2
	v_mul_lo_u32 v3, v2, s13
	v_mul_lo_u32 v2, v2, s12
	s_cbranch_vccnz .LBB33_230
; %bb.229:
	v_mov_b32_e32 v5, v1
	s_delay_alu instid0(VALU_DEP_1) | instskip(NEXT) | instid1(VALU_DEP_1)
	v_mul_u64_e32 v[6:7], s[20:21], v[4:5]
	v_add_nc_u32_e32 v1, v4, v7
	s_delay_alu instid0(VALU_DEP_1) | instskip(NEXT) | instid1(VALU_DEP_1)
	v_lshrrev_b32_e32 v1, s17, v1
	v_mul_lo_u32 v1, v1, s11
	s_delay_alu instid0(VALU_DEP_1) | instskip(NEXT) | instid1(VALU_DEP_1)
	v_sub_nc_u32_e32 v1, v4, v1
	v_mad_u32 v2, v1, s14, v2
	v_mad_u32 v3, v1, s15, v3
.LBB33_230:
	global_load_u16 v1, v3, s[6:7]
                                        ; implicit-def: $vgpr5
                                        ; implicit-def: $vgpr4
	s_mov_b32 s1, exec_lo
	s_wait_loadcnt 0x0
	v_lshlrev_b32_e32 v1, 16, v1
	s_wait_xcnt 0x0
	s_delay_alu instid0(VALU_DEP_1)
	v_and_b32_e32 v3, 0x7fffffff, v1
	v_cmpx_ngt_f32_e64 0x48000000, |v1|
	s_xor_b32 s16, exec_lo, s1
	s_cbranch_execz .LBB33_232
; %bb.231:
	s_mov_b32 s0, 0x7fffff
	v_mov_b32_e32 v5, 0
	v_and_or_b32 v4, v3, s0, 0x800000
	s_mov_b64 s[0:1], 0xfe5163ab
	s_delay_alu instid0(VALU_DEP_1) | instid1(SALU_CYCLE_1)
	v_mul_u64_e32 v[6:7], s[0:1], v[4:5]
	s_delay_alu instid0(VALU_DEP_1) | instskip(SKIP_2) | instid1(VALU_DEP_3)
	v_dual_mov_b32 v8, v7 :: v_dual_mov_b32 v9, v5
	v_dual_mov_b32 v11, v5 :: v_dual_mov_b32 v13, v5
	v_dual_mov_b32 v15, v5 :: v_dual_lshrrev_b32 v7, 23, v3
	v_mad_nc_u64_u32 v[8:9], 0x3c439041, v4, v[8:9]
	s_delay_alu instid0(VALU_DEP_1) | instskip(NEXT) | instid1(VALU_DEP_1)
	v_mov_b32_e32 v10, v9
	v_mad_nc_u64_u32 v[10:11], 0xdb629599, v4, v[10:11]
	s_delay_alu instid0(VALU_DEP_1) | instskip(NEXT) | instid1(VALU_DEP_1)
	v_mov_b32_e32 v12, v11
	;; [unrolled: 3-line block ×3, first 2 shown]
	v_mad_nc_u64_u32 v[14:15], 0xfc2757d1, v4, v[14:15]
	s_delay_alu instid0(VALU_DEP_1) | instskip(NEXT) | instid1(VALU_DEP_1)
	v_dual_mov_b32 v17, v5 :: v_dual_mov_b32 v16, v15
	v_mad_nc_u64_u32 v[16:17], 0x4e441529, v4, v[16:17]
	s_delay_alu instid0(VALU_DEP_1) | instskip(NEXT) | instid1(VALU_DEP_1)
	v_dual_mov_b32 v18, v17 :: v_dual_add_nc_u32 v7, 0xffffff88, v7
	v_cmp_lt_u32_e32 vcc_lo, 63, v7
	v_mov_b32_e32 v19, v5
	v_cndmask_b32_e64 v9, 0, 0xffffffc0, vcc_lo
	s_delay_alu instid0(VALU_DEP_2) | instskip(SKIP_1) | instid1(VALU_DEP_3)
	v_mad_nc_u64_u32 v[4:5], 0xa2f9836e, v4, v[18:19]
	v_dual_cndmask_b32 v11, v16, v12, vcc_lo :: v_dual_cndmask_b32 v13, v14, v10, vcc_lo
	v_dual_cndmask_b32 v8, v12, v8 :: v_dual_add_nc_u32 v7, v9, v7
	v_cndmask_b32_e32 v6, v10, v6, vcc_lo
	s_delay_alu instid0(VALU_DEP_2) | instskip(SKIP_1) | instid1(VALU_DEP_2)
	v_cmp_lt_u32_e64 s0, 31, v7
	v_dual_cndmask_b32 v4, v4, v14 :: v_dual_cndmask_b32 v5, v5, v16
	v_cndmask_b32_e64 v9, 0, 0xffffffe0, s0
	s_delay_alu instid0(VALU_DEP_4) | instskip(NEXT) | instid1(VALU_DEP_2)
	v_dual_cndmask_b32 v12, v13, v8, s0 :: v_dual_cndmask_b32 v6, v8, v6, s0
	v_add_nc_u32_e32 v7, v9, v7
	s_delay_alu instid0(VALU_DEP_1) | instskip(NEXT) | instid1(VALU_DEP_1)
	v_cmp_lt_u32_e64 s1, 31, v7
	v_cndmask_b32_e64 v9, 0, 0xffffffe0, s1
	s_delay_alu instid0(VALU_DEP_1) | instskip(SKIP_1) | instid1(VALU_DEP_2)
	v_dual_cndmask_b32 v6, v12, v6, s1 :: v_dual_add_nc_u32 v7, v9, v7
	v_dual_cndmask_b32 v9, v4, v11, s0 :: v_dual_cndmask_b32 v4, v5, v4, s0
	v_dual_cndmask_b32 v5, v11, v13, s0 :: v_dual_sub_nc_u32 v11, 32, v7
	v_cmp_eq_u32_e32 vcc_lo, 0, v7
	s_delay_alu instid0(VALU_DEP_3) | instskip(NEXT) | instid1(VALU_DEP_3)
	v_cndmask_b32_e64 v4, v4, v9, s1
	v_cndmask_b32_e64 v9, v9, v5, s1
	;; [unrolled: 1-line block ×3, first 2 shown]
	s_delay_alu instid0(VALU_DEP_2) | instskip(NEXT) | instid1(VALU_DEP_2)
	v_alignbit_b32 v13, v4, v9, v11
	v_alignbit_b32 v10, v9, v5, v11
	;; [unrolled: 1-line block ×3, first 2 shown]
	s_delay_alu instid0(VALU_DEP_2) | instskip(NEXT) | instid1(VALU_DEP_2)
	v_dual_cndmask_b32 v4, v13, v4 :: v_dual_cndmask_b32 v7, v10, v9
	v_cndmask_b32_e32 v5, v11, v5, vcc_lo
	s_delay_alu instid0(VALU_DEP_2) | instskip(NEXT) | instid1(VALU_DEP_3)
	v_bfe_u32 v8, v4, 29, 1
	v_alignbit_b32 v9, v4, v7, 30
	s_delay_alu instid0(VALU_DEP_3) | instskip(SKIP_1) | instid1(VALU_DEP_4)
	v_alignbit_b32 v7, v7, v5, 30
	v_alignbit_b32 v5, v5, v6, 30
	v_sub_nc_u32_e32 v10, 0, v8
	s_delay_alu instid0(VALU_DEP_1) | instskip(NEXT) | instid1(VALU_DEP_4)
	v_xor_b32_e32 v9, v9, v10
	v_xor_b32_e32 v6, v7, v10
	s_delay_alu instid0(VALU_DEP_4) | instskip(NEXT) | instid1(VALU_DEP_3)
	v_dual_lshrrev_b32 v10, 29, v4 :: v_dual_bitop2_b32 v5, v5, v10 bitop3:0x14
	v_clz_i32_u32_e32 v11, v9
	s_delay_alu instid0(VALU_DEP_1) | instskip(NEXT) | instid1(VALU_DEP_1)
	v_min_u32_e32 v11, 32, v11
	v_dual_sub_nc_u32 v7, 31, v11 :: v_dual_lshlrev_b32 v12, 23, v11
	s_delay_alu instid0(VALU_DEP_1) | instskip(SKIP_2) | instid1(VALU_DEP_2)
	v_alignbit_b32 v9, v9, v6, v7
	v_alignbit_b32 v5, v6, v5, v7
	v_lshlrev_b32_e32 v6, 31, v10
	v_alignbit_b32 v7, v9, v5, 9
	s_delay_alu instid0(VALU_DEP_2) | instskip(SKIP_1) | instid1(VALU_DEP_3)
	v_dual_lshrrev_b32 v9, 9, v9 :: v_dual_bitop2_b32 v10, 0.5, v6 bitop3:0x54
	v_or_b32_e32 v6, 0x33000000, v6
	v_clz_i32_u32_e32 v13, v7
	s_delay_alu instid0(VALU_DEP_3) | instskip(NEXT) | instid1(VALU_DEP_2)
	v_sub_nc_u32_e32 v10, v10, v12
	v_min_u32_e32 v12, 32, v13
	s_delay_alu instid0(VALU_DEP_1) | instskip(NEXT) | instid1(VALU_DEP_3)
	v_add_lshl_u32 v11, v12, v11, 23
	v_or_b32_e32 v9, v9, v10
	v_not_b32_e32 v10, v12
	s_delay_alu instid0(VALU_DEP_2) | instskip(NEXT) | instid1(VALU_DEP_2)
	v_dual_mul_f32 v13, 0x3fc90fda, v9 :: v_dual_sub_nc_u32 v6, v6, v11
	v_alignbit_b32 v5, v7, v5, v10
	s_delay_alu instid0(VALU_DEP_2) | instskip(NEXT) | instid1(VALU_DEP_2)
	v_fma_f32 v7, 0x3fc90fda, v9, -v13
	v_lshrrev_b32_e32 v5, 9, v5
	s_delay_alu instid0(VALU_DEP_2) | instskip(NEXT) | instid1(VALU_DEP_2)
	v_fmamk_f32 v7, v9, 0x33a22168, v7
	v_or_b32_e32 v5, v6, v5
	s_delay_alu instid0(VALU_DEP_1) | instskip(NEXT) | instid1(VALU_DEP_1)
	v_fmac_f32_e32 v7, 0x3fc90fda, v5
	v_dual_add_f32 v4, v13, v7 :: v_dual_lshrrev_b32 v5, 30, v4
	s_delay_alu instid0(VALU_DEP_1)
	v_add_nc_u32_e32 v5, v8, v5
.LBB33_232:
	s_and_not1_saveexec_b32 s0, s16
; %bb.233:
	v_mul_f32_e64 v4, 0x3f22f983, |v1|
	s_delay_alu instid0(VALU_DEP_1) | instskip(NEXT) | instid1(VALU_DEP_1)
	v_rndne_f32_e32 v5, v4
	v_fma_f32 v4, 0xbfc90fda, v5, |v1|
	s_delay_alu instid0(VALU_DEP_1) | instskip(NEXT) | instid1(VALU_DEP_1)
	v_fmamk_f32 v4, v5, 0xb3a22168, v4
	v_fmamk_f32 v4, v5, 0xa7c234c4, v4
	v_cvt_i32_f32_e32 v5, v5
; %bb.234:
	s_or_b32 exec_lo, exec_lo, s0
	s_delay_alu instid0(VALU_DEP_1) | instskip(SKIP_3) | instid1(VALU_DEP_2)
	v_dual_mul_f32 v6, v4, v4 :: v_dual_bitop2_b32 v9, 1, v5 bitop3:0x40
	s_mov_b32 s0, 0xb94c1982
	s_mov_b32 s1, 0x37d75334
	v_add_nc_u32_e32 v0, 0x80, v0
	v_fmaak_f32 v7, s0, v6, 0x3c0881c4
	v_cmp_eq_u32_e32 vcc_lo, 0, v9
	v_lshlrev_b32_e32 v5, 30, v5
	s_delay_alu instid0(VALU_DEP_3) | instskip(SKIP_1) | instid1(VALU_DEP_3)
	v_fmaak_f32 v7, v6, v7, 0xbe2aaa9d
	v_fmaak_f32 v8, s1, v6, 0xbab64f3b
	v_bitop3_b32 v3, v3, v5, 0x80000000 bitop3:0x78
	s_delay_alu instid0(VALU_DEP_2) | instskip(NEXT) | instid1(VALU_DEP_1)
	v_dual_mul_f32 v7, v6, v7 :: v_dual_fmaak_f32 v8, v6, v8, 0x3d2aabf7
	v_fmac_f32_e32 v4, v4, v7
	s_delay_alu instid0(VALU_DEP_2) | instskip(NEXT) | instid1(VALU_DEP_1)
	v_fmaak_f32 v8, v6, v8, 0xbf000004
	v_fma_f32 v6, v6, v8, 1.0
	s_delay_alu instid0(VALU_DEP_1) | instskip(SKIP_1) | instid1(VALU_DEP_2)
	v_cndmask_b32_e32 v4, v6, v4, vcc_lo
	v_cmp_class_f32_e64 vcc_lo, v1, 0x1f8
	v_xor3_b32 v3, v3, v4, v1
	s_delay_alu instid0(VALU_DEP_1) | instskip(NEXT) | instid1(VALU_DEP_1)
	v_cndmask_b32_e32 v1, 0x7fc00000, v3, vcc_lo
	v_bfe_u32 v3, v1, 16, 1
	v_cmp_o_f32_e32 vcc_lo, v1, v1
	s_delay_alu instid0(VALU_DEP_2) | instskip(NEXT) | instid1(VALU_DEP_1)
	v_add3_u32 v3, v1, v3, 0x7fff
	v_lshrrev_b32_e32 v3, 16, v3
	s_delay_alu instid0(VALU_DEP_1) | instskip(SKIP_3) | instid1(SALU_CYCLE_1)
	v_cndmask_b32_e32 v1, 0x7fc0, v3, vcc_lo
	global_store_b16 v2, v1, s[4:5]
	s_wait_xcnt 0x0
	s_or_b32 exec_lo, exec_lo, s9
	s_mov_b32 s9, exec_lo
	v_cmpx_gt_i32_e64 s34, v0
	s_cbranch_execnz .LBB33_216
.LBB33_235:
	s_or_b32 exec_lo, exec_lo, s9
	s_delay_alu instid0(SALU_CYCLE_1)
	s_mov_b32 s9, exec_lo
	v_cmpx_gt_i32_e64 s34, v0
	s_cbranch_execz .LBB33_255
.LBB33_236:
	s_and_not1_b32 vcc_lo, exec_lo, s30
	s_cbranch_vccnz .LBB33_241
; %bb.237:
	s_and_not1_b32 vcc_lo, exec_lo, s36
	s_cbranch_vccnz .LBB33_242
; %bb.238:
	s_add_co_i32 s1, s35, 1
	s_cmp_eq_u32 s29, 2
	s_cbranch_scc1 .LBB33_263
; %bb.239:
	v_dual_mov_b32 v2, 0 :: v_dual_mov_b32 v3, 0
	v_mov_b32_e32 v1, v0
	s_and_b32 s0, s1, 28
	s_mov_b32 s16, 0
	s_mov_b64 s[24:25], s[2:3]
	s_mov_b64 s[26:27], s[22:23]
.LBB33_240:                             ; =>This Inner Loop Header: Depth=1
	s_clause 0x1
	s_load_b256 s[40:47], s[24:25], 0x4
	s_load_b128 s[56:59], s[24:25], 0x24
	s_load_b256 s[48:55], s[26:27], 0x0
	s_add_co_i32 s16, s16, 4
	s_wait_xcnt 0x0
	s_add_nc_u64 s[24:25], s[24:25], 48
	s_cmp_eq_u32 s0, s16
	s_add_nc_u64 s[26:27], s[26:27], 32
	s_wait_kmcnt 0x0
	v_mul_hi_u32 v4, s41, v1
	s_delay_alu instid0(VALU_DEP_1) | instskip(NEXT) | instid1(VALU_DEP_1)
	v_add_nc_u32_e32 v4, v1, v4
	v_lshrrev_b32_e32 v4, s42, v4
	s_delay_alu instid0(VALU_DEP_1) | instskip(NEXT) | instid1(VALU_DEP_1)
	v_mul_hi_u32 v5, s44, v4
	v_add_nc_u32_e32 v5, v4, v5
	s_delay_alu instid0(VALU_DEP_1) | instskip(NEXT) | instid1(VALU_DEP_1)
	v_lshrrev_b32_e32 v5, s45, v5
	v_mul_hi_u32 v6, s47, v5
	s_delay_alu instid0(VALU_DEP_1) | instskip(SKIP_1) | instid1(VALU_DEP_1)
	v_add_nc_u32_e32 v6, v5, v6
	v_mul_lo_u32 v7, v4, s40
	v_sub_nc_u32_e32 v1, v1, v7
	v_mul_lo_u32 v7, v5, s43
	s_delay_alu instid0(VALU_DEP_4) | instskip(NEXT) | instid1(VALU_DEP_3)
	v_lshrrev_b32_e32 v6, s56, v6
	v_mad_u32 v3, v1, s49, v3
	v_mad_u32 v1, v1, s48, v2
	s_delay_alu instid0(VALU_DEP_4) | instskip(NEXT) | instid1(VALU_DEP_4)
	v_sub_nc_u32_e32 v2, v4, v7
	v_mul_hi_u32 v8, s58, v6
	v_mul_lo_u32 v4, v6, s46
	s_delay_alu instid0(VALU_DEP_3) | instskip(SKIP_1) | instid1(VALU_DEP_4)
	v_mad_u32 v3, v2, s51, v3
	v_mad_u32 v2, v2, s50, v1
	v_add_nc_u32_e32 v7, v6, v8
	s_delay_alu instid0(VALU_DEP_1) | instskip(NEXT) | instid1(VALU_DEP_1)
	v_dual_sub_nc_u32 v4, v5, v4 :: v_dual_lshrrev_b32 v1, s59, v7
	v_mad_u32 v3, v4, s53, v3
	s_delay_alu instid0(VALU_DEP_4) | instskip(NEXT) | instid1(VALU_DEP_3)
	v_mad_u32 v2, v4, s52, v2
	v_mul_lo_u32 v5, v1, s57
	s_delay_alu instid0(VALU_DEP_1) | instskip(NEXT) | instid1(VALU_DEP_1)
	v_sub_nc_u32_e32 v4, v6, v5
	v_mad_u32 v3, v4, s55, v3
	s_delay_alu instid0(VALU_DEP_4)
	v_mad_u32 v2, v4, s54, v2
	s_cbranch_scc0 .LBB33_240
	s_branch .LBB33_264
.LBB33_241:
                                        ; implicit-def: $vgpr3
	s_branch .LBB33_268
.LBB33_242:
	v_dual_mov_b32 v3, 0 :: v_dual_mov_b32 v2, 0
	s_branch .LBB33_267
.LBB33_243:
	v_mov_b64_e32 v[2:3], 0
	v_mov_b32_e32 v1, v0
	s_mov_b32 s0, 0
.LBB33_244:
	s_and_b32 s16, s1, 3
	s_mov_b32 s1, 0
	s_cmp_eq_u32 s16, 0
	s_cbranch_scc1 .LBB33_247
; %bb.245:
	s_lshl_b32 s24, s0, 3
	s_mov_b32 s25, s1
	s_mul_u64 s[26:27], s[0:1], 12
	s_add_nc_u64 s[24:25], s[2:3], s[24:25]
	s_delay_alu instid0(SALU_CYCLE_1)
	s_add_nc_u64 s[0:1], s[24:25], 0xc4
	s_add_nc_u64 s[24:25], s[2:3], s[26:27]
.LBB33_246:                             ; =>This Inner Loop Header: Depth=1
	s_load_b96 s[40:42], s[24:25], 0x4
	s_load_b64 s[26:27], s[0:1], 0x0
	s_add_co_i32 s16, s16, -1
	s_wait_xcnt 0x0
	s_add_nc_u64 s[24:25], s[24:25], 12
	s_cmp_lg_u32 s16, 0
	s_add_nc_u64 s[0:1], s[0:1], 8
	s_wait_kmcnt 0x0
	v_mul_hi_u32 v4, s41, v1
	s_delay_alu instid0(VALU_DEP_1) | instskip(NEXT) | instid1(VALU_DEP_1)
	v_add_nc_u32_e32 v4, v1, v4
	v_lshrrev_b32_e32 v4, s42, v4
	s_delay_alu instid0(VALU_DEP_1) | instskip(NEXT) | instid1(VALU_DEP_1)
	v_mul_lo_u32 v5, v4, s40
	v_sub_nc_u32_e32 v1, v1, v5
	s_delay_alu instid0(VALU_DEP_1)
	v_mad_u32 v3, v1, s27, v3
	v_mad_u32 v2, v1, s26, v2
	v_mov_b32_e32 v1, v4
	s_cbranch_scc1 .LBB33_246
.LBB33_247:
	s_cbranch_execnz .LBB33_250
.LBB33_248:
	v_mov_b32_e32 v1, 0
	s_and_not1_b32 vcc_lo, exec_lo, s33
	s_delay_alu instid0(VALU_DEP_1) | instskip(NEXT) | instid1(VALU_DEP_1)
	v_mul_u64_e32 v[2:3], s[18:19], v[0:1]
	v_add_nc_u32_e32 v2, v0, v3
	s_delay_alu instid0(VALU_DEP_1) | instskip(NEXT) | instid1(VALU_DEP_1)
	v_lshrrev_b32_e32 v4, s10, v2
	v_mul_lo_u32 v2, v4, s8
	s_delay_alu instid0(VALU_DEP_1) | instskip(NEXT) | instid1(VALU_DEP_1)
	v_sub_nc_u32_e32 v2, v0, v2
	v_mul_lo_u32 v3, v2, s13
	v_mul_lo_u32 v2, v2, s12
	s_cbranch_vccnz .LBB33_250
; %bb.249:
	v_mov_b32_e32 v5, v1
	s_delay_alu instid0(VALU_DEP_1) | instskip(NEXT) | instid1(VALU_DEP_1)
	v_mul_u64_e32 v[6:7], s[20:21], v[4:5]
	v_add_nc_u32_e32 v1, v4, v7
	s_delay_alu instid0(VALU_DEP_1) | instskip(NEXT) | instid1(VALU_DEP_1)
	v_lshrrev_b32_e32 v1, s17, v1
	v_mul_lo_u32 v1, v1, s11
	s_delay_alu instid0(VALU_DEP_1) | instskip(NEXT) | instid1(VALU_DEP_1)
	v_sub_nc_u32_e32 v1, v4, v1
	v_mad_u32 v2, v1, s14, v2
	v_mad_u32 v3, v1, s15, v3
.LBB33_250:
	global_load_u16 v1, v3, s[6:7]
                                        ; implicit-def: $vgpr5
                                        ; implicit-def: $vgpr4
	s_mov_b32 s1, exec_lo
	s_wait_loadcnt 0x0
	v_lshlrev_b32_e32 v1, 16, v1
	s_wait_xcnt 0x0
	s_delay_alu instid0(VALU_DEP_1)
	v_and_b32_e32 v3, 0x7fffffff, v1
	v_cmpx_ngt_f32_e64 0x48000000, |v1|
	s_xor_b32 s16, exec_lo, s1
	s_cbranch_execz .LBB33_252
; %bb.251:
	s_mov_b32 s0, 0x7fffff
	v_mov_b32_e32 v5, 0
	v_and_or_b32 v4, v3, s0, 0x800000
	s_mov_b64 s[0:1], 0xfe5163ab
	s_delay_alu instid0(VALU_DEP_1) | instid1(SALU_CYCLE_1)
	v_mul_u64_e32 v[6:7], s[0:1], v[4:5]
	s_delay_alu instid0(VALU_DEP_1) | instskip(SKIP_2) | instid1(VALU_DEP_3)
	v_dual_mov_b32 v8, v7 :: v_dual_mov_b32 v9, v5
	v_dual_mov_b32 v11, v5 :: v_dual_mov_b32 v13, v5
	v_dual_mov_b32 v15, v5 :: v_dual_lshrrev_b32 v7, 23, v3
	v_mad_nc_u64_u32 v[8:9], 0x3c439041, v4, v[8:9]
	s_delay_alu instid0(VALU_DEP_1) | instskip(NEXT) | instid1(VALU_DEP_1)
	v_mov_b32_e32 v10, v9
	v_mad_nc_u64_u32 v[10:11], 0xdb629599, v4, v[10:11]
	s_delay_alu instid0(VALU_DEP_1) | instskip(NEXT) | instid1(VALU_DEP_1)
	v_mov_b32_e32 v12, v11
	v_mad_nc_u64_u32 v[12:13], 0xf534ddc0, v4, v[12:13]
	s_delay_alu instid0(VALU_DEP_1) | instskip(NEXT) | instid1(VALU_DEP_1)
	v_mov_b32_e32 v14, v13
	v_mad_nc_u64_u32 v[14:15], 0xfc2757d1, v4, v[14:15]
	s_delay_alu instid0(VALU_DEP_1) | instskip(NEXT) | instid1(VALU_DEP_1)
	v_dual_mov_b32 v17, v5 :: v_dual_mov_b32 v16, v15
	v_mad_nc_u64_u32 v[16:17], 0x4e441529, v4, v[16:17]
	s_delay_alu instid0(VALU_DEP_1) | instskip(NEXT) | instid1(VALU_DEP_1)
	v_dual_mov_b32 v18, v17 :: v_dual_add_nc_u32 v7, 0xffffff88, v7
	v_cmp_lt_u32_e32 vcc_lo, 63, v7
	v_mov_b32_e32 v19, v5
	v_cndmask_b32_e64 v9, 0, 0xffffffc0, vcc_lo
	s_delay_alu instid0(VALU_DEP_2) | instskip(SKIP_1) | instid1(VALU_DEP_3)
	v_mad_nc_u64_u32 v[4:5], 0xa2f9836e, v4, v[18:19]
	v_dual_cndmask_b32 v11, v16, v12, vcc_lo :: v_dual_cndmask_b32 v13, v14, v10, vcc_lo
	v_dual_cndmask_b32 v8, v12, v8 :: v_dual_add_nc_u32 v7, v9, v7
	v_cndmask_b32_e32 v6, v10, v6, vcc_lo
	s_delay_alu instid0(VALU_DEP_2) | instskip(SKIP_1) | instid1(VALU_DEP_2)
	v_cmp_lt_u32_e64 s0, 31, v7
	v_dual_cndmask_b32 v4, v4, v14 :: v_dual_cndmask_b32 v5, v5, v16
	v_cndmask_b32_e64 v9, 0, 0xffffffe0, s0
	s_delay_alu instid0(VALU_DEP_4) | instskip(NEXT) | instid1(VALU_DEP_2)
	v_dual_cndmask_b32 v12, v13, v8, s0 :: v_dual_cndmask_b32 v6, v8, v6, s0
	v_add_nc_u32_e32 v7, v9, v7
	s_delay_alu instid0(VALU_DEP_1) | instskip(NEXT) | instid1(VALU_DEP_1)
	v_cmp_lt_u32_e64 s1, 31, v7
	v_cndmask_b32_e64 v9, 0, 0xffffffe0, s1
	s_delay_alu instid0(VALU_DEP_1) | instskip(SKIP_1) | instid1(VALU_DEP_2)
	v_dual_cndmask_b32 v6, v12, v6, s1 :: v_dual_add_nc_u32 v7, v9, v7
	v_dual_cndmask_b32 v9, v4, v11, s0 :: v_dual_cndmask_b32 v4, v5, v4, s0
	v_dual_cndmask_b32 v5, v11, v13, s0 :: v_dual_sub_nc_u32 v11, 32, v7
	v_cmp_eq_u32_e32 vcc_lo, 0, v7
	s_delay_alu instid0(VALU_DEP_3) | instskip(NEXT) | instid1(VALU_DEP_3)
	v_cndmask_b32_e64 v4, v4, v9, s1
	v_cndmask_b32_e64 v9, v9, v5, s1
	;; [unrolled: 1-line block ×3, first 2 shown]
	s_delay_alu instid0(VALU_DEP_2) | instskip(NEXT) | instid1(VALU_DEP_2)
	v_alignbit_b32 v13, v4, v9, v11
	v_alignbit_b32 v10, v9, v5, v11
	;; [unrolled: 1-line block ×3, first 2 shown]
	s_delay_alu instid0(VALU_DEP_2) | instskip(NEXT) | instid1(VALU_DEP_2)
	v_dual_cndmask_b32 v4, v13, v4 :: v_dual_cndmask_b32 v7, v10, v9
	v_cndmask_b32_e32 v5, v11, v5, vcc_lo
	s_delay_alu instid0(VALU_DEP_2) | instskip(NEXT) | instid1(VALU_DEP_3)
	v_bfe_u32 v8, v4, 29, 1
	v_alignbit_b32 v9, v4, v7, 30
	s_delay_alu instid0(VALU_DEP_3) | instskip(SKIP_1) | instid1(VALU_DEP_4)
	v_alignbit_b32 v7, v7, v5, 30
	v_alignbit_b32 v5, v5, v6, 30
	v_sub_nc_u32_e32 v10, 0, v8
	s_delay_alu instid0(VALU_DEP_1) | instskip(NEXT) | instid1(VALU_DEP_4)
	v_xor_b32_e32 v9, v9, v10
	v_xor_b32_e32 v6, v7, v10
	s_delay_alu instid0(VALU_DEP_4) | instskip(NEXT) | instid1(VALU_DEP_3)
	v_dual_lshrrev_b32 v10, 29, v4 :: v_dual_bitop2_b32 v5, v5, v10 bitop3:0x14
	v_clz_i32_u32_e32 v11, v9
	s_delay_alu instid0(VALU_DEP_1) | instskip(NEXT) | instid1(VALU_DEP_1)
	v_min_u32_e32 v11, 32, v11
	v_dual_sub_nc_u32 v7, 31, v11 :: v_dual_lshlrev_b32 v12, 23, v11
	s_delay_alu instid0(VALU_DEP_1) | instskip(SKIP_2) | instid1(VALU_DEP_2)
	v_alignbit_b32 v9, v9, v6, v7
	v_alignbit_b32 v5, v6, v5, v7
	v_lshlrev_b32_e32 v6, 31, v10
	v_alignbit_b32 v7, v9, v5, 9
	s_delay_alu instid0(VALU_DEP_2) | instskip(SKIP_1) | instid1(VALU_DEP_3)
	v_dual_lshrrev_b32 v9, 9, v9 :: v_dual_bitop2_b32 v10, 0.5, v6 bitop3:0x54
	v_or_b32_e32 v6, 0x33000000, v6
	v_clz_i32_u32_e32 v13, v7
	s_delay_alu instid0(VALU_DEP_3) | instskip(NEXT) | instid1(VALU_DEP_2)
	v_sub_nc_u32_e32 v10, v10, v12
	v_min_u32_e32 v12, 32, v13
	s_delay_alu instid0(VALU_DEP_1) | instskip(NEXT) | instid1(VALU_DEP_3)
	v_add_lshl_u32 v11, v12, v11, 23
	v_or_b32_e32 v9, v9, v10
	v_not_b32_e32 v10, v12
	s_delay_alu instid0(VALU_DEP_2) | instskip(NEXT) | instid1(VALU_DEP_2)
	v_dual_mul_f32 v13, 0x3fc90fda, v9 :: v_dual_sub_nc_u32 v6, v6, v11
	v_alignbit_b32 v5, v7, v5, v10
	s_delay_alu instid0(VALU_DEP_2) | instskip(NEXT) | instid1(VALU_DEP_2)
	v_fma_f32 v7, 0x3fc90fda, v9, -v13
	v_lshrrev_b32_e32 v5, 9, v5
	s_delay_alu instid0(VALU_DEP_2) | instskip(NEXT) | instid1(VALU_DEP_2)
	v_fmamk_f32 v7, v9, 0x33a22168, v7
	v_or_b32_e32 v5, v6, v5
	s_delay_alu instid0(VALU_DEP_1) | instskip(NEXT) | instid1(VALU_DEP_1)
	v_fmac_f32_e32 v7, 0x3fc90fda, v5
	v_dual_add_f32 v4, v13, v7 :: v_dual_lshrrev_b32 v5, 30, v4
	s_delay_alu instid0(VALU_DEP_1)
	v_add_nc_u32_e32 v5, v8, v5
.LBB33_252:
	s_and_not1_saveexec_b32 s0, s16
; %bb.253:
	v_mul_f32_e64 v4, 0x3f22f983, |v1|
	s_delay_alu instid0(VALU_DEP_1) | instskip(NEXT) | instid1(VALU_DEP_1)
	v_rndne_f32_e32 v5, v4
	v_fma_f32 v4, 0xbfc90fda, v5, |v1|
	s_delay_alu instid0(VALU_DEP_1) | instskip(NEXT) | instid1(VALU_DEP_1)
	v_fmamk_f32 v4, v5, 0xb3a22168, v4
	v_fmamk_f32 v4, v5, 0xa7c234c4, v4
	v_cvt_i32_f32_e32 v5, v5
; %bb.254:
	s_or_b32 exec_lo, exec_lo, s0
	s_delay_alu instid0(VALU_DEP_1) | instskip(SKIP_3) | instid1(VALU_DEP_2)
	v_dual_mul_f32 v6, v4, v4 :: v_dual_bitop2_b32 v9, 1, v5 bitop3:0x40
	s_mov_b32 s0, 0xb94c1982
	s_mov_b32 s1, 0x37d75334
	v_add_nc_u32_e32 v0, 0x80, v0
	v_fmaak_f32 v7, s0, v6, 0x3c0881c4
	v_cmp_eq_u32_e32 vcc_lo, 0, v9
	v_lshlrev_b32_e32 v5, 30, v5
	s_delay_alu instid0(VALU_DEP_3) | instskip(SKIP_1) | instid1(VALU_DEP_3)
	v_fmaak_f32 v7, v6, v7, 0xbe2aaa9d
	v_fmaak_f32 v8, s1, v6, 0xbab64f3b
	v_bitop3_b32 v3, v3, v5, 0x80000000 bitop3:0x78
	s_delay_alu instid0(VALU_DEP_2) | instskip(NEXT) | instid1(VALU_DEP_1)
	v_dual_mul_f32 v7, v6, v7 :: v_dual_fmaak_f32 v8, v6, v8, 0x3d2aabf7
	v_fmac_f32_e32 v4, v4, v7
	s_delay_alu instid0(VALU_DEP_2) | instskip(NEXT) | instid1(VALU_DEP_1)
	v_fmaak_f32 v8, v6, v8, 0xbf000004
	v_fma_f32 v6, v6, v8, 1.0
	s_delay_alu instid0(VALU_DEP_1) | instskip(SKIP_1) | instid1(VALU_DEP_2)
	v_cndmask_b32_e32 v4, v6, v4, vcc_lo
	v_cmp_class_f32_e64 vcc_lo, v1, 0x1f8
	v_xor3_b32 v3, v3, v4, v1
	s_delay_alu instid0(VALU_DEP_1) | instskip(NEXT) | instid1(VALU_DEP_1)
	v_cndmask_b32_e32 v1, 0x7fc00000, v3, vcc_lo
	v_bfe_u32 v3, v1, 16, 1
	v_cmp_o_f32_e32 vcc_lo, v1, v1
	s_delay_alu instid0(VALU_DEP_2) | instskip(NEXT) | instid1(VALU_DEP_1)
	v_add3_u32 v3, v1, v3, 0x7fff
	v_lshrrev_b32_e32 v3, 16, v3
	s_delay_alu instid0(VALU_DEP_1) | instskip(SKIP_3) | instid1(SALU_CYCLE_1)
	v_cndmask_b32_e32 v1, 0x7fc0, v3, vcc_lo
	global_store_b16 v2, v1, s[4:5]
	s_wait_xcnt 0x0
	s_or_b32 exec_lo, exec_lo, s9
	s_mov_b32 s9, exec_lo
	v_cmpx_gt_i32_e64 s34, v0
	s_cbranch_execnz .LBB33_236
.LBB33_255:
	s_or_b32 exec_lo, exec_lo, s9
	s_delay_alu instid0(SALU_CYCLE_1)
	s_mov_b32 s9, exec_lo
	v_cmpx_gt_i32_e64 s34, v0
	s_cbranch_execz .LBB33_275
.LBB33_256:
	s_and_not1_b32 vcc_lo, exec_lo, s30
	s_cbranch_vccnz .LBB33_261
; %bb.257:
	s_and_not1_b32 vcc_lo, exec_lo, s36
	s_cbranch_vccnz .LBB33_262
; %bb.258:
	s_add_co_i32 s1, s35, 1
	s_cmp_eq_u32 s29, 2
	s_cbranch_scc1 .LBB33_278
; %bb.259:
	v_dual_mov_b32 v2, 0 :: v_dual_mov_b32 v3, 0
	v_mov_b32_e32 v1, v0
	s_and_b32 s0, s1, 28
	s_mov_b32 s16, 0
	s_mov_b64 s[24:25], s[2:3]
	s_mov_b64 s[26:27], s[22:23]
.LBB33_260:                             ; =>This Inner Loop Header: Depth=1
	s_clause 0x1
	s_load_b256 s[40:47], s[24:25], 0x4
	s_load_b128 s[56:59], s[24:25], 0x24
	s_load_b256 s[48:55], s[26:27], 0x0
	s_add_co_i32 s16, s16, 4
	s_wait_xcnt 0x0
	s_add_nc_u64 s[24:25], s[24:25], 48
	s_cmp_eq_u32 s0, s16
	s_add_nc_u64 s[26:27], s[26:27], 32
	s_wait_kmcnt 0x0
	v_mul_hi_u32 v4, s41, v1
	s_delay_alu instid0(VALU_DEP_1) | instskip(NEXT) | instid1(VALU_DEP_1)
	v_add_nc_u32_e32 v4, v1, v4
	v_lshrrev_b32_e32 v4, s42, v4
	s_delay_alu instid0(VALU_DEP_1) | instskip(NEXT) | instid1(VALU_DEP_1)
	v_mul_hi_u32 v5, s44, v4
	v_add_nc_u32_e32 v5, v4, v5
	s_delay_alu instid0(VALU_DEP_1) | instskip(NEXT) | instid1(VALU_DEP_1)
	v_lshrrev_b32_e32 v5, s45, v5
	v_mul_hi_u32 v6, s47, v5
	s_delay_alu instid0(VALU_DEP_1) | instskip(SKIP_1) | instid1(VALU_DEP_1)
	v_add_nc_u32_e32 v6, v5, v6
	v_mul_lo_u32 v7, v4, s40
	v_sub_nc_u32_e32 v1, v1, v7
	v_mul_lo_u32 v7, v5, s43
	s_delay_alu instid0(VALU_DEP_4) | instskip(NEXT) | instid1(VALU_DEP_3)
	v_lshrrev_b32_e32 v6, s56, v6
	v_mad_u32 v3, v1, s49, v3
	v_mad_u32 v1, v1, s48, v2
	s_delay_alu instid0(VALU_DEP_4) | instskip(NEXT) | instid1(VALU_DEP_4)
	v_sub_nc_u32_e32 v2, v4, v7
	v_mul_hi_u32 v8, s58, v6
	v_mul_lo_u32 v4, v6, s46
	s_delay_alu instid0(VALU_DEP_3) | instskip(SKIP_1) | instid1(VALU_DEP_4)
	v_mad_u32 v3, v2, s51, v3
	v_mad_u32 v2, v2, s50, v1
	v_add_nc_u32_e32 v7, v6, v8
	s_delay_alu instid0(VALU_DEP_1) | instskip(NEXT) | instid1(VALU_DEP_1)
	v_dual_sub_nc_u32 v4, v5, v4 :: v_dual_lshrrev_b32 v1, s59, v7
	v_mad_u32 v3, v4, s53, v3
	s_delay_alu instid0(VALU_DEP_4) | instskip(NEXT) | instid1(VALU_DEP_3)
	v_mad_u32 v2, v4, s52, v2
	v_mul_lo_u32 v5, v1, s57
	s_delay_alu instid0(VALU_DEP_1) | instskip(NEXT) | instid1(VALU_DEP_1)
	v_sub_nc_u32_e32 v4, v6, v5
	v_mad_u32 v3, v4, s55, v3
	s_delay_alu instid0(VALU_DEP_4)
	v_mad_u32 v2, v4, s54, v2
	s_cbranch_scc0 .LBB33_260
	s_branch .LBB33_279
.LBB33_261:
                                        ; implicit-def: $vgpr3
	s_branch .LBB33_283
.LBB33_262:
	v_dual_mov_b32 v3, 0 :: v_dual_mov_b32 v2, 0
	s_branch .LBB33_282
.LBB33_263:
	v_mov_b64_e32 v[2:3], 0
	v_mov_b32_e32 v1, v0
	s_mov_b32 s0, 0
.LBB33_264:
	s_and_b32 s16, s1, 3
	s_mov_b32 s1, 0
	s_cmp_eq_u32 s16, 0
	s_cbranch_scc1 .LBB33_267
; %bb.265:
	s_lshl_b32 s24, s0, 3
	s_mov_b32 s25, s1
	s_mul_u64 s[26:27], s[0:1], 12
	s_add_nc_u64 s[24:25], s[2:3], s[24:25]
	s_delay_alu instid0(SALU_CYCLE_1)
	s_add_nc_u64 s[0:1], s[24:25], 0xc4
	s_add_nc_u64 s[24:25], s[2:3], s[26:27]
.LBB33_266:                             ; =>This Inner Loop Header: Depth=1
	s_load_b96 s[40:42], s[24:25], 0x4
	s_load_b64 s[26:27], s[0:1], 0x0
	s_add_co_i32 s16, s16, -1
	s_wait_xcnt 0x0
	s_add_nc_u64 s[24:25], s[24:25], 12
	s_cmp_lg_u32 s16, 0
	s_add_nc_u64 s[0:1], s[0:1], 8
	s_wait_kmcnt 0x0
	v_mul_hi_u32 v4, s41, v1
	s_delay_alu instid0(VALU_DEP_1) | instskip(NEXT) | instid1(VALU_DEP_1)
	v_add_nc_u32_e32 v4, v1, v4
	v_lshrrev_b32_e32 v4, s42, v4
	s_delay_alu instid0(VALU_DEP_1) | instskip(NEXT) | instid1(VALU_DEP_1)
	v_mul_lo_u32 v5, v4, s40
	v_sub_nc_u32_e32 v1, v1, v5
	s_delay_alu instid0(VALU_DEP_1)
	v_mad_u32 v3, v1, s27, v3
	v_mad_u32 v2, v1, s26, v2
	v_mov_b32_e32 v1, v4
	s_cbranch_scc1 .LBB33_266
.LBB33_267:
	s_cbranch_execnz .LBB33_270
.LBB33_268:
	v_mov_b32_e32 v1, 0
	s_and_not1_b32 vcc_lo, exec_lo, s33
	s_delay_alu instid0(VALU_DEP_1) | instskip(NEXT) | instid1(VALU_DEP_1)
	v_mul_u64_e32 v[2:3], s[18:19], v[0:1]
	v_add_nc_u32_e32 v2, v0, v3
	s_delay_alu instid0(VALU_DEP_1) | instskip(NEXT) | instid1(VALU_DEP_1)
	v_lshrrev_b32_e32 v4, s10, v2
	v_mul_lo_u32 v2, v4, s8
	s_delay_alu instid0(VALU_DEP_1) | instskip(NEXT) | instid1(VALU_DEP_1)
	v_sub_nc_u32_e32 v2, v0, v2
	v_mul_lo_u32 v3, v2, s13
	v_mul_lo_u32 v2, v2, s12
	s_cbranch_vccnz .LBB33_270
; %bb.269:
	v_mov_b32_e32 v5, v1
	s_delay_alu instid0(VALU_DEP_1) | instskip(NEXT) | instid1(VALU_DEP_1)
	v_mul_u64_e32 v[6:7], s[20:21], v[4:5]
	v_add_nc_u32_e32 v1, v4, v7
	s_delay_alu instid0(VALU_DEP_1) | instskip(NEXT) | instid1(VALU_DEP_1)
	v_lshrrev_b32_e32 v1, s17, v1
	v_mul_lo_u32 v1, v1, s11
	s_delay_alu instid0(VALU_DEP_1) | instskip(NEXT) | instid1(VALU_DEP_1)
	v_sub_nc_u32_e32 v1, v4, v1
	v_mad_u32 v2, v1, s14, v2
	v_mad_u32 v3, v1, s15, v3
.LBB33_270:
	global_load_u16 v1, v3, s[6:7]
                                        ; implicit-def: $vgpr5
                                        ; implicit-def: $vgpr4
	s_mov_b32 s1, exec_lo
	s_wait_loadcnt 0x0
	v_lshlrev_b32_e32 v1, 16, v1
	s_wait_xcnt 0x0
	s_delay_alu instid0(VALU_DEP_1)
	v_and_b32_e32 v3, 0x7fffffff, v1
	v_cmpx_ngt_f32_e64 0x48000000, |v1|
	s_xor_b32 s16, exec_lo, s1
	s_cbranch_execz .LBB33_272
; %bb.271:
	s_mov_b32 s0, 0x7fffff
	v_mov_b32_e32 v5, 0
	v_and_or_b32 v4, v3, s0, 0x800000
	s_mov_b64 s[0:1], 0xfe5163ab
	s_delay_alu instid0(VALU_DEP_1) | instid1(SALU_CYCLE_1)
	v_mul_u64_e32 v[6:7], s[0:1], v[4:5]
	s_delay_alu instid0(VALU_DEP_1) | instskip(SKIP_2) | instid1(VALU_DEP_3)
	v_dual_mov_b32 v8, v7 :: v_dual_mov_b32 v9, v5
	v_dual_mov_b32 v11, v5 :: v_dual_mov_b32 v13, v5
	v_dual_mov_b32 v15, v5 :: v_dual_lshrrev_b32 v7, 23, v3
	v_mad_nc_u64_u32 v[8:9], 0x3c439041, v4, v[8:9]
	s_delay_alu instid0(VALU_DEP_1) | instskip(NEXT) | instid1(VALU_DEP_1)
	v_mov_b32_e32 v10, v9
	v_mad_nc_u64_u32 v[10:11], 0xdb629599, v4, v[10:11]
	s_delay_alu instid0(VALU_DEP_1) | instskip(NEXT) | instid1(VALU_DEP_1)
	v_mov_b32_e32 v12, v11
	;; [unrolled: 3-line block ×3, first 2 shown]
	v_mad_nc_u64_u32 v[14:15], 0xfc2757d1, v4, v[14:15]
	s_delay_alu instid0(VALU_DEP_1) | instskip(NEXT) | instid1(VALU_DEP_1)
	v_dual_mov_b32 v17, v5 :: v_dual_mov_b32 v16, v15
	v_mad_nc_u64_u32 v[16:17], 0x4e441529, v4, v[16:17]
	s_delay_alu instid0(VALU_DEP_1) | instskip(NEXT) | instid1(VALU_DEP_1)
	v_dual_mov_b32 v18, v17 :: v_dual_add_nc_u32 v7, 0xffffff88, v7
	v_cmp_lt_u32_e32 vcc_lo, 63, v7
	v_mov_b32_e32 v19, v5
	v_cndmask_b32_e64 v9, 0, 0xffffffc0, vcc_lo
	s_delay_alu instid0(VALU_DEP_2) | instskip(SKIP_1) | instid1(VALU_DEP_3)
	v_mad_nc_u64_u32 v[4:5], 0xa2f9836e, v4, v[18:19]
	v_dual_cndmask_b32 v11, v16, v12, vcc_lo :: v_dual_cndmask_b32 v13, v14, v10, vcc_lo
	v_dual_cndmask_b32 v8, v12, v8 :: v_dual_add_nc_u32 v7, v9, v7
	v_cndmask_b32_e32 v6, v10, v6, vcc_lo
	s_delay_alu instid0(VALU_DEP_2) | instskip(SKIP_1) | instid1(VALU_DEP_2)
	v_cmp_lt_u32_e64 s0, 31, v7
	v_dual_cndmask_b32 v4, v4, v14 :: v_dual_cndmask_b32 v5, v5, v16
	v_cndmask_b32_e64 v9, 0, 0xffffffe0, s0
	s_delay_alu instid0(VALU_DEP_4) | instskip(NEXT) | instid1(VALU_DEP_2)
	v_dual_cndmask_b32 v12, v13, v8, s0 :: v_dual_cndmask_b32 v6, v8, v6, s0
	v_add_nc_u32_e32 v7, v9, v7
	s_delay_alu instid0(VALU_DEP_1) | instskip(NEXT) | instid1(VALU_DEP_1)
	v_cmp_lt_u32_e64 s1, 31, v7
	v_cndmask_b32_e64 v9, 0, 0xffffffe0, s1
	s_delay_alu instid0(VALU_DEP_1) | instskip(SKIP_1) | instid1(VALU_DEP_2)
	v_dual_cndmask_b32 v6, v12, v6, s1 :: v_dual_add_nc_u32 v7, v9, v7
	v_dual_cndmask_b32 v9, v4, v11, s0 :: v_dual_cndmask_b32 v4, v5, v4, s0
	v_dual_cndmask_b32 v5, v11, v13, s0 :: v_dual_sub_nc_u32 v11, 32, v7
	v_cmp_eq_u32_e32 vcc_lo, 0, v7
	s_delay_alu instid0(VALU_DEP_3) | instskip(NEXT) | instid1(VALU_DEP_3)
	v_cndmask_b32_e64 v4, v4, v9, s1
	v_cndmask_b32_e64 v9, v9, v5, s1
	;; [unrolled: 1-line block ×3, first 2 shown]
	s_delay_alu instid0(VALU_DEP_2) | instskip(NEXT) | instid1(VALU_DEP_2)
	v_alignbit_b32 v13, v4, v9, v11
	v_alignbit_b32 v10, v9, v5, v11
	;; [unrolled: 1-line block ×3, first 2 shown]
	s_delay_alu instid0(VALU_DEP_2) | instskip(NEXT) | instid1(VALU_DEP_2)
	v_dual_cndmask_b32 v4, v13, v4 :: v_dual_cndmask_b32 v7, v10, v9
	v_cndmask_b32_e32 v5, v11, v5, vcc_lo
	s_delay_alu instid0(VALU_DEP_2) | instskip(NEXT) | instid1(VALU_DEP_3)
	v_bfe_u32 v8, v4, 29, 1
	v_alignbit_b32 v9, v4, v7, 30
	s_delay_alu instid0(VALU_DEP_3) | instskip(SKIP_1) | instid1(VALU_DEP_4)
	v_alignbit_b32 v7, v7, v5, 30
	v_alignbit_b32 v5, v5, v6, 30
	v_sub_nc_u32_e32 v10, 0, v8
	s_delay_alu instid0(VALU_DEP_1) | instskip(NEXT) | instid1(VALU_DEP_4)
	v_xor_b32_e32 v9, v9, v10
	v_xor_b32_e32 v6, v7, v10
	s_delay_alu instid0(VALU_DEP_4) | instskip(NEXT) | instid1(VALU_DEP_3)
	v_dual_lshrrev_b32 v10, 29, v4 :: v_dual_bitop2_b32 v5, v5, v10 bitop3:0x14
	v_clz_i32_u32_e32 v11, v9
	s_delay_alu instid0(VALU_DEP_1) | instskip(NEXT) | instid1(VALU_DEP_1)
	v_min_u32_e32 v11, 32, v11
	v_dual_sub_nc_u32 v7, 31, v11 :: v_dual_lshlrev_b32 v12, 23, v11
	s_delay_alu instid0(VALU_DEP_1) | instskip(SKIP_2) | instid1(VALU_DEP_2)
	v_alignbit_b32 v9, v9, v6, v7
	v_alignbit_b32 v5, v6, v5, v7
	v_lshlrev_b32_e32 v6, 31, v10
	v_alignbit_b32 v7, v9, v5, 9
	s_delay_alu instid0(VALU_DEP_2) | instskip(SKIP_1) | instid1(VALU_DEP_3)
	v_dual_lshrrev_b32 v9, 9, v9 :: v_dual_bitop2_b32 v10, 0.5, v6 bitop3:0x54
	v_or_b32_e32 v6, 0x33000000, v6
	v_clz_i32_u32_e32 v13, v7
	s_delay_alu instid0(VALU_DEP_3) | instskip(NEXT) | instid1(VALU_DEP_2)
	v_sub_nc_u32_e32 v10, v10, v12
	v_min_u32_e32 v12, 32, v13
	s_delay_alu instid0(VALU_DEP_1) | instskip(NEXT) | instid1(VALU_DEP_3)
	v_add_lshl_u32 v11, v12, v11, 23
	v_or_b32_e32 v9, v9, v10
	v_not_b32_e32 v10, v12
	s_delay_alu instid0(VALU_DEP_2) | instskip(NEXT) | instid1(VALU_DEP_2)
	v_dual_mul_f32 v13, 0x3fc90fda, v9 :: v_dual_sub_nc_u32 v6, v6, v11
	v_alignbit_b32 v5, v7, v5, v10
	s_delay_alu instid0(VALU_DEP_2) | instskip(NEXT) | instid1(VALU_DEP_2)
	v_fma_f32 v7, 0x3fc90fda, v9, -v13
	v_lshrrev_b32_e32 v5, 9, v5
	s_delay_alu instid0(VALU_DEP_2) | instskip(NEXT) | instid1(VALU_DEP_2)
	v_fmamk_f32 v7, v9, 0x33a22168, v7
	v_or_b32_e32 v5, v6, v5
	s_delay_alu instid0(VALU_DEP_1) | instskip(NEXT) | instid1(VALU_DEP_1)
	v_fmac_f32_e32 v7, 0x3fc90fda, v5
	v_dual_add_f32 v4, v13, v7 :: v_dual_lshrrev_b32 v5, 30, v4
	s_delay_alu instid0(VALU_DEP_1)
	v_add_nc_u32_e32 v5, v8, v5
.LBB33_272:
	s_and_not1_saveexec_b32 s0, s16
; %bb.273:
	v_mul_f32_e64 v4, 0x3f22f983, |v1|
	s_delay_alu instid0(VALU_DEP_1) | instskip(NEXT) | instid1(VALU_DEP_1)
	v_rndne_f32_e32 v5, v4
	v_fma_f32 v4, 0xbfc90fda, v5, |v1|
	s_delay_alu instid0(VALU_DEP_1) | instskip(NEXT) | instid1(VALU_DEP_1)
	v_fmamk_f32 v4, v5, 0xb3a22168, v4
	v_fmamk_f32 v4, v5, 0xa7c234c4, v4
	v_cvt_i32_f32_e32 v5, v5
; %bb.274:
	s_or_b32 exec_lo, exec_lo, s0
	s_delay_alu instid0(VALU_DEP_1) | instskip(SKIP_3) | instid1(VALU_DEP_2)
	v_dual_mul_f32 v6, v4, v4 :: v_dual_bitop2_b32 v9, 1, v5 bitop3:0x40
	s_mov_b32 s0, 0xb94c1982
	s_mov_b32 s1, 0x37d75334
	v_add_nc_u32_e32 v0, 0x80, v0
	v_fmaak_f32 v7, s0, v6, 0x3c0881c4
	v_cmp_eq_u32_e32 vcc_lo, 0, v9
	v_lshlrev_b32_e32 v5, 30, v5
	s_delay_alu instid0(VALU_DEP_3) | instskip(SKIP_1) | instid1(VALU_DEP_3)
	v_fmaak_f32 v7, v6, v7, 0xbe2aaa9d
	v_fmaak_f32 v8, s1, v6, 0xbab64f3b
	v_bitop3_b32 v3, v3, v5, 0x80000000 bitop3:0x78
	s_delay_alu instid0(VALU_DEP_2) | instskip(NEXT) | instid1(VALU_DEP_1)
	v_dual_mul_f32 v7, v6, v7 :: v_dual_fmaak_f32 v8, v6, v8, 0x3d2aabf7
	v_fmac_f32_e32 v4, v4, v7
	s_delay_alu instid0(VALU_DEP_2) | instskip(NEXT) | instid1(VALU_DEP_1)
	v_fmaak_f32 v8, v6, v8, 0xbf000004
	v_fma_f32 v6, v6, v8, 1.0
	s_delay_alu instid0(VALU_DEP_1) | instskip(SKIP_1) | instid1(VALU_DEP_2)
	v_cndmask_b32_e32 v4, v6, v4, vcc_lo
	v_cmp_class_f32_e64 vcc_lo, v1, 0x1f8
	v_xor3_b32 v3, v3, v4, v1
	s_delay_alu instid0(VALU_DEP_1) | instskip(NEXT) | instid1(VALU_DEP_1)
	v_cndmask_b32_e32 v1, 0x7fc00000, v3, vcc_lo
	v_bfe_u32 v3, v1, 16, 1
	v_cmp_o_f32_e32 vcc_lo, v1, v1
	s_delay_alu instid0(VALU_DEP_2) | instskip(NEXT) | instid1(VALU_DEP_1)
	v_add3_u32 v3, v1, v3, 0x7fff
	v_lshrrev_b32_e32 v3, 16, v3
	s_delay_alu instid0(VALU_DEP_1) | instskip(SKIP_3) | instid1(SALU_CYCLE_1)
	v_cndmask_b32_e32 v1, 0x7fc0, v3, vcc_lo
	global_store_b16 v2, v1, s[4:5]
	s_wait_xcnt 0x0
	s_or_b32 exec_lo, exec_lo, s9
	s_mov_b32 s9, exec_lo
	v_cmpx_gt_i32_e64 s34, v0
	s_cbranch_execnz .LBB33_256
.LBB33_275:
	s_or_b32 exec_lo, exec_lo, s9
	s_delay_alu instid0(SALU_CYCLE_1)
	s_mov_b32 s9, exec_lo
	v_cmpx_gt_i32_e64 s34, v0
	s_cbranch_execnz .LBB33_290
.LBB33_276:
	s_or_b32 exec_lo, exec_lo, s9
                                        ; implicit-def: $vgpr16
                                        ; implicit-def: $vgpr0
	s_and_not1_saveexec_b32 s0, s31
	s_cbranch_execnz .LBB33_8
.LBB33_277:
	s_endpgm
.LBB33_278:
	v_mov_b64_e32 v[2:3], 0
	v_mov_b32_e32 v1, v0
	s_mov_b32 s0, 0
.LBB33_279:
	s_and_b32 s16, s1, 3
	s_mov_b32 s1, 0
	s_cmp_eq_u32 s16, 0
	s_cbranch_scc1 .LBB33_282
; %bb.280:
	s_lshl_b32 s24, s0, 3
	s_mov_b32 s25, s1
	s_mul_u64 s[26:27], s[0:1], 12
	s_add_nc_u64 s[24:25], s[2:3], s[24:25]
	s_delay_alu instid0(SALU_CYCLE_1)
	s_add_nc_u64 s[0:1], s[24:25], 0xc4
	s_add_nc_u64 s[24:25], s[2:3], s[26:27]
.LBB33_281:                             ; =>This Inner Loop Header: Depth=1
	s_load_b96 s[40:42], s[24:25], 0x4
	s_load_b64 s[26:27], s[0:1], 0x0
	s_add_co_i32 s16, s16, -1
	s_wait_xcnt 0x0
	s_add_nc_u64 s[24:25], s[24:25], 12
	s_cmp_lg_u32 s16, 0
	s_add_nc_u64 s[0:1], s[0:1], 8
	s_wait_kmcnt 0x0
	v_mul_hi_u32 v4, s41, v1
	s_delay_alu instid0(VALU_DEP_1) | instskip(NEXT) | instid1(VALU_DEP_1)
	v_add_nc_u32_e32 v4, v1, v4
	v_lshrrev_b32_e32 v4, s42, v4
	s_delay_alu instid0(VALU_DEP_1) | instskip(NEXT) | instid1(VALU_DEP_1)
	v_mul_lo_u32 v5, v4, s40
	v_sub_nc_u32_e32 v1, v1, v5
	s_delay_alu instid0(VALU_DEP_1)
	v_mad_u32 v3, v1, s27, v3
	v_mad_u32 v2, v1, s26, v2
	v_mov_b32_e32 v1, v4
	s_cbranch_scc1 .LBB33_281
.LBB33_282:
	s_cbranch_execnz .LBB33_285
.LBB33_283:
	v_mov_b32_e32 v1, 0
	s_and_not1_b32 vcc_lo, exec_lo, s33
	s_delay_alu instid0(VALU_DEP_1) | instskip(NEXT) | instid1(VALU_DEP_1)
	v_mul_u64_e32 v[2:3], s[18:19], v[0:1]
	v_add_nc_u32_e32 v2, v0, v3
	s_delay_alu instid0(VALU_DEP_1) | instskip(NEXT) | instid1(VALU_DEP_1)
	v_lshrrev_b32_e32 v4, s10, v2
	v_mul_lo_u32 v2, v4, s8
	s_delay_alu instid0(VALU_DEP_1) | instskip(NEXT) | instid1(VALU_DEP_1)
	v_sub_nc_u32_e32 v2, v0, v2
	v_mul_lo_u32 v3, v2, s13
	v_mul_lo_u32 v2, v2, s12
	s_cbranch_vccnz .LBB33_285
; %bb.284:
	v_mov_b32_e32 v5, v1
	s_delay_alu instid0(VALU_DEP_1) | instskip(NEXT) | instid1(VALU_DEP_1)
	v_mul_u64_e32 v[6:7], s[20:21], v[4:5]
	v_add_nc_u32_e32 v1, v4, v7
	s_delay_alu instid0(VALU_DEP_1) | instskip(NEXT) | instid1(VALU_DEP_1)
	v_lshrrev_b32_e32 v1, s17, v1
	v_mul_lo_u32 v1, v1, s11
	s_delay_alu instid0(VALU_DEP_1) | instskip(NEXT) | instid1(VALU_DEP_1)
	v_sub_nc_u32_e32 v1, v4, v1
	v_mad_u32 v2, v1, s14, v2
	v_mad_u32 v3, v1, s15, v3
.LBB33_285:
	global_load_u16 v1, v3, s[6:7]
                                        ; implicit-def: $vgpr5
                                        ; implicit-def: $vgpr4
	s_mov_b32 s1, exec_lo
	s_wait_loadcnt 0x0
	v_lshlrev_b32_e32 v1, 16, v1
	s_wait_xcnt 0x0
	s_delay_alu instid0(VALU_DEP_1)
	v_and_b32_e32 v3, 0x7fffffff, v1
	v_cmpx_ngt_f32_e64 0x48000000, |v1|
	s_xor_b32 s16, exec_lo, s1
	s_cbranch_execz .LBB33_287
; %bb.286:
	s_mov_b32 s0, 0x7fffff
	v_mov_b32_e32 v5, 0
	v_and_or_b32 v4, v3, s0, 0x800000
	s_mov_b64 s[0:1], 0xfe5163ab
	s_delay_alu instid0(VALU_DEP_1) | instid1(SALU_CYCLE_1)
	v_mul_u64_e32 v[6:7], s[0:1], v[4:5]
	s_delay_alu instid0(VALU_DEP_1) | instskip(SKIP_2) | instid1(VALU_DEP_3)
	v_dual_mov_b32 v8, v7 :: v_dual_mov_b32 v9, v5
	v_dual_mov_b32 v11, v5 :: v_dual_mov_b32 v13, v5
	v_dual_mov_b32 v15, v5 :: v_dual_lshrrev_b32 v7, 23, v3
	v_mad_nc_u64_u32 v[8:9], 0x3c439041, v4, v[8:9]
	s_delay_alu instid0(VALU_DEP_1) | instskip(NEXT) | instid1(VALU_DEP_1)
	v_mov_b32_e32 v10, v9
	v_mad_nc_u64_u32 v[10:11], 0xdb629599, v4, v[10:11]
	s_delay_alu instid0(VALU_DEP_1) | instskip(NEXT) | instid1(VALU_DEP_1)
	v_mov_b32_e32 v12, v11
	;; [unrolled: 3-line block ×3, first 2 shown]
	v_mad_nc_u64_u32 v[14:15], 0xfc2757d1, v4, v[14:15]
	s_delay_alu instid0(VALU_DEP_1) | instskip(NEXT) | instid1(VALU_DEP_1)
	v_dual_mov_b32 v17, v5 :: v_dual_mov_b32 v16, v15
	v_mad_nc_u64_u32 v[16:17], 0x4e441529, v4, v[16:17]
	s_delay_alu instid0(VALU_DEP_1) | instskip(NEXT) | instid1(VALU_DEP_1)
	v_dual_mov_b32 v18, v17 :: v_dual_add_nc_u32 v7, 0xffffff88, v7
	v_cmp_lt_u32_e32 vcc_lo, 63, v7
	v_mov_b32_e32 v19, v5
	v_cndmask_b32_e64 v9, 0, 0xffffffc0, vcc_lo
	s_delay_alu instid0(VALU_DEP_2) | instskip(SKIP_1) | instid1(VALU_DEP_3)
	v_mad_nc_u64_u32 v[4:5], 0xa2f9836e, v4, v[18:19]
	v_dual_cndmask_b32 v11, v16, v12, vcc_lo :: v_dual_cndmask_b32 v13, v14, v10, vcc_lo
	v_dual_cndmask_b32 v8, v12, v8 :: v_dual_add_nc_u32 v7, v9, v7
	v_cndmask_b32_e32 v6, v10, v6, vcc_lo
	s_delay_alu instid0(VALU_DEP_2) | instskip(SKIP_1) | instid1(VALU_DEP_2)
	v_cmp_lt_u32_e64 s0, 31, v7
	v_dual_cndmask_b32 v4, v4, v14 :: v_dual_cndmask_b32 v5, v5, v16
	v_cndmask_b32_e64 v9, 0, 0xffffffe0, s0
	s_delay_alu instid0(VALU_DEP_4) | instskip(NEXT) | instid1(VALU_DEP_2)
	v_dual_cndmask_b32 v12, v13, v8, s0 :: v_dual_cndmask_b32 v6, v8, v6, s0
	v_add_nc_u32_e32 v7, v9, v7
	s_delay_alu instid0(VALU_DEP_1) | instskip(NEXT) | instid1(VALU_DEP_1)
	v_cmp_lt_u32_e64 s1, 31, v7
	v_cndmask_b32_e64 v9, 0, 0xffffffe0, s1
	s_delay_alu instid0(VALU_DEP_1) | instskip(SKIP_1) | instid1(VALU_DEP_2)
	v_dual_cndmask_b32 v6, v12, v6, s1 :: v_dual_add_nc_u32 v7, v9, v7
	v_dual_cndmask_b32 v9, v4, v11, s0 :: v_dual_cndmask_b32 v4, v5, v4, s0
	v_dual_cndmask_b32 v5, v11, v13, s0 :: v_dual_sub_nc_u32 v11, 32, v7
	v_cmp_eq_u32_e32 vcc_lo, 0, v7
	s_delay_alu instid0(VALU_DEP_3) | instskip(NEXT) | instid1(VALU_DEP_3)
	v_cndmask_b32_e64 v4, v4, v9, s1
	v_cndmask_b32_e64 v9, v9, v5, s1
	v_cndmask_b32_e64 v5, v5, v12, s1
	s_delay_alu instid0(VALU_DEP_2) | instskip(NEXT) | instid1(VALU_DEP_2)
	v_alignbit_b32 v13, v4, v9, v11
	v_alignbit_b32 v10, v9, v5, v11
	;; [unrolled: 1-line block ×3, first 2 shown]
	s_delay_alu instid0(VALU_DEP_2) | instskip(NEXT) | instid1(VALU_DEP_2)
	v_dual_cndmask_b32 v4, v13, v4 :: v_dual_cndmask_b32 v7, v10, v9
	v_cndmask_b32_e32 v5, v11, v5, vcc_lo
	s_delay_alu instid0(VALU_DEP_2) | instskip(NEXT) | instid1(VALU_DEP_3)
	v_bfe_u32 v8, v4, 29, 1
	v_alignbit_b32 v9, v4, v7, 30
	s_delay_alu instid0(VALU_DEP_3) | instskip(SKIP_1) | instid1(VALU_DEP_4)
	v_alignbit_b32 v7, v7, v5, 30
	v_alignbit_b32 v5, v5, v6, 30
	v_sub_nc_u32_e32 v10, 0, v8
	s_delay_alu instid0(VALU_DEP_1) | instskip(NEXT) | instid1(VALU_DEP_4)
	v_xor_b32_e32 v9, v9, v10
	v_xor_b32_e32 v6, v7, v10
	s_delay_alu instid0(VALU_DEP_4) | instskip(NEXT) | instid1(VALU_DEP_3)
	v_dual_lshrrev_b32 v10, 29, v4 :: v_dual_bitop2_b32 v5, v5, v10 bitop3:0x14
	v_clz_i32_u32_e32 v11, v9
	s_delay_alu instid0(VALU_DEP_1) | instskip(NEXT) | instid1(VALU_DEP_1)
	v_min_u32_e32 v11, 32, v11
	v_dual_sub_nc_u32 v7, 31, v11 :: v_dual_lshlrev_b32 v12, 23, v11
	s_delay_alu instid0(VALU_DEP_1) | instskip(SKIP_2) | instid1(VALU_DEP_2)
	v_alignbit_b32 v9, v9, v6, v7
	v_alignbit_b32 v5, v6, v5, v7
	v_lshlrev_b32_e32 v6, 31, v10
	v_alignbit_b32 v7, v9, v5, 9
	s_delay_alu instid0(VALU_DEP_2) | instskip(SKIP_1) | instid1(VALU_DEP_3)
	v_dual_lshrrev_b32 v9, 9, v9 :: v_dual_bitop2_b32 v10, 0.5, v6 bitop3:0x54
	v_or_b32_e32 v6, 0x33000000, v6
	v_clz_i32_u32_e32 v13, v7
	s_delay_alu instid0(VALU_DEP_3) | instskip(NEXT) | instid1(VALU_DEP_2)
	v_sub_nc_u32_e32 v10, v10, v12
	v_min_u32_e32 v12, 32, v13
	s_delay_alu instid0(VALU_DEP_1) | instskip(NEXT) | instid1(VALU_DEP_3)
	v_add_lshl_u32 v11, v12, v11, 23
	v_or_b32_e32 v9, v9, v10
	v_not_b32_e32 v10, v12
	s_delay_alu instid0(VALU_DEP_2) | instskip(NEXT) | instid1(VALU_DEP_2)
	v_dual_mul_f32 v13, 0x3fc90fda, v9 :: v_dual_sub_nc_u32 v6, v6, v11
	v_alignbit_b32 v5, v7, v5, v10
	s_delay_alu instid0(VALU_DEP_2) | instskip(NEXT) | instid1(VALU_DEP_2)
	v_fma_f32 v7, 0x3fc90fda, v9, -v13
	v_lshrrev_b32_e32 v5, 9, v5
	s_delay_alu instid0(VALU_DEP_2) | instskip(NEXT) | instid1(VALU_DEP_2)
	v_fmamk_f32 v7, v9, 0x33a22168, v7
	v_or_b32_e32 v5, v6, v5
	s_delay_alu instid0(VALU_DEP_1) | instskip(NEXT) | instid1(VALU_DEP_1)
	v_fmac_f32_e32 v7, 0x3fc90fda, v5
	v_dual_add_f32 v4, v13, v7 :: v_dual_lshrrev_b32 v5, 30, v4
	s_delay_alu instid0(VALU_DEP_1)
	v_add_nc_u32_e32 v5, v8, v5
.LBB33_287:
	s_and_not1_saveexec_b32 s0, s16
; %bb.288:
	v_mul_f32_e64 v4, 0x3f22f983, |v1|
	s_delay_alu instid0(VALU_DEP_1) | instskip(NEXT) | instid1(VALU_DEP_1)
	v_rndne_f32_e32 v5, v4
	v_fma_f32 v4, 0xbfc90fda, v5, |v1|
	s_delay_alu instid0(VALU_DEP_1) | instskip(NEXT) | instid1(VALU_DEP_1)
	v_fmamk_f32 v4, v5, 0xb3a22168, v4
	v_fmamk_f32 v4, v5, 0xa7c234c4, v4
	v_cvt_i32_f32_e32 v5, v5
; %bb.289:
	s_or_b32 exec_lo, exec_lo, s0
	s_delay_alu instid0(VALU_DEP_1) | instskip(SKIP_3) | instid1(VALU_DEP_2)
	v_dual_mul_f32 v6, v4, v4 :: v_dual_bitop2_b32 v9, 1, v5 bitop3:0x40
	s_mov_b32 s0, 0xb94c1982
	s_mov_b32 s1, 0x37d75334
	v_add_nc_u32_e32 v0, 0x80, v0
	v_fmaak_f32 v7, s0, v6, 0x3c0881c4
	v_cmp_eq_u32_e32 vcc_lo, 0, v9
	v_lshlrev_b32_e32 v5, 30, v5
	s_delay_alu instid0(VALU_DEP_3) | instskip(SKIP_1) | instid1(VALU_DEP_3)
	v_fmaak_f32 v7, v6, v7, 0xbe2aaa9d
	v_fmaak_f32 v8, s1, v6, 0xbab64f3b
	v_bitop3_b32 v3, v3, v5, 0x80000000 bitop3:0x78
	s_delay_alu instid0(VALU_DEP_2) | instskip(NEXT) | instid1(VALU_DEP_1)
	v_dual_mul_f32 v7, v6, v7 :: v_dual_fmaak_f32 v8, v6, v8, 0x3d2aabf7
	v_fmac_f32_e32 v4, v4, v7
	s_delay_alu instid0(VALU_DEP_2) | instskip(NEXT) | instid1(VALU_DEP_1)
	v_fmaak_f32 v8, v6, v8, 0xbf000004
	v_fma_f32 v6, v6, v8, 1.0
	s_delay_alu instid0(VALU_DEP_1) | instskip(SKIP_1) | instid1(VALU_DEP_2)
	v_cndmask_b32_e32 v4, v6, v4, vcc_lo
	v_cmp_class_f32_e64 vcc_lo, v1, 0x1f8
	v_xor3_b32 v3, v3, v4, v1
	s_delay_alu instid0(VALU_DEP_1) | instskip(NEXT) | instid1(VALU_DEP_1)
	v_cndmask_b32_e32 v1, 0x7fc00000, v3, vcc_lo
	v_bfe_u32 v3, v1, 16, 1
	v_cmp_o_f32_e32 vcc_lo, v1, v1
	s_delay_alu instid0(VALU_DEP_2) | instskip(NEXT) | instid1(VALU_DEP_1)
	v_add3_u32 v3, v1, v3, 0x7fff
	v_lshrrev_b32_e32 v3, 16, v3
	s_delay_alu instid0(VALU_DEP_1) | instskip(SKIP_3) | instid1(SALU_CYCLE_1)
	v_cndmask_b32_e32 v1, 0x7fc0, v3, vcc_lo
	global_store_b16 v2, v1, s[4:5]
	s_wait_xcnt 0x0
	s_or_b32 exec_lo, exec_lo, s9
	s_mov_b32 s9, exec_lo
	v_cmpx_gt_i32_e64 s34, v0
	s_cbranch_execz .LBB33_276
.LBB33_290:
	s_and_not1_b32 vcc_lo, exec_lo, s30
	s_cbranch_vccnz .LBB33_295
; %bb.291:
	s_and_not1_b32 vcc_lo, exec_lo, s36
	s_cbranch_vccnz .LBB33_296
; %bb.292:
	s_add_co_i32 s35, s35, 1
	s_cmp_eq_u32 s29, 2
	s_cbranch_scc1 .LBB33_297
; %bb.293:
	v_dual_mov_b32 v2, 0 :: v_dual_mov_b32 v3, 0
	v_mov_b32_e32 v1, v0
	s_and_b32 s0, s35, 28
	s_mov_b32 s1, 0
	s_mov_b64 s[24:25], s[2:3]
.LBB33_294:                             ; =>This Inner Loop Header: Depth=1
	s_clause 0x1
	s_load_b256 s[36:43], s[24:25], 0x4
	s_load_b128 s[52:55], s[24:25], 0x24
	s_load_b256 s[44:51], s[22:23], 0x0
	s_add_co_i32 s1, s1, 4
	s_wait_xcnt 0x0
	s_add_nc_u64 s[24:25], s[24:25], 48
	s_cmp_eq_u32 s0, s1
	s_add_nc_u64 s[22:23], s[22:23], 32
	s_wait_kmcnt 0x0
	v_mul_hi_u32 v4, s37, v1
	s_delay_alu instid0(VALU_DEP_1) | instskip(NEXT) | instid1(VALU_DEP_1)
	v_add_nc_u32_e32 v4, v1, v4
	v_lshrrev_b32_e32 v4, s38, v4
	s_delay_alu instid0(VALU_DEP_1) | instskip(NEXT) | instid1(VALU_DEP_1)
	v_mul_hi_u32 v5, s40, v4
	v_add_nc_u32_e32 v5, v4, v5
	s_delay_alu instid0(VALU_DEP_1) | instskip(NEXT) | instid1(VALU_DEP_1)
	v_lshrrev_b32_e32 v5, s41, v5
	v_mul_hi_u32 v6, s43, v5
	s_delay_alu instid0(VALU_DEP_1) | instskip(SKIP_1) | instid1(VALU_DEP_1)
	v_add_nc_u32_e32 v6, v5, v6
	v_mul_lo_u32 v7, v4, s36
	v_sub_nc_u32_e32 v1, v1, v7
	v_mul_lo_u32 v7, v5, s39
	s_delay_alu instid0(VALU_DEP_4) | instskip(NEXT) | instid1(VALU_DEP_3)
	v_lshrrev_b32_e32 v6, s52, v6
	v_mad_u32 v3, v1, s45, v3
	v_mad_u32 v1, v1, s44, v2
	s_delay_alu instid0(VALU_DEP_4) | instskip(NEXT) | instid1(VALU_DEP_4)
	v_sub_nc_u32_e32 v2, v4, v7
	v_mul_hi_u32 v8, s54, v6
	v_mul_lo_u32 v4, v6, s42
	s_delay_alu instid0(VALU_DEP_3) | instskip(SKIP_1) | instid1(VALU_DEP_4)
	v_mad_u32 v3, v2, s47, v3
	v_mad_u32 v2, v2, s46, v1
	v_add_nc_u32_e32 v7, v6, v8
	s_delay_alu instid0(VALU_DEP_1) | instskip(NEXT) | instid1(VALU_DEP_1)
	v_dual_sub_nc_u32 v4, v5, v4 :: v_dual_lshrrev_b32 v1, s55, v7
	v_mad_u32 v3, v4, s49, v3
	s_delay_alu instid0(VALU_DEP_4) | instskip(NEXT) | instid1(VALU_DEP_3)
	v_mad_u32 v2, v4, s48, v2
	v_mul_lo_u32 v5, v1, s53
	s_delay_alu instid0(VALU_DEP_1) | instskip(NEXT) | instid1(VALU_DEP_1)
	v_sub_nc_u32_e32 v4, v6, v5
	v_mad_u32 v3, v4, s51, v3
	s_delay_alu instid0(VALU_DEP_4)
	v_mad_u32 v2, v4, s50, v2
	s_cbranch_scc0 .LBB33_294
	s_branch .LBB33_298
.LBB33_295:
                                        ; implicit-def: $vgpr3
	s_branch .LBB33_302
.LBB33_296:
	v_dual_mov_b32 v3, 0 :: v_dual_mov_b32 v2, 0
	s_branch .LBB33_301
.LBB33_297:
	v_mov_b64_e32 v[2:3], 0
	v_mov_b32_e32 v1, v0
	s_mov_b32 s0, 0
.LBB33_298:
	s_and_b32 s16, s35, 3
	s_mov_b32 s1, 0
	s_cmp_eq_u32 s16, 0
	s_cbranch_scc1 .LBB33_301
; %bb.299:
	s_lshl_b32 s22, s0, 3
	s_mov_b32 s23, s1
	s_mul_u64 s[24:25], s[0:1], 12
	s_add_nc_u64 s[22:23], s[2:3], s[22:23]
	s_delay_alu instid0(SALU_CYCLE_1)
	s_add_nc_u64 s[0:1], s[22:23], 0xc4
	s_add_nc_u64 s[22:23], s[2:3], s[24:25]
.LBB33_300:                             ; =>This Inner Loop Header: Depth=1
	s_load_b96 s[24:26], s[22:23], 0x4
	s_add_co_i32 s16, s16, -1
	s_wait_xcnt 0x0
	s_add_nc_u64 s[22:23], s[22:23], 12
	s_cmp_lg_u32 s16, 0
	s_wait_kmcnt 0x0
	v_mul_hi_u32 v4, s25, v1
	s_delay_alu instid0(VALU_DEP_1) | instskip(NEXT) | instid1(VALU_DEP_1)
	v_add_nc_u32_e32 v4, v1, v4
	v_lshrrev_b32_e32 v4, s26, v4
	s_load_b64 s[26:27], s[0:1], 0x0
	s_wait_xcnt 0x0
	s_add_nc_u64 s[0:1], s[0:1], 8
	s_delay_alu instid0(VALU_DEP_1) | instskip(NEXT) | instid1(VALU_DEP_1)
	v_mul_lo_u32 v5, v4, s24
	v_sub_nc_u32_e32 v1, v1, v5
	s_wait_kmcnt 0x0
	s_delay_alu instid0(VALU_DEP_1)
	v_mad_u32 v3, v1, s27, v3
	v_mad_u32 v2, v1, s26, v2
	v_mov_b32_e32 v1, v4
	s_cbranch_scc1 .LBB33_300
.LBB33_301:
	s_cbranch_execnz .LBB33_304
.LBB33_302:
	v_mov_b32_e32 v1, 0
	s_and_not1_b32 vcc_lo, exec_lo, s33
	s_delay_alu instid0(VALU_DEP_1) | instskip(NEXT) | instid1(VALU_DEP_1)
	v_mul_u64_e32 v[2:3], s[18:19], v[0:1]
	v_add_nc_u32_e32 v2, v0, v3
	s_delay_alu instid0(VALU_DEP_1) | instskip(NEXT) | instid1(VALU_DEP_1)
	v_lshrrev_b32_e32 v4, s10, v2
	v_mul_lo_u32 v2, v4, s8
	s_delay_alu instid0(VALU_DEP_1) | instskip(NEXT) | instid1(VALU_DEP_1)
	v_sub_nc_u32_e32 v0, v0, v2
	v_mul_lo_u32 v3, v0, s13
	v_mul_lo_u32 v2, v0, s12
	s_cbranch_vccnz .LBB33_304
; %bb.303:
	v_mov_b32_e32 v5, v1
	s_delay_alu instid0(VALU_DEP_1) | instskip(NEXT) | instid1(VALU_DEP_1)
	v_mul_u64_e32 v[0:1], s[20:21], v[4:5]
	v_add_nc_u32_e32 v0, v4, v1
	s_delay_alu instid0(VALU_DEP_1) | instskip(NEXT) | instid1(VALU_DEP_1)
	v_lshrrev_b32_e32 v0, s17, v0
	v_mul_lo_u32 v0, v0, s11
	s_delay_alu instid0(VALU_DEP_1) | instskip(NEXT) | instid1(VALU_DEP_1)
	v_sub_nc_u32_e32 v0, v4, v0
	v_mad_u32 v2, v0, s14, v2
	v_mad_u32 v3, v0, s15, v3
.LBB33_304:
	global_load_u16 v0, v3, s[6:7]
                                        ; implicit-def: $vgpr4
                                        ; implicit-def: $vgpr3
	s_mov_b32 s1, exec_lo
	s_wait_loadcnt 0x0
	v_lshlrev_b32_e32 v0, 16, v0
	s_delay_alu instid0(VALU_DEP_1)
	v_and_b32_e32 v1, 0x7fffffff, v0
	s_wait_xcnt 0x0
	v_cmpx_ngt_f32_e64 0x48000000, |v0|
	s_xor_b32 s6, exec_lo, s1
	s_cbranch_execz .LBB33_306
; %bb.305:
	s_mov_b32 s0, 0x7fffff
	v_mov_b32_e32 v5, 0
	v_and_or_b32 v4, v1, s0, 0x800000
	s_mov_b64 s[0:1], 0xfe5163ab
	v_lshrrev_b32_e32 v3, 23, v1
	s_delay_alu instid0(VALU_DEP_2) | instskip(NEXT) | instid1(VALU_DEP_1)
	v_mul_u64_e32 v[6:7], s[0:1], v[4:5]
	v_dual_mov_b32 v8, v7 :: v_dual_mov_b32 v9, v5
	v_dual_mov_b32 v11, v5 :: v_dual_mov_b32 v13, v5
	;; [unrolled: 1-line block ×3, first 2 shown]
	s_delay_alu instid0(VALU_DEP_3) | instskip(NEXT) | instid1(VALU_DEP_1)
	v_mad_nc_u64_u32 v[8:9], 0x3c439041, v4, v[8:9]
	v_mov_b32_e32 v10, v9
	s_delay_alu instid0(VALU_DEP_1) | instskip(NEXT) | instid1(VALU_DEP_1)
	v_mad_nc_u64_u32 v[10:11], 0xdb629599, v4, v[10:11]
	v_mov_b32_e32 v12, v11
	s_delay_alu instid0(VALU_DEP_1) | instskip(NEXT) | instid1(VALU_DEP_1)
	;; [unrolled: 3-line block ×3, first 2 shown]
	v_mad_nc_u64_u32 v[14:15], 0xfc2757d1, v4, v[14:15]
	v_dual_mov_b32 v17, v5 :: v_dual_mov_b32 v16, v15
	s_delay_alu instid0(VALU_DEP_1) | instskip(NEXT) | instid1(VALU_DEP_1)
	v_mad_nc_u64_u32 v[16:17], 0x4e441529, v4, v[16:17]
	v_dual_mov_b32 v18, v17 :: v_dual_add_nc_u32 v3, 0xffffff88, v3
	s_delay_alu instid0(VALU_DEP_1) | instskip(NEXT) | instid1(VALU_DEP_2)
	v_cmp_lt_u32_e32 vcc_lo, 63, v3
	v_mad_nc_u64_u32 v[4:5], 0xa2f9836e, v4, v[18:19]
	v_cndmask_b32_e64 v7, 0, 0xffffffc0, vcc_lo
	v_dual_cndmask_b32 v9, v16, v12 :: v_dual_cndmask_b32 v6, v10, v6
	s_delay_alu instid0(VALU_DEP_2) | instskip(NEXT) | instid1(VALU_DEP_1)
	v_add_nc_u32_e32 v3, v7, v3
	v_cmp_lt_u32_e64 s0, 31, v3
	v_dual_cndmask_b32 v4, v4, v14 :: v_dual_cndmask_b32 v5, v5, v16
	s_delay_alu instid0(VALU_DEP_2) | instskip(NEXT) | instid1(VALU_DEP_1)
	v_cndmask_b32_e64 v7, 0, 0xffffffe0, s0
	v_add_nc_u32_e32 v3, v7, v3
	s_delay_alu instid0(VALU_DEP_1) | instskip(NEXT) | instid1(VALU_DEP_1)
	v_cmp_lt_u32_e64 s1, 31, v3
	v_cndmask_b32_e64 v7, 0, 0xffffffe0, s1
	s_delay_alu instid0(VALU_DEP_1) | instskip(SKIP_2) | instid1(VALU_DEP_3)
	v_dual_cndmask_b32 v11, v14, v10, vcc_lo :: v_dual_add_nc_u32 v3, v7, v3
	v_cndmask_b32_e32 v7, v12, v8, vcc_lo
	v_dual_cndmask_b32 v8, v4, v9, s0 :: v_dual_cndmask_b32 v4, v5, v4, s0
	v_cndmask_b32_e64 v5, v9, v11, s0
	s_delay_alu instid0(VALU_DEP_4) | instskip(NEXT) | instid1(VALU_DEP_4)
	v_sub_nc_u32_e32 v9, 32, v3
	v_cndmask_b32_e64 v11, v11, v7, s0
	v_cmp_eq_u32_e32 vcc_lo, 0, v3
	v_cndmask_b32_e64 v4, v4, v8, s1
	s_delay_alu instid0(VALU_DEP_3) | instskip(NEXT) | instid1(VALU_DEP_1)
	v_dual_cndmask_b32 v8, v8, v5, s1 :: v_dual_cndmask_b32 v5, v5, v11, s1
	v_alignbit_b32 v12, v4, v8, v9
	s_delay_alu instid0(VALU_DEP_2) | instskip(NEXT) | instid1(VALU_DEP_2)
	v_alignbit_b32 v10, v8, v5, v9
	v_dual_cndmask_b32 v3, v12, v4, vcc_lo :: v_dual_cndmask_b32 v4, v7, v6, s0
	s_delay_alu instid0(VALU_DEP_1) | instskip(NEXT) | instid1(VALU_DEP_1)
	v_bfe_u32 v7, v3, 29, 1
	v_dual_cndmask_b32 v6, v10, v8, vcc_lo :: v_dual_sub_nc_u32 v10, 0, v7
	s_delay_alu instid0(VALU_DEP_1) | instskip(NEXT) | instid1(VALU_DEP_1)
	v_alignbit_b32 v8, v3, v6, 30
	v_dual_cndmask_b32 v4, v11, v4, s1 :: v_dual_bitop2_b32 v8, v8, v10 bitop3:0x14
	s_delay_alu instid0(VALU_DEP_1) | instskip(NEXT) | instid1(VALU_DEP_1)
	v_alignbit_b32 v9, v5, v4, v9
	v_cndmask_b32_e32 v5, v9, v5, vcc_lo
	s_delay_alu instid0(VALU_DEP_3) | instskip(NEXT) | instid1(VALU_DEP_2)
	v_clz_i32_u32_e32 v9, v8
	v_alignbit_b32 v4, v5, v4, 30
	s_delay_alu instid0(VALU_DEP_2) | instskip(NEXT) | instid1(VALU_DEP_2)
	v_min_u32_e32 v9, 32, v9
	v_xor_b32_e32 v4, v4, v10
	v_alignbit_b32 v6, v6, v5, 30
	s_delay_alu instid0(VALU_DEP_1) | instskip(SKIP_1) | instid1(VALU_DEP_1)
	v_dual_lshlrev_b32 v11, 23, v9 :: v_dual_bitop2_b32 v5, v6, v10 bitop3:0x14
	v_dual_sub_nc_u32 v6, 31, v9 :: v_dual_lshrrev_b32 v10, 29, v3
	v_alignbit_b32 v8, v8, v5, v6
	v_alignbit_b32 v4, v5, v4, v6
	s_delay_alu instid0(VALU_DEP_3) | instskip(NEXT) | instid1(VALU_DEP_2)
	v_lshlrev_b32_e32 v5, 31, v10
	v_alignbit_b32 v6, v8, v4, 9
	s_delay_alu instid0(VALU_DEP_2) | instskip(NEXT) | instid1(VALU_DEP_2)
	v_dual_lshrrev_b32 v8, 9, v8 :: v_dual_bitop2_b32 v10, 0.5, v5 bitop3:0x54
	v_clz_i32_u32_e32 v12, v6
	s_delay_alu instid0(VALU_DEP_2) | instskip(SKIP_1) | instid1(VALU_DEP_3)
	v_sub_nc_u32_e32 v10, v10, v11
	v_or_b32_e32 v5, 0x33000000, v5
	v_min_u32_e32 v11, 32, v12
	s_delay_alu instid0(VALU_DEP_1) | instskip(NEXT) | instid1(VALU_DEP_4)
	v_add_lshl_u32 v9, v11, v9, 23
	v_or_b32_e32 v8, v8, v10
	v_not_b32_e32 v10, v11
	s_delay_alu instid0(VALU_DEP_2) | instskip(NEXT) | instid1(VALU_DEP_2)
	v_dual_mul_f32 v12, 0x3fc90fda, v8 :: v_dual_sub_nc_u32 v5, v5, v9
	v_alignbit_b32 v4, v6, v4, v10
	s_delay_alu instid0(VALU_DEP_2) | instskip(NEXT) | instid1(VALU_DEP_2)
	v_fma_f32 v6, 0x3fc90fda, v8, -v12
	v_lshrrev_b32_e32 v4, 9, v4
	s_delay_alu instid0(VALU_DEP_2) | instskip(NEXT) | instid1(VALU_DEP_2)
	v_fmamk_f32 v6, v8, 0x33a22168, v6
	v_or_b32_e32 v4, v5, v4
	s_delay_alu instid0(VALU_DEP_1) | instskip(NEXT) | instid1(VALU_DEP_1)
	v_fmac_f32_e32 v6, 0x3fc90fda, v4
	v_dual_add_f32 v3, v12, v6 :: v_dual_lshrrev_b32 v4, 30, v3
	s_delay_alu instid0(VALU_DEP_1)
	v_add_nc_u32_e32 v4, v7, v4
.LBB33_306:
	s_and_not1_saveexec_b32 s0, s6
; %bb.307:
	v_mul_f32_e64 v3, 0x3f22f983, |v0|
	s_delay_alu instid0(VALU_DEP_1) | instskip(NEXT) | instid1(VALU_DEP_1)
	v_rndne_f32_e32 v4, v3
	v_fma_f32 v3, 0xbfc90fda, v4, |v0|
	s_delay_alu instid0(VALU_DEP_1) | instskip(NEXT) | instid1(VALU_DEP_1)
	v_fmamk_f32 v3, v4, 0xb3a22168, v3
	v_fmamk_f32 v3, v4, 0xa7c234c4, v3
	v_cvt_i32_f32_e32 v4, v4
; %bb.308:
	s_or_b32 exec_lo, exec_lo, s0
	s_delay_alu instid0(VALU_DEP_1) | instskip(SKIP_3) | instid1(VALU_DEP_2)
	v_dual_mul_f32 v5, v3, v3 :: v_dual_bitop2_b32 v8, 1, v4 bitop3:0x40
	s_mov_b32 s0, 0xb94c1982
	s_mov_b32 s1, 0x37d75334
	v_lshlrev_b32_e32 v4, 30, v4
	v_fmaak_f32 v6, s0, v5, 0x3c0881c4
	v_cmp_eq_u32_e32 vcc_lo, 0, v8
	s_delay_alu instid0(VALU_DEP_3) | instskip(NEXT) | instid1(VALU_DEP_3)
	v_bitop3_b32 v1, v1, v4, 0x80000000 bitop3:0x78
	v_fmaak_f32 v6, v5, v6, 0xbe2aaa9d
	s_delay_alu instid0(VALU_DEP_1) | instskip(NEXT) | instid1(VALU_DEP_1)
	v_dual_fmaak_f32 v7, s1, v5, 0xbab64f3b :: v_dual_mul_f32 v6, v5, v6
	v_fmaak_f32 v7, v5, v7, 0x3d2aabf7
	s_delay_alu instid0(VALU_DEP_2) | instskip(NEXT) | instid1(VALU_DEP_2)
	v_fmac_f32_e32 v3, v3, v6
	v_fmaak_f32 v7, v5, v7, 0xbf000004
	s_delay_alu instid0(VALU_DEP_1) | instskip(NEXT) | instid1(VALU_DEP_1)
	v_fma_f32 v5, v5, v7, 1.0
	v_cndmask_b32_e32 v3, v5, v3, vcc_lo
	v_cmp_class_f32_e64 vcc_lo, v0, 0x1f8
	s_delay_alu instid0(VALU_DEP_2) | instskip(NEXT) | instid1(VALU_DEP_1)
	v_xor3_b32 v1, v1, v3, v0
	v_cndmask_b32_e32 v0, 0x7fc00000, v1, vcc_lo
	s_delay_alu instid0(VALU_DEP_1) | instskip(SKIP_1) | instid1(VALU_DEP_2)
	v_bfe_u32 v1, v0, 16, 1
	v_cmp_o_f32_e32 vcc_lo, v0, v0
	v_add3_u32 v1, v0, v1, 0x7fff
	s_delay_alu instid0(VALU_DEP_1) | instskip(NEXT) | instid1(VALU_DEP_1)
	v_lshrrev_b32_e32 v1, 16, v1
	v_cndmask_b32_e32 v0, 0x7fc0, v1, vcc_lo
	global_store_b16 v2, v0, s[4:5]
	s_wait_xcnt 0x0
	s_or_b32 exec_lo, exec_lo, s9
                                        ; implicit-def: $vgpr16
                                        ; implicit-def: $vgpr0
	s_and_not1_saveexec_b32 s0, s31
	s_cbranch_execz .LBB33_277
	s_branch .LBB33_8
	.section	.rodata,"a",@progbits
	.p2align	6, 0x0
	.amdhsa_kernel _ZN2at6native32elementwise_kernel_manual_unrollILi128ELi8EZNS0_22gpu_kernel_impl_nocastIZZZNS0_15sin_kernel_cudaERNS_18TensorIteratorBaseEENKUlvE0_clEvENKUlvE2_clEvEUlN3c108BFloat16EE_EEvS4_RKT_EUlibE_EEviT1_
		.amdhsa_group_segment_fixed_size 0
		.amdhsa_private_segment_fixed_size 0
		.amdhsa_kernarg_size 360
		.amdhsa_user_sgpr_count 2
		.amdhsa_user_sgpr_dispatch_ptr 0
		.amdhsa_user_sgpr_queue_ptr 0
		.amdhsa_user_sgpr_kernarg_segment_ptr 1
		.amdhsa_user_sgpr_dispatch_id 0
		.amdhsa_user_sgpr_kernarg_preload_length 0
		.amdhsa_user_sgpr_kernarg_preload_offset 0
		.amdhsa_user_sgpr_private_segment_size 0
		.amdhsa_wavefront_size32 1
		.amdhsa_uses_dynamic_stack 0
		.amdhsa_enable_private_segment 0
		.amdhsa_system_sgpr_workgroup_id_x 1
		.amdhsa_system_sgpr_workgroup_id_y 0
		.amdhsa_system_sgpr_workgroup_id_z 0
		.amdhsa_system_sgpr_workgroup_info 0
		.amdhsa_system_vgpr_workitem_id 0
		.amdhsa_next_free_vgpr 54
		.amdhsa_next_free_sgpr 60
		.amdhsa_named_barrier_count 0
		.amdhsa_reserve_vcc 1
		.amdhsa_float_round_mode_32 0
		.amdhsa_float_round_mode_16_64 0
		.amdhsa_float_denorm_mode_32 3
		.amdhsa_float_denorm_mode_16_64 3
		.amdhsa_fp16_overflow 0
		.amdhsa_memory_ordered 1
		.amdhsa_forward_progress 1
		.amdhsa_inst_pref_size 222
		.amdhsa_round_robin_scheduling 0
		.amdhsa_exception_fp_ieee_invalid_op 0
		.amdhsa_exception_fp_denorm_src 0
		.amdhsa_exception_fp_ieee_div_zero 0
		.amdhsa_exception_fp_ieee_overflow 0
		.amdhsa_exception_fp_ieee_underflow 0
		.amdhsa_exception_fp_ieee_inexact 0
		.amdhsa_exception_int_div_zero 0
	.end_amdhsa_kernel
	.section	.text._ZN2at6native32elementwise_kernel_manual_unrollILi128ELi8EZNS0_22gpu_kernel_impl_nocastIZZZNS0_15sin_kernel_cudaERNS_18TensorIteratorBaseEENKUlvE0_clEvENKUlvE2_clEvEUlN3c108BFloat16EE_EEvS4_RKT_EUlibE_EEviT1_,"axG",@progbits,_ZN2at6native32elementwise_kernel_manual_unrollILi128ELi8EZNS0_22gpu_kernel_impl_nocastIZZZNS0_15sin_kernel_cudaERNS_18TensorIteratorBaseEENKUlvE0_clEvENKUlvE2_clEvEUlN3c108BFloat16EE_EEvS4_RKT_EUlibE_EEviT1_,comdat
.Lfunc_end33:
	.size	_ZN2at6native32elementwise_kernel_manual_unrollILi128ELi8EZNS0_22gpu_kernel_impl_nocastIZZZNS0_15sin_kernel_cudaERNS_18TensorIteratorBaseEENKUlvE0_clEvENKUlvE2_clEvEUlN3c108BFloat16EE_EEvS4_RKT_EUlibE_EEviT1_, .Lfunc_end33-_ZN2at6native32elementwise_kernel_manual_unrollILi128ELi8EZNS0_22gpu_kernel_impl_nocastIZZZNS0_15sin_kernel_cudaERNS_18TensorIteratorBaseEENKUlvE0_clEvENKUlvE2_clEvEUlN3c108BFloat16EE_EEvS4_RKT_EUlibE_EEviT1_
                                        ; -- End function
	.set _ZN2at6native32elementwise_kernel_manual_unrollILi128ELi8EZNS0_22gpu_kernel_impl_nocastIZZZNS0_15sin_kernel_cudaERNS_18TensorIteratorBaseEENKUlvE0_clEvENKUlvE2_clEvEUlN3c108BFloat16EE_EEvS4_RKT_EUlibE_EEviT1_.num_vgpr, 54
	.set _ZN2at6native32elementwise_kernel_manual_unrollILi128ELi8EZNS0_22gpu_kernel_impl_nocastIZZZNS0_15sin_kernel_cudaERNS_18TensorIteratorBaseEENKUlvE0_clEvENKUlvE2_clEvEUlN3c108BFloat16EE_EEvS4_RKT_EUlibE_EEviT1_.num_agpr, 0
	.set _ZN2at6native32elementwise_kernel_manual_unrollILi128ELi8EZNS0_22gpu_kernel_impl_nocastIZZZNS0_15sin_kernel_cudaERNS_18TensorIteratorBaseEENKUlvE0_clEvENKUlvE2_clEvEUlN3c108BFloat16EE_EEvS4_RKT_EUlibE_EEviT1_.numbered_sgpr, 60
	.set _ZN2at6native32elementwise_kernel_manual_unrollILi128ELi8EZNS0_22gpu_kernel_impl_nocastIZZZNS0_15sin_kernel_cudaERNS_18TensorIteratorBaseEENKUlvE0_clEvENKUlvE2_clEvEUlN3c108BFloat16EE_EEvS4_RKT_EUlibE_EEviT1_.num_named_barrier, 0
	.set _ZN2at6native32elementwise_kernel_manual_unrollILi128ELi8EZNS0_22gpu_kernel_impl_nocastIZZZNS0_15sin_kernel_cudaERNS_18TensorIteratorBaseEENKUlvE0_clEvENKUlvE2_clEvEUlN3c108BFloat16EE_EEvS4_RKT_EUlibE_EEviT1_.private_seg_size, 0
	.set _ZN2at6native32elementwise_kernel_manual_unrollILi128ELi8EZNS0_22gpu_kernel_impl_nocastIZZZNS0_15sin_kernel_cudaERNS_18TensorIteratorBaseEENKUlvE0_clEvENKUlvE2_clEvEUlN3c108BFloat16EE_EEvS4_RKT_EUlibE_EEviT1_.uses_vcc, 1
	.set _ZN2at6native32elementwise_kernel_manual_unrollILi128ELi8EZNS0_22gpu_kernel_impl_nocastIZZZNS0_15sin_kernel_cudaERNS_18TensorIteratorBaseEENKUlvE0_clEvENKUlvE2_clEvEUlN3c108BFloat16EE_EEvS4_RKT_EUlibE_EEviT1_.uses_flat_scratch, 0
	.set _ZN2at6native32elementwise_kernel_manual_unrollILi128ELi8EZNS0_22gpu_kernel_impl_nocastIZZZNS0_15sin_kernel_cudaERNS_18TensorIteratorBaseEENKUlvE0_clEvENKUlvE2_clEvEUlN3c108BFloat16EE_EEvS4_RKT_EUlibE_EEviT1_.has_dyn_sized_stack, 0
	.set _ZN2at6native32elementwise_kernel_manual_unrollILi128ELi8EZNS0_22gpu_kernel_impl_nocastIZZZNS0_15sin_kernel_cudaERNS_18TensorIteratorBaseEENKUlvE0_clEvENKUlvE2_clEvEUlN3c108BFloat16EE_EEvS4_RKT_EUlibE_EEviT1_.has_recursion, 0
	.set _ZN2at6native32elementwise_kernel_manual_unrollILi128ELi8EZNS0_22gpu_kernel_impl_nocastIZZZNS0_15sin_kernel_cudaERNS_18TensorIteratorBaseEENKUlvE0_clEvENKUlvE2_clEvEUlN3c108BFloat16EE_EEvS4_RKT_EUlibE_EEviT1_.has_indirect_call, 0
	.section	.AMDGPU.csdata,"",@progbits
; Kernel info:
; codeLenInByte = 28404
; TotalNumSgprs: 62
; NumVgprs: 54
; ScratchSize: 0
; MemoryBound: 0
; FloatMode: 240
; IeeeMode: 1
; LDSByteSize: 0 bytes/workgroup (compile time only)
; SGPRBlocks: 0
; VGPRBlocks: 3
; NumSGPRsForWavesPerEU: 62
; NumVGPRsForWavesPerEU: 54
; NamedBarCnt: 0
; Occupancy: 16
; WaveLimiterHint : 1
; COMPUTE_PGM_RSRC2:SCRATCH_EN: 0
; COMPUTE_PGM_RSRC2:USER_SGPR: 2
; COMPUTE_PGM_RSRC2:TRAP_HANDLER: 0
; COMPUTE_PGM_RSRC2:TGID_X_EN: 1
; COMPUTE_PGM_RSRC2:TGID_Y_EN: 0
; COMPUTE_PGM_RSRC2:TGID_Z_EN: 0
; COMPUTE_PGM_RSRC2:TIDIG_COMP_CNT: 0
	.section	.text._ZN2at6native32elementwise_kernel_manual_unrollILi128ELi4EZNS0_15gpu_kernel_implIZZZNS0_15sin_kernel_cudaERNS_18TensorIteratorBaseEENKUlvE0_clEvENKUlvE2_clEvEUlN3c108BFloat16EE_EEvS4_RKT_EUlibE_EEviT1_,"axG",@progbits,_ZN2at6native32elementwise_kernel_manual_unrollILi128ELi4EZNS0_15gpu_kernel_implIZZZNS0_15sin_kernel_cudaERNS_18TensorIteratorBaseEENKUlvE0_clEvENKUlvE2_clEvEUlN3c108BFloat16EE_EEvS4_RKT_EUlibE_EEviT1_,comdat
	.globl	_ZN2at6native32elementwise_kernel_manual_unrollILi128ELi4EZNS0_15gpu_kernel_implIZZZNS0_15sin_kernel_cudaERNS_18TensorIteratorBaseEENKUlvE0_clEvENKUlvE2_clEvEUlN3c108BFloat16EE_EEvS4_RKT_EUlibE_EEviT1_ ; -- Begin function _ZN2at6native32elementwise_kernel_manual_unrollILi128ELi4EZNS0_15gpu_kernel_implIZZZNS0_15sin_kernel_cudaERNS_18TensorIteratorBaseEENKUlvE0_clEvENKUlvE2_clEvEUlN3c108BFloat16EE_EEvS4_RKT_EUlibE_EEviT1_
	.p2align	8
	.type	_ZN2at6native32elementwise_kernel_manual_unrollILi128ELi4EZNS0_15gpu_kernel_implIZZZNS0_15sin_kernel_cudaERNS_18TensorIteratorBaseEENKUlvE0_clEvENKUlvE2_clEvEUlN3c108BFloat16EE_EEvS4_RKT_EUlibE_EEviT1_,@function
_ZN2at6native32elementwise_kernel_manual_unrollILi128ELi4EZNS0_15gpu_kernel_implIZZZNS0_15sin_kernel_cudaERNS_18TensorIteratorBaseEENKUlvE0_clEvENKUlvE2_clEvEUlN3c108BFloat16EE_EEvS4_RKT_EUlibE_EEviT1_: ; @_ZN2at6native32elementwise_kernel_manual_unrollILi128ELi4EZNS0_15gpu_kernel_implIZZZNS0_15sin_kernel_cudaERNS_18TensorIteratorBaseEENKUlvE0_clEvENKUlvE2_clEvEUlN3c108BFloat16EE_EEvS4_RKT_EUlibE_EEviT1_
; %bb.0:
	v_mov_b32_e32 v1, 0
	s_bfe_u32 s10, ttmp6, 0x4000c
	s_clause 0x1
	s_load_b32 s13, s[0:1], 0x0
	s_load_b128 s[4:7], s[0:1], 0x8
	s_add_co_i32 s10, s10, 1
	s_and_b32 s9, ttmp6, 15
	global_load_u16 v1, v1, s[0:1] offset:33
	s_load_b64 s[2:3], s[0:1], 0x18
	s_wait_xcnt 0x0
	s_mul_i32 s1, ttmp9, s10
	s_getreg_b32 s11, hwreg(HW_REG_IB_STS2, 6, 4)
	s_add_co_i32 s9, s9, s1
	s_mov_b32 s12, 0
	s_wait_loadcnt 0x0
	v_readfirstlane_b32 s8, v1
	s_and_b32 s0, 0xffff, s8
	s_delay_alu instid0(SALU_CYCLE_1)
	s_lshr_b32 s10, s0, 8
	s_cmp_eq_u32 s11, 0
	s_cselect_b32 s0, ttmp9, s9
	s_mov_b32 s9, 0
	v_lshl_or_b32 v4, s0, 9, v0
	s_mov_b32 s0, exec_lo
	s_delay_alu instid0(VALU_DEP_1) | instskip(SKIP_1) | instid1(VALU_DEP_1)
	v_or_b32_e32 v0, 0x180, v4
	s_wait_kmcnt 0x0
	v_cmpx_le_i32_e64 s13, v0
	s_xor_b32 s11, exec_lo, s0
	s_cbranch_execz .LBB34_1044
; %bb.1:
	s_mov_b32 s1, -1
	s_mov_b32 s16, 0
	s_mov_b32 s14, 0
	s_mov_b32 s15, exec_lo
	v_cmpx_gt_i32_e64 s13, v4
	s_cbranch_execz .LBB34_256
; %bb.2:
	v_mul_lo_u32 v0, v4, s3
	s_and_b32 s0, 0xffff, s10
	s_delay_alu instid0(SALU_CYCLE_1) | instskip(NEXT) | instid1(VALU_DEP_1)
	s_cmp_lt_i32 s0, 11
	v_ashrrev_i32_e32 v1, 31, v0
	s_delay_alu instid0(VALU_DEP_1)
	v_add_nc_u64_e32 v[0:1], s[6:7], v[0:1]
	s_cbranch_scc1 .LBB34_9
; %bb.3:
	s_cmp_gt_i32 s0, 25
	s_cbranch_scc0 .LBB34_61
; %bb.4:
	s_cmp_gt_i32 s0, 28
	s_cbranch_scc0 .LBB34_62
	;; [unrolled: 3-line block ×4, first 2 shown]
; %bb.7:
	s_cmp_eq_u32 s0, 46
	s_cbranch_scc0 .LBB34_68
; %bb.8:
	global_load_b32 v2, v[0:1], off
	s_branch .LBB34_70
.LBB34_9:
	s_mov_b32 s1, 0
                                        ; implicit-def: $vgpr2
	s_cbranch_execnz .LBB34_206
.LBB34_10:
	s_and_not1_b32 vcc_lo, exec_lo, s1
	s_cbranch_vccnz .LBB34_253
.LBB34_11:
	s_wait_loadcnt 0x0
	s_delay_alu instid0(VALU_DEP_1) | instskip(SKIP_1) | instid1(VALU_DEP_1)
	v_lshlrev_b32_e32 v0, 16, v2
                                        ; implicit-def: $vgpr3
                                        ; implicit-def: $vgpr2
	s_mov_b32 s1, exec_lo
	v_and_b32_e32 v1, 0x7fffffff, v0
	v_cmpx_ngt_f32_e64 0x48000000, |v0|
	s_xor_b32 s12, exec_lo, s1
	s_cbranch_execz .LBB34_13
; %bb.12:
	s_mov_b32 s0, 0x7fffff
	v_mov_b32_e32 v3, 0
	v_and_or_b32 v2, v1, s0, 0x800000
	s_mov_b64 s[0:1], 0xfe5163ab
	v_lshrrev_b32_e32 v5, 23, v1
	s_delay_alu instid0(VALU_DEP_2) | instskip(NEXT) | instid1(VALU_DEP_1)
	v_mul_u64_e32 v[6:7], s[0:1], v[2:3]
	v_dual_mov_b32 v8, v7 :: v_dual_mov_b32 v9, v3
	v_dual_mov_b32 v11, v3 :: v_dual_mov_b32 v13, v3
	v_mov_b32_e32 v15, v3
	s_delay_alu instid0(VALU_DEP_3) | instskip(NEXT) | instid1(VALU_DEP_1)
	v_mad_nc_u64_u32 v[8:9], 0x3c439041, v2, v[8:9]
	v_mov_b32_e32 v10, v9
	s_delay_alu instid0(VALU_DEP_1) | instskip(NEXT) | instid1(VALU_DEP_1)
	v_mad_nc_u64_u32 v[10:11], 0xdb629599, v2, v[10:11]
	v_mov_b32_e32 v12, v11
	s_delay_alu instid0(VALU_DEP_1) | instskip(NEXT) | instid1(VALU_DEP_1)
	;; [unrolled: 3-line block ×3, first 2 shown]
	v_mad_nc_u64_u32 v[14:15], 0xfc2757d1, v2, v[14:15]
	v_dual_mov_b32 v17, v3 :: v_dual_mov_b32 v16, v15
	s_delay_alu instid0(VALU_DEP_1) | instskip(NEXT) | instid1(VALU_DEP_1)
	v_mad_nc_u64_u32 v[16:17], 0x4e441529, v2, v[16:17]
	v_dual_mov_b32 v18, v17 :: v_dual_add_nc_u32 v5, 0xffffff88, v5
	s_delay_alu instid0(VALU_DEP_1) | instskip(SKIP_2) | instid1(VALU_DEP_2)
	v_cmp_lt_u32_e32 vcc_lo, 63, v5
	v_mov_b32_e32 v19, v3
	v_cndmask_b32_e64 v7, 0, 0xffffffc0, vcc_lo
	v_mad_nc_u64_u32 v[2:3], 0xa2f9836e, v2, v[18:19]
	v_dual_cndmask_b32 v9, v16, v12, vcc_lo :: v_dual_cndmask_b32 v11, v14, v10, vcc_lo
	s_delay_alu instid0(VALU_DEP_3) | instskip(NEXT) | instid1(VALU_DEP_1)
	v_dual_cndmask_b32 v6, v10, v6 :: v_dual_add_nc_u32 v5, v7, v5
	v_cmp_lt_u32_e64 s0, 31, v5
	s_delay_alu instid0(VALU_DEP_4) | instskip(NEXT) | instid1(VALU_DEP_2)
	v_dual_cndmask_b32 v2, v2, v14 :: v_dual_cndmask_b32 v3, v3, v16
	v_cndmask_b32_e64 v7, 0, 0xffffffe0, s0
	s_delay_alu instid0(VALU_DEP_1) | instskip(NEXT) | instid1(VALU_DEP_1)
	v_add_nc_u32_e32 v5, v7, v5
	v_cmp_lt_u32_e64 s1, 31, v5
	s_delay_alu instid0(VALU_DEP_1) | instskip(NEXT) | instid1(VALU_DEP_1)
	v_cndmask_b32_e64 v7, 0, 0xffffffe0, s1
	v_dual_add_nc_u32 v5, v7, v5 :: v_dual_cndmask_b32 v7, v12, v8, vcc_lo
	v_dual_cndmask_b32 v8, v2, v9, s0 :: v_dual_cndmask_b32 v2, v3, v2, s0
	s_delay_alu instid0(VALU_DEP_2) | instskip(NEXT) | instid1(VALU_DEP_3)
	v_dual_cndmask_b32 v3, v9, v11, s0 :: v_dual_sub_nc_u32 v9, 32, v5
	v_cndmask_b32_e64 v11, v11, v7, s0
	v_cmp_eq_u32_e32 vcc_lo, 0, v5
	s_delay_alu instid0(VALU_DEP_3) | instskip(SKIP_1) | instid1(VALU_DEP_4)
	v_dual_cndmask_b32 v2, v2, v8, s1 :: v_dual_cndmask_b32 v8, v8, v3, s1
	v_cndmask_b32_e64 v5, v7, v6, s0
	v_cndmask_b32_e64 v3, v3, v11, s1
	s_delay_alu instid0(VALU_DEP_3) | instskip(NEXT) | instid1(VALU_DEP_2)
	v_alignbit_b32 v12, v2, v8, v9
	v_alignbit_b32 v10, v8, v3, v9
	s_delay_alu instid0(VALU_DEP_1) | instskip(NEXT) | instid1(VALU_DEP_1)
	v_dual_cndmask_b32 v2, v12, v2, vcc_lo :: v_dual_cndmask_b32 v6, v10, v8, vcc_lo
	v_bfe_u32 v7, v2, 29, 1
	s_delay_alu instid0(VALU_DEP_2) | instskip(NEXT) | instid1(VALU_DEP_2)
	v_alignbit_b32 v8, v2, v6, 30
	v_dual_sub_nc_u32 v10, 0, v7 :: v_dual_cndmask_b32 v5, v11, v5, s1
	s_delay_alu instid0(VALU_DEP_1) | instskip(NEXT) | instid1(VALU_DEP_2)
	v_xor_b32_e32 v8, v8, v10
	v_alignbit_b32 v9, v3, v5, v9
	s_delay_alu instid0(VALU_DEP_1) | instskip(NEXT) | instid1(VALU_DEP_3)
	v_cndmask_b32_e32 v3, v9, v3, vcc_lo
	v_clz_i32_u32_e32 v9, v8
	s_delay_alu instid0(VALU_DEP_2) | instskip(NEXT) | instid1(VALU_DEP_2)
	v_alignbit_b32 v6, v6, v3, 30
	v_min_u32_e32 v9, 32, v9
	v_alignbit_b32 v3, v3, v5, 30
	s_delay_alu instid0(VALU_DEP_2) | instskip(NEXT) | instid1(VALU_DEP_2)
	v_dual_sub_nc_u32 v6, 31, v9 :: v_dual_bitop2_b32 v5, v6, v10 bitop3:0x14
	v_xor_b32_e32 v3, v3, v10
	v_dual_lshrrev_b32 v10, 29, v2 :: v_dual_lshlrev_b32 v11, 23, v9
	s_delay_alu instid0(VALU_DEP_3) | instskip(NEXT) | instid1(VALU_DEP_3)
	v_alignbit_b32 v8, v8, v5, v6
	v_alignbit_b32 v3, v5, v3, v6
	s_delay_alu instid0(VALU_DEP_3) | instskip(NEXT) | instid1(VALU_DEP_2)
	v_lshlrev_b32_e32 v5, 31, v10
	v_alignbit_b32 v6, v8, v3, 9
	s_delay_alu instid0(VALU_DEP_2) | instskip(NEXT) | instid1(VALU_DEP_2)
	v_dual_lshrrev_b32 v8, 9, v8 :: v_dual_bitop2_b32 v10, 0.5, v5 bitop3:0x54
	v_clz_i32_u32_e32 v12, v6
	s_delay_alu instid0(VALU_DEP_2) | instskip(SKIP_1) | instid1(VALU_DEP_3)
	v_sub_nc_u32_e32 v10, v10, v11
	v_or_b32_e32 v5, 0x33000000, v5
	v_min_u32_e32 v11, 32, v12
	s_delay_alu instid0(VALU_DEP_1) | instskip(NEXT) | instid1(VALU_DEP_4)
	v_add_lshl_u32 v9, v11, v9, 23
	v_or_b32_e32 v8, v8, v10
	v_not_b32_e32 v10, v11
	s_delay_alu instid0(VALU_DEP_3) | instskip(NEXT) | instid1(VALU_DEP_2)
	v_sub_nc_u32_e32 v5, v5, v9
	v_alignbit_b32 v3, v6, v3, v10
	s_delay_alu instid0(VALU_DEP_1) | instskip(NEXT) | instid1(VALU_DEP_1)
	v_dual_mul_f32 v12, 0x3fc90fda, v8 :: v_dual_lshrrev_b32 v3, 9, v3
	v_fma_f32 v6, 0x3fc90fda, v8, -v12
	s_delay_alu instid0(VALU_DEP_2) | instskip(NEXT) | instid1(VALU_DEP_2)
	v_or_b32_e32 v3, v5, v3
	v_fmamk_f32 v6, v8, 0x33a22168, v6
	s_delay_alu instid0(VALU_DEP_1) | instskip(NEXT) | instid1(VALU_DEP_1)
	v_dual_fmac_f32 v6, 0x3fc90fda, v3 :: v_dual_lshrrev_b32 v3, 30, v2
	v_dual_add_f32 v2, v12, v6 :: v_dual_add_nc_u32 v3, v7, v3
.LBB34_13:
	s_and_not1_saveexec_b32 s0, s12
; %bb.14:
	v_mul_f32_e64 v2, 0x3f22f983, |v0|
	s_delay_alu instid0(VALU_DEP_1) | instskip(NEXT) | instid1(VALU_DEP_1)
	v_rndne_f32_e32 v3, v2
	v_fma_f32 v2, 0xbfc90fda, v3, |v0|
	s_delay_alu instid0(VALU_DEP_1) | instskip(NEXT) | instid1(VALU_DEP_1)
	v_fmamk_f32 v2, v3, 0xb3a22168, v2
	v_fmamk_f32 v2, v3, 0xa7c234c4, v2
	v_cvt_i32_f32_e32 v3, v3
; %bb.15:
	s_or_b32 exec_lo, exec_lo, s0
	s_delay_alu instid0(VALU_DEP_1) | instskip(SKIP_3) | instid1(VALU_DEP_1)
	v_dual_mul_f32 v5, v2, v2 :: v_dual_bitop2_b32 v8, 1, v3 bitop3:0x40
	s_mov_b32 s0, 0xb94c1982
	s_mov_b32 s1, 0x37d75334
	s_mov_b32 s12, -1
	v_dual_fmaak_f32 v6, s0, v5, 0x3c0881c4 :: v_dual_lshlrev_b32 v3, 30, v3
	v_cmp_eq_u32_e32 vcc_lo, 0, v8
	s_mov_b32 s0, 0
	s_mov_b32 s17, 0
	s_delay_alu instid0(VALU_DEP_2) | instskip(SKIP_3) | instid1(SALU_CYCLE_1)
	v_fmaak_f32 v6, v5, v6, 0xbe2aaa9d
	v_fmaak_f32 v7, s1, v5, 0xbab64f3b
	v_bitop3_b32 v1, v1, v3, 0x80000000 bitop3:0x78
	s_and_b32 s1, s8, 0xff
	s_cmp_lt_i32 s1, 11
	s_delay_alu instid0(VALU_DEP_2) | instskip(NEXT) | instid1(VALU_DEP_1)
	v_dual_mul_f32 v6, v5, v6 :: v_dual_fmaak_f32 v7, v5, v7, 0x3d2aabf7
	v_dual_fmac_f32 v2, v2, v6 :: v_dual_fmaak_f32 v7, v5, v7, 0xbf000004
	s_delay_alu instid0(VALU_DEP_1) | instskip(NEXT) | instid1(VALU_DEP_1)
	v_fma_f32 v5, v5, v7, 1.0
	v_cndmask_b32_e32 v2, v5, v2, vcc_lo
	v_cmp_class_f32_e64 vcc_lo, v0, 0x1f8
	s_delay_alu instid0(VALU_DEP_2) | instskip(SKIP_1) | instid1(VALU_DEP_2)
	v_xor3_b32 v1, v1, v2, v0
	v_mul_lo_u32 v0, v4, s2
	v_cndmask_b32_e32 v2, 0x7fc00000, v1, vcc_lo
	s_delay_alu instid0(VALU_DEP_1) | instskip(NEXT) | instid1(VALU_DEP_1)
	v_bfe_u32 v1, v2, 16, 1
	v_add3_u32 v3, v2, v1, 0x7fff
	s_delay_alu instid0(VALU_DEP_1) | instskip(SKIP_1) | instid1(VALU_DEP_2)
	v_dual_ashrrev_i32 v1, 31, v0 :: v_dual_lshrrev_b32 v3, 16, v3
	v_cmp_o_f32_e32 vcc_lo, v2, v2
	v_add_nc_u64_e32 v[0:1], s[4:5], v[0:1]
	s_delay_alu instid0(VALU_DEP_3)
	v_cndmask_b32_e32 v2, 0x7fc0, v3, vcc_lo
	s_cbranch_scc1 .LBB34_22
; %bb.16:
	s_and_b32 s12, 0xffff, s1
	s_delay_alu instid0(SALU_CYCLE_1)
	s_cmp_gt_i32 s12, 25
	s_cbranch_scc0 .LBB34_63
; %bb.17:
	s_cmp_gt_i32 s12, 28
	s_cbranch_scc0 .LBB34_65
; %bb.18:
	;; [unrolled: 3-line block ×4, first 2 shown]
	s_mov_b32 s18, 0
	s_mov_b32 s0, -1
	s_cmp_eq_u32 s12, 46
	s_cbranch_scc0 .LBB34_74
; %bb.21:
	v_and_b32_e32 v3, 0xffff, v2
	s_mov_b32 s17, -1
	s_mov_b32 s0, 0
	global_store_b32 v[0:1], v3, off
	s_branch .LBB34_74
.LBB34_22:
	s_and_b32 vcc_lo, exec_lo, s12
	s_cbranch_vccz .LBB34_143
; %bb.23:
	s_and_b32 s1, 0xffff, s1
	s_mov_b32 s12, -1
	s_cmp_lt_i32 s1, 5
	s_cbranch_scc1 .LBB34_44
; %bb.24:
	s_cmp_lt_i32 s1, 8
	s_cbranch_scc1 .LBB34_34
; %bb.25:
	;; [unrolled: 3-line block ×3, first 2 shown]
	s_cmp_gt_i32 s1, 9
	s_cbranch_scc0 .LBB34_28
; %bb.27:
	s_wait_xcnt 0x0
	v_dual_mov_b32 v8, 0 :: v_dual_lshlrev_b32 v3, 16, v2
	s_mov_b32 s12, 0
	s_delay_alu instid0(VALU_DEP_1) | instskip(NEXT) | instid1(VALU_DEP_2)
	v_cvt_f64_f32_e32 v[6:7], v3
	v_mov_b32_e32 v9, v8
	global_store_b128 v[0:1], v[6:9], off
.LBB34_28:
	s_and_not1_b32 vcc_lo, exec_lo, s12
	s_cbranch_vccnz .LBB34_30
; %bb.29:
	s_wait_xcnt 0x0
	v_dual_mov_b32 v7, 0 :: v_dual_lshlrev_b32 v6, 16, v2
	global_store_b64 v[0:1], v[6:7], off
.LBB34_30:
	s_mov_b32 s12, 0
.LBB34_31:
	s_delay_alu instid0(SALU_CYCLE_1)
	s_and_not1_b32 vcc_lo, exec_lo, s12
	s_cbranch_vccnz .LBB34_33
; %bb.32:
	s_wait_xcnt 0x0
	v_lshlrev_b32_e32 v3, 16, v2
	s_delay_alu instid0(VALU_DEP_1) | instskip(NEXT) | instid1(VALU_DEP_1)
	v_cvt_f16_f32_e32 v3, v3
	v_and_b32_e32 v3, 0xffff, v3
	global_store_b32 v[0:1], v3, off
.LBB34_33:
	s_mov_b32 s12, 0
.LBB34_34:
	s_delay_alu instid0(SALU_CYCLE_1)
	s_and_not1_b32 vcc_lo, exec_lo, s12
	s_cbranch_vccnz .LBB34_43
; %bb.35:
	s_cmp_lt_i32 s1, 6
	s_mov_b32 s12, -1
	s_cbranch_scc1 .LBB34_41
; %bb.36:
	s_cmp_gt_i32 s1, 6
	s_cbranch_scc0 .LBB34_38
; %bb.37:
	s_wait_xcnt 0x0
	v_lshlrev_b32_e32 v3, 16, v2
	s_mov_b32 s12, 0
	s_delay_alu instid0(VALU_DEP_1)
	v_cvt_f64_f32_e32 v[6:7], v3
	global_store_b64 v[0:1], v[6:7], off
.LBB34_38:
	s_and_not1_b32 vcc_lo, exec_lo, s12
	s_cbranch_vccnz .LBB34_40
; %bb.39:
	s_wait_xcnt 0x0
	v_lshlrev_b32_e32 v3, 16, v2
	global_store_b32 v[0:1], v3, off
.LBB34_40:
	s_mov_b32 s12, 0
.LBB34_41:
	s_delay_alu instid0(SALU_CYCLE_1)
	s_and_not1_b32 vcc_lo, exec_lo, s12
	s_cbranch_vccnz .LBB34_43
; %bb.42:
	s_wait_xcnt 0x0
	v_lshlrev_b32_e32 v3, 16, v2
	s_delay_alu instid0(VALU_DEP_1)
	v_cvt_f16_f32_e32 v3, v3
	global_store_b16 v[0:1], v3, off
.LBB34_43:
	s_mov_b32 s12, 0
.LBB34_44:
	s_delay_alu instid0(SALU_CYCLE_1)
	s_and_not1_b32 vcc_lo, exec_lo, s12
	s_cbranch_vccnz .LBB34_60
; %bb.45:
	s_cmp_lt_i32 s1, 2
	s_mov_b32 s12, -1
	s_cbranch_scc1 .LBB34_55
; %bb.46:
	s_cmp_lt_i32 s1, 3
	s_cbranch_scc1 .LBB34_52
; %bb.47:
	s_cmp_gt_i32 s1, 3
	s_cbranch_scc0 .LBB34_49
; %bb.48:
	s_wait_xcnt 0x0
	v_lshlrev_b32_e32 v3, 16, v2
	s_mov_b32 s12, 0
	s_delay_alu instid0(VALU_DEP_1) | instskip(NEXT) | instid1(VALU_DEP_1)
	v_trunc_f32_e32 v3, v3
	v_mul_f32_e64 v5, 0x2f800000, |v3|
	v_ashrrev_i32_e32 v6, 31, v3
	s_delay_alu instid0(VALU_DEP_2) | instskip(NEXT) | instid1(VALU_DEP_1)
	v_floor_f32_e32 v5, v5
	v_fma_f32 v7, 0xcf800000, v5, |v3|
	v_cvt_u32_f32_e32 v3, v5
	s_delay_alu instid0(VALU_DEP_2) | instskip(NEXT) | instid1(VALU_DEP_2)
	v_cvt_u32_f32_e32 v5, v7
	v_dual_mov_b32 v7, v6 :: v_dual_bitop2_b32 v9, v3, v6 bitop3:0x14
	s_delay_alu instid0(VALU_DEP_2) | instskip(NEXT) | instid1(VALU_DEP_1)
	v_xor_b32_e32 v8, v5, v6
	v_sub_nc_u64_e32 v[6:7], v[8:9], v[6:7]
	global_store_b64 v[0:1], v[6:7], off
.LBB34_49:
	s_and_not1_b32 vcc_lo, exec_lo, s12
	s_cbranch_vccnz .LBB34_51
; %bb.50:
	s_wait_xcnt 0x0
	v_lshlrev_b32_e32 v3, 16, v2
	s_delay_alu instid0(VALU_DEP_1)
	v_cvt_i32_f32_e32 v3, v3
	global_store_b32 v[0:1], v3, off
.LBB34_51:
	s_mov_b32 s12, 0
.LBB34_52:
	s_delay_alu instid0(SALU_CYCLE_1)
	s_and_not1_b32 vcc_lo, exec_lo, s12
	s_cbranch_vccnz .LBB34_54
; %bb.53:
	s_wait_xcnt 0x0
	v_lshlrev_b32_e32 v3, 16, v2
	s_delay_alu instid0(VALU_DEP_1)
	v_cvt_i32_f32_e32 v3, v3
	global_store_b16 v[0:1], v3, off
.LBB34_54:
	s_mov_b32 s12, 0
.LBB34_55:
	s_delay_alu instid0(SALU_CYCLE_1)
	s_and_not1_b32 vcc_lo, exec_lo, s12
	s_cbranch_vccnz .LBB34_60
; %bb.56:
	s_wait_xcnt 0x0
	v_lshlrev_b32_e32 v2, 16, v2
	s_cmp_gt_i32 s1, 0
	s_mov_b32 s1, -1
	s_cbranch_scc0 .LBB34_58
; %bb.57:
	s_delay_alu instid0(VALU_DEP_1)
	v_cvt_i32_f32_e32 v3, v2
	s_mov_b32 s1, 0
	global_store_b8 v[0:1], v3, off
.LBB34_58:
	s_and_not1_b32 vcc_lo, exec_lo, s1
	s_cbranch_vccnz .LBB34_60
; %bb.59:
	v_trunc_f32_e32 v2, v2
	s_wait_xcnt 0x0
	s_delay_alu instid0(VALU_DEP_1) | instskip(NEXT) | instid1(VALU_DEP_1)
	v_mul_f32_e64 v3, 0x2f800000, |v2|
	v_floor_f32_e32 v3, v3
	s_delay_alu instid0(VALU_DEP_1) | instskip(SKIP_1) | instid1(VALU_DEP_2)
	v_fma_f32 v3, 0xcf800000, v3, |v2|
	v_ashrrev_i32_e32 v2, 31, v2
	v_cvt_u32_f32_e32 v3, v3
	s_delay_alu instid0(VALU_DEP_1) | instskip(NEXT) | instid1(VALU_DEP_1)
	v_xor_b32_e32 v3, v3, v2
	v_sub_nc_u32_e32 v2, v3, v2
	global_store_b8 v[0:1], v2, off
.LBB34_60:
	s_branch .LBB34_144
.LBB34_61:
	s_mov_b32 s1, 0
                                        ; implicit-def: $vgpr2
	s_cbranch_execnz .LBB34_171
	s_branch .LBB34_205
.LBB34_62:
	s_mov_b32 s12, -1
	s_mov_b32 s1, 0
                                        ; implicit-def: $vgpr2
	s_branch .LBB34_152
.LBB34_63:
	s_mov_b32 s18, -1
	s_branch .LBB34_101
.LBB34_64:
	s_mov_b32 s12, -1
	s_mov_b32 s1, 0
                                        ; implicit-def: $vgpr2
	s_branch .LBB34_147
.LBB34_65:
	s_mov_b32 s18, -1
	s_branch .LBB34_84
.LBB34_66:
	s_mov_b32 s12, -1
	s_branch .LBB34_69
.LBB34_67:
	s_mov_b32 s18, -1
	s_branch .LBB34_80
.LBB34_68:
	s_mov_b32 s14, -1
.LBB34_69:
	s_mov_b32 s1, 0
                                        ; implicit-def: $vgpr2
.LBB34_70:
	s_and_b32 vcc_lo, exec_lo, s12
	s_cbranch_vccz .LBB34_146
; %bb.71:
	s_cmp_eq_u32 s0, 44
	s_cbranch_scc0 .LBB34_145
; %bb.72:
	s_wait_loadcnt 0x0
	global_load_u8 v2, v[0:1], off
	s_mov_b32 s14, 0
	s_mov_b32 s1, -1
	s_wait_loadcnt 0x0
	v_lshlrev_b32_e32 v3, 23, v2
	v_cmp_ne_u32_e32 vcc_lo, 0xff, v2
	s_delay_alu instid0(VALU_DEP_2) | instskip(SKIP_1) | instid1(VALU_DEP_2)
	v_cndmask_b32_e32 v3, 0x7f800001, v3, vcc_lo
	v_cmp_ne_u32_e32 vcc_lo, 0, v2
	v_cndmask_b32_e32 v2, 0x400000, v3, vcc_lo
	s_delay_alu instid0(VALU_DEP_1) | instskip(NEXT) | instid1(VALU_DEP_1)
	v_add_nc_u32_e32 v3, 0x7fff, v2
	v_lshrrev_b32_e32 v3, 16, v3
	v_cmp_o_f32_e32 vcc_lo, v2, v2
	s_delay_alu instid0(VALU_DEP_2)
	v_cndmask_b32_e32 v2, 0x7fc0, v3, vcc_lo
	s_branch .LBB34_146
.LBB34_73:
	s_mov_b32 s18, -1
.LBB34_74:
	s_delay_alu instid0(SALU_CYCLE_1)
	s_and_b32 vcc_lo, exec_lo, s18
	s_cbranch_vccz .LBB34_79
; %bb.75:
	s_cmp_eq_u32 s12, 44
	s_mov_b32 s0, -1
	s_cbranch_scc0 .LBB34_79
; %bb.76:
	s_wait_xcnt 0x0
	v_and_b32_e32 v3, 0xffff, v2
	v_mov_b32_e32 v5, 0xff
	s_mov_b32 s17, exec_lo
	s_delay_alu instid0(VALU_DEP_2) | instskip(NEXT) | instid1(VALU_DEP_1)
	v_bfe_u32 v6, v3, 7, 8
	v_cmpx_ne_u32_e32 0xff, v6
	s_cbranch_execz .LBB34_78
; %bb.77:
	v_dual_lshlrev_b32 v5, 16, v3 :: v_dual_bitop2_b32 v7, 64, v3 bitop3:0x40
	v_lshrrev_b32_e32 v3, 7, v3
	s_delay_alu instid0(VALU_DEP_2) | instskip(NEXT) | instid1(VALU_DEP_3)
	v_and_or_b32 v5, 0x3f0000, v5, v6
	v_cmp_ne_u32_e32 vcc_lo, 0, v7
	s_delay_alu instid0(VALU_DEP_2) | instskip(SKIP_1) | instid1(SALU_CYCLE_1)
	v_cmp_ne_u32_e64 s0, 0, v5
	s_and_b32 s0, vcc_lo, s0
	v_cndmask_b32_e64 v5, 0, 1, s0
	s_delay_alu instid0(VALU_DEP_1)
	v_add_nc_u32_e32 v5, v3, v5
.LBB34_78:
	s_or_b32 exec_lo, exec_lo, s17
	s_mov_b32 s17, -1
	s_mov_b32 s0, 0
	global_store_b8 v[0:1], v5, off
.LBB34_79:
	s_mov_b32 s18, 0
.LBB34_80:
	s_delay_alu instid0(SALU_CYCLE_1)
	s_and_b32 vcc_lo, exec_lo, s18
	s_cbranch_vccz .LBB34_83
; %bb.81:
	s_cmp_eq_u32 s12, 29
	s_mov_b32 s0, -1
	s_cbranch_scc0 .LBB34_83
; %bb.82:
	s_wait_xcnt 0x0
	v_lshlrev_b32_e32 v3, 16, v2
	s_mov_b32 s17, -1
	s_mov_b32 s0, 0
	s_mov_b32 s18, 0
	s_delay_alu instid0(VALU_DEP_1) | instskip(NEXT) | instid1(VALU_DEP_1)
	v_trunc_f32_e32 v3, v3
	v_mul_f32_e32 v5, 0x2f800000, v3
	s_delay_alu instid0(VALU_DEP_1) | instskip(NEXT) | instid1(VALU_DEP_1)
	v_floor_f32_e32 v5, v5
	v_fmamk_f32 v3, v5, 0xcf800000, v3
	v_cvt_u32_f32_e32 v7, v5
	s_delay_alu instid0(VALU_DEP_2)
	v_cvt_u32_f32_e32 v6, v3
	global_store_b64 v[0:1], v[6:7], off
	s_branch .LBB34_84
.LBB34_83:
	s_mov_b32 s18, 0
.LBB34_84:
	s_delay_alu instid0(SALU_CYCLE_1)
	s_and_b32 vcc_lo, exec_lo, s18
	s_cbranch_vccz .LBB34_100
; %bb.85:
	s_cmp_lt_i32 s12, 27
	s_mov_b32 s17, -1
	s_cbranch_scc1 .LBB34_91
; %bb.86:
	s_cmp_gt_i32 s12, 27
	s_cbranch_scc0 .LBB34_88
; %bb.87:
	s_wait_xcnt 0x0
	v_lshlrev_b32_e32 v3, 16, v2
	s_mov_b32 s17, 0
	s_delay_alu instid0(VALU_DEP_1)
	v_cvt_u32_f32_e32 v3, v3
	global_store_b32 v[0:1], v3, off
.LBB34_88:
	s_and_not1_b32 vcc_lo, exec_lo, s17
	s_cbranch_vccnz .LBB34_90
; %bb.89:
	s_wait_xcnt 0x0
	v_lshlrev_b32_e32 v3, 16, v2
	s_delay_alu instid0(VALU_DEP_1)
	v_cvt_u32_f32_e32 v3, v3
	global_store_b16 v[0:1], v3, off
.LBB34_90:
	s_mov_b32 s17, 0
.LBB34_91:
	s_delay_alu instid0(SALU_CYCLE_1)
	s_and_not1_b32 vcc_lo, exec_lo, s17
	s_cbranch_vccnz .LBB34_99
; %bb.92:
	s_wait_xcnt 0x0
	v_dual_mov_b32 v7, 0x80 :: v_dual_lshlrev_b32 v6, 16, v2
	s_mov_b32 s17, exec_lo
	s_delay_alu instid0(VALU_DEP_1) | instskip(NEXT) | instid1(VALU_DEP_1)
	v_and_b32_e32 v5, 0x7fffffff, v6
	v_cmpx_gt_u32_e32 0x43800000, v5
	s_cbranch_execz .LBB34_98
; %bb.93:
	v_and_b32_e32 v3, 0xffff, v2
	v_cmp_lt_u32_e32 vcc_lo, 0x3bffffff, v5
	s_mov_b32 s18, 0
                                        ; implicit-def: $vgpr5
	s_and_saveexec_b32 s19, vcc_lo
	s_delay_alu instid0(SALU_CYCLE_1)
	s_xor_b32 s19, exec_lo, s19
	s_cbranch_execz .LBB34_326
; %bb.94:
	v_bfe_u32 v5, v3, 4, 1
	s_mov_b32 s18, exec_lo
	s_delay_alu instid0(VALU_DEP_1) | instskip(NEXT) | instid1(VALU_DEP_1)
	v_add3_u32 v5, v6, v5, 0x487ffff
                                        ; implicit-def: $vgpr6
	v_lshrrev_b32_e32 v5, 20, v5
	s_and_not1_saveexec_b32 s19, s19
	s_cbranch_execnz .LBB34_327
.LBB34_95:
	s_or_b32 exec_lo, exec_lo, s19
	v_mov_b32_e32 v7, 0
	s_and_saveexec_b32 s19, s18
.LBB34_96:
	v_lshrrev_b32_e32 v3, 8, v3
	s_delay_alu instid0(VALU_DEP_1)
	v_and_or_b32 v7, 0x80, v3, v5
.LBB34_97:
	s_or_b32 exec_lo, exec_lo, s19
.LBB34_98:
	s_delay_alu instid0(SALU_CYCLE_1)
	s_or_b32 exec_lo, exec_lo, s17
	global_store_b8 v[0:1], v7, off
.LBB34_99:
	s_mov_b32 s17, -1
.LBB34_100:
	s_mov_b32 s18, 0
.LBB34_101:
	s_delay_alu instid0(SALU_CYCLE_1)
	s_and_b32 vcc_lo, exec_lo, s18
	s_cbranch_vccz .LBB34_142
; %bb.102:
	s_cmp_gt_i32 s12, 22
	s_mov_b32 s18, -1
	s_cbranch_scc0 .LBB34_134
; %bb.103:
	s_cmp_lt_i32 s12, 24
	s_mov_b32 s17, -1
	s_cbranch_scc1 .LBB34_123
; %bb.104:
	s_cmp_gt_i32 s12, 24
	s_cbranch_scc0 .LBB34_112
; %bb.105:
	s_wait_xcnt 0x0
	v_dual_mov_b32 v7, 0x80 :: v_dual_lshlrev_b32 v6, 16, v2
	s_mov_b32 s17, exec_lo
	s_delay_alu instid0(VALU_DEP_1) | instskip(NEXT) | instid1(VALU_DEP_1)
	v_and_b32_e32 v5, 0x7fffffff, v6
	v_cmpx_gt_u32_e32 0x47800000, v5
	s_cbranch_execz .LBB34_111
; %bb.106:
	v_and_b32_e32 v3, 0xffff, v2
	v_cmp_lt_u32_e32 vcc_lo, 0x37ffffff, v5
	s_mov_b32 s18, 0
                                        ; implicit-def: $vgpr5
	s_and_saveexec_b32 s19, vcc_lo
	s_delay_alu instid0(SALU_CYCLE_1)
	s_xor_b32 s19, exec_lo, s19
	s_cbranch_execz .LBB34_330
; %bb.107:
	v_bfe_u32 v5, v3, 5, 1
	s_mov_b32 s18, exec_lo
	s_delay_alu instid0(VALU_DEP_1) | instskip(NEXT) | instid1(VALU_DEP_1)
	v_add3_u32 v5, v6, v5, 0x88fffff
                                        ; implicit-def: $vgpr6
	v_lshrrev_b32_e32 v5, 21, v5
	s_and_not1_saveexec_b32 s19, s19
	s_cbranch_execnz .LBB34_331
.LBB34_108:
	s_or_b32 exec_lo, exec_lo, s19
	v_mov_b32_e32 v7, 0
	s_and_saveexec_b32 s19, s18
.LBB34_109:
	v_lshrrev_b32_e32 v3, 8, v3
	s_delay_alu instid0(VALU_DEP_1)
	v_and_or_b32 v7, 0x80, v3, v5
.LBB34_110:
	s_or_b32 exec_lo, exec_lo, s19
.LBB34_111:
	s_delay_alu instid0(SALU_CYCLE_1)
	s_or_b32 exec_lo, exec_lo, s17
	s_mov_b32 s17, 0
	global_store_b8 v[0:1], v7, off
.LBB34_112:
	s_and_b32 vcc_lo, exec_lo, s17
	s_cbranch_vccz .LBB34_122
; %bb.113:
	s_wait_xcnt 0x0
	v_lshlrev_b32_e32 v6, 16, v2
	v_and_b32_e32 v3, 0xffff, v2
	s_mov_b32 s17, exec_lo
                                        ; implicit-def: $vgpr5
	s_delay_alu instid0(VALU_DEP_2) | instskip(NEXT) | instid1(VALU_DEP_1)
	v_and_b32_e32 v7, 0x7fffffff, v6
	v_cmpx_gt_u32_e32 0x43f00000, v7
	s_xor_b32 s17, exec_lo, s17
	s_cbranch_execz .LBB34_119
; %bb.114:
	s_mov_b32 s18, exec_lo
                                        ; implicit-def: $vgpr5
	v_cmpx_lt_u32_e32 0x3c7fffff, v7
	s_xor_b32 s18, exec_lo, s18
; %bb.115:
	v_bfe_u32 v5, v3, 4, 1
	s_delay_alu instid0(VALU_DEP_1) | instskip(NEXT) | instid1(VALU_DEP_1)
	v_add3_u32 v5, v6, v5, 0x407ffff
	v_and_b32_e32 v6, 0xff00000, v5
	v_lshrrev_b32_e32 v5, 20, v5
	s_delay_alu instid0(VALU_DEP_2) | instskip(NEXT) | instid1(VALU_DEP_2)
	v_cmp_ne_u32_e32 vcc_lo, 0x7f00000, v6
                                        ; implicit-def: $vgpr6
	v_cndmask_b32_e32 v5, 0x7e, v5, vcc_lo
; %bb.116:
	s_and_not1_saveexec_b32 s18, s18
; %bb.117:
	v_add_f32_e64 v5, 0x46800000, |v6|
; %bb.118:
	s_or_b32 exec_lo, exec_lo, s18
                                        ; implicit-def: $vgpr7
.LBB34_119:
	s_and_not1_saveexec_b32 s17, s17
; %bb.120:
	v_mov_b32_e32 v5, 0x7f
	v_cmp_lt_u32_e32 vcc_lo, 0x7f800000, v7
	s_delay_alu instid0(VALU_DEP_2)
	v_cndmask_b32_e32 v5, 0x7e, v5, vcc_lo
; %bb.121:
	s_or_b32 exec_lo, exec_lo, s17
	v_lshrrev_b32_e32 v3, 8, v3
	s_delay_alu instid0(VALU_DEP_1)
	v_and_or_b32 v3, 0x80, v3, v5
	global_store_b8 v[0:1], v3, off
.LBB34_122:
	s_mov_b32 s17, 0
.LBB34_123:
	s_delay_alu instid0(SALU_CYCLE_1)
	s_and_not1_b32 vcc_lo, exec_lo, s17
	s_cbranch_vccnz .LBB34_133
; %bb.124:
	s_wait_xcnt 0x0
	v_lshlrev_b32_e32 v6, 16, v2
	v_and_b32_e32 v3, 0xffff, v2
	s_mov_b32 s17, exec_lo
                                        ; implicit-def: $vgpr5
	s_delay_alu instid0(VALU_DEP_2) | instskip(NEXT) | instid1(VALU_DEP_1)
	v_and_b32_e32 v7, 0x7fffffff, v6
	v_cmpx_gt_u32_e32 0x47800000, v7
	s_xor_b32 s17, exec_lo, s17
	s_cbranch_execz .LBB34_130
; %bb.125:
	s_mov_b32 s18, exec_lo
                                        ; implicit-def: $vgpr5
	v_cmpx_lt_u32_e32 0x387fffff, v7
	s_xor_b32 s18, exec_lo, s18
; %bb.126:
	v_bfe_u32 v5, v3, 5, 1
	s_delay_alu instid0(VALU_DEP_1) | instskip(NEXT) | instid1(VALU_DEP_1)
	v_add3_u32 v5, v6, v5, 0x80fffff
                                        ; implicit-def: $vgpr6
	v_lshrrev_b32_e32 v5, 21, v5
; %bb.127:
	s_and_not1_saveexec_b32 s18, s18
; %bb.128:
	v_add_f32_e64 v5, 0x43000000, |v6|
; %bb.129:
	s_or_b32 exec_lo, exec_lo, s18
                                        ; implicit-def: $vgpr7
.LBB34_130:
	s_and_not1_saveexec_b32 s17, s17
; %bb.131:
	v_mov_b32_e32 v5, 0x7f
	v_cmp_lt_u32_e32 vcc_lo, 0x7f800000, v7
	s_delay_alu instid0(VALU_DEP_2)
	v_cndmask_b32_e32 v5, 0x7c, v5, vcc_lo
; %bb.132:
	s_or_b32 exec_lo, exec_lo, s17
	v_lshrrev_b32_e32 v3, 8, v3
	s_delay_alu instid0(VALU_DEP_1)
	v_and_or_b32 v3, 0x80, v3, v5
	global_store_b8 v[0:1], v3, off
.LBB34_133:
	s_mov_b32 s18, 0
	s_mov_b32 s17, -1
.LBB34_134:
	s_and_not1_b32 vcc_lo, exec_lo, s18
	s_cbranch_vccnz .LBB34_142
; %bb.135:
	s_cmp_gt_i32 s12, 14
	s_mov_b32 s18, -1
	s_cbranch_scc0 .LBB34_139
; %bb.136:
	s_cmp_eq_u32 s12, 15
	s_mov_b32 s0, -1
	s_cbranch_scc0 .LBB34_138
; %bb.137:
	s_mov_b32 s17, -1
	s_mov_b32 s0, 0
	global_store_b16 v[0:1], v2, off
.LBB34_138:
	s_mov_b32 s18, 0
.LBB34_139:
	s_delay_alu instid0(SALU_CYCLE_1)
	s_and_b32 vcc_lo, exec_lo, s18
	s_cbranch_vccz .LBB34_142
; %bb.140:
	s_cmp_eq_u32 s12, 11
	s_mov_b32 s0, -1
	s_cbranch_scc0 .LBB34_142
; %bb.141:
	s_wait_xcnt 0x0
	v_and_b32_e32 v3, 0x7fff, v2
	s_mov_b32 s0, 0
	s_mov_b32 s17, -1
	s_delay_alu instid0(VALU_DEP_1)
	v_cmp_ne_u16_e32 vcc_lo, 0, v3
	v_cndmask_b32_e64 v3, 0, 1, vcc_lo
	global_store_b8 v[0:1], v3, off
.LBB34_142:
.LBB34_143:
	s_and_not1_b32 vcc_lo, exec_lo, s17
	s_cbranch_vccnz .LBB34_254
.LBB34_144:
	v_add_nc_u32_e32 v4, 0x80, v4
	s_mov_b32 s1, -1
	s_branch .LBB34_255
.LBB34_145:
	s_mov_b32 s14, -1
                                        ; implicit-def: $vgpr2
.LBB34_146:
	s_mov_b32 s12, 0
.LBB34_147:
	s_delay_alu instid0(SALU_CYCLE_1)
	s_and_b32 vcc_lo, exec_lo, s12
	s_cbranch_vccz .LBB34_151
; %bb.148:
	s_cmp_eq_u32 s0, 29
	s_cbranch_scc0 .LBB34_150
; %bb.149:
	s_wait_loadcnt 0x0
	global_load_b64 v[2:3], v[0:1], off
	s_mov_b32 s1, -1
	s_mov_b32 s14, 0
	s_mov_b32 s12, 0
	s_wait_loadcnt 0x0
	v_clz_i32_u32_e32 v5, v3
	s_delay_alu instid0(VALU_DEP_1) | instskip(NEXT) | instid1(VALU_DEP_1)
	v_min_u32_e32 v5, 32, v5
	v_lshlrev_b64_e32 v[2:3], v5, v[2:3]
	s_delay_alu instid0(VALU_DEP_1) | instskip(NEXT) | instid1(VALU_DEP_1)
	v_min_u32_e32 v2, 1, v2
	v_dual_sub_nc_u32 v3, 32, v5 :: v_dual_bitop2_b32 v2, v3, v2 bitop3:0x54
	s_delay_alu instid0(VALU_DEP_1) | instskip(NEXT) | instid1(VALU_DEP_1)
	v_cvt_f32_u32_e32 v2, v2
	v_ldexp_f32 v2, v2, v3
	s_delay_alu instid0(VALU_DEP_1) | instskip(NEXT) | instid1(VALU_DEP_1)
	v_bfe_u32 v3, v2, 16, 1
	v_add3_u32 v2, v2, v3, 0x7fff
	s_delay_alu instid0(VALU_DEP_1)
	v_lshrrev_b32_e32 v2, 16, v2
	s_branch .LBB34_152
.LBB34_150:
	s_mov_b32 s14, -1
                                        ; implicit-def: $vgpr2
.LBB34_151:
	s_mov_b32 s12, 0
.LBB34_152:
	s_delay_alu instid0(SALU_CYCLE_1)
	s_and_b32 vcc_lo, exec_lo, s12
	s_cbranch_vccz .LBB34_170
; %bb.153:
	s_cmp_lt_i32 s0, 27
	s_cbranch_scc1 .LBB34_156
; %bb.154:
	s_cmp_gt_i32 s0, 27
	s_cbranch_scc0 .LBB34_157
; %bb.155:
	s_wait_loadcnt 0x0
	global_load_b32 v2, v[0:1], off
	s_mov_b32 s1, 0
	s_wait_loadcnt 0x0
	v_cvt_f32_u32_e32 v2, v2
	s_delay_alu instid0(VALU_DEP_1) | instskip(NEXT) | instid1(VALU_DEP_1)
	v_bfe_u32 v3, v2, 16, 1
	v_add3_u32 v2, v2, v3, 0x7fff
	s_delay_alu instid0(VALU_DEP_1)
	v_lshrrev_b32_e32 v2, 16, v2
	s_branch .LBB34_158
.LBB34_156:
	s_mov_b32 s1, -1
                                        ; implicit-def: $vgpr2
	s_branch .LBB34_161
.LBB34_157:
	s_mov_b32 s1, -1
                                        ; implicit-def: $vgpr2
.LBB34_158:
	s_delay_alu instid0(SALU_CYCLE_1)
	s_and_not1_b32 vcc_lo, exec_lo, s1
	s_cbranch_vccnz .LBB34_160
; %bb.159:
	s_wait_loadcnt 0x0
	global_load_u16 v2, v[0:1], off
	s_wait_loadcnt 0x0
	v_cvt_f32_u32_e32 v2, v2
	s_delay_alu instid0(VALU_DEP_1) | instskip(NEXT) | instid1(VALU_DEP_1)
	v_bfe_u32 v3, v2, 16, 1
	v_add3_u32 v2, v2, v3, 0x7fff
	s_delay_alu instid0(VALU_DEP_1)
	v_lshrrev_b32_e32 v2, 16, v2
.LBB34_160:
	s_mov_b32 s1, 0
.LBB34_161:
	s_delay_alu instid0(SALU_CYCLE_1)
	s_and_not1_b32 vcc_lo, exec_lo, s1
	s_cbranch_vccnz .LBB34_169
; %bb.162:
	s_wait_loadcnt 0x0
	global_load_u8 v2, v[0:1], off
	s_mov_b32 s1, 0
	s_mov_b32 s12, exec_lo
	s_wait_loadcnt 0x0
	v_cmpx_lt_i16_e32 0x7f, v2
	s_xor_b32 s12, exec_lo, s12
	s_cbranch_execz .LBB34_182
; %bb.163:
	s_mov_b32 s1, -1
	s_mov_b32 s17, exec_lo
	v_cmpx_eq_u16_e32 0x80, v2
; %bb.164:
	s_xor_b32 s1, exec_lo, -1
; %bb.165:
	s_or_b32 exec_lo, exec_lo, s17
	s_delay_alu instid0(SALU_CYCLE_1)
	s_and_b32 s1, s1, exec_lo
	s_or_saveexec_b32 s12, s12
	v_mov_b32_e32 v3, 0x7f800001
	s_xor_b32 exec_lo, exec_lo, s12
	s_cbranch_execnz .LBB34_183
.LBB34_166:
	s_or_b32 exec_lo, exec_lo, s12
	s_and_saveexec_b32 s12, s1
	s_cbranch_execz .LBB34_168
.LBB34_167:
	v_and_b32_e32 v3, 0xffff, v2
	s_delay_alu instid0(VALU_DEP_1) | instskip(SKIP_1) | instid1(VALU_DEP_2)
	v_and_b32_e32 v5, 7, v3
	v_bfe_u32 v8, v3, 3, 4
	v_clz_i32_u32_e32 v6, v5
	s_delay_alu instid0(VALU_DEP_2) | instskip(NEXT) | instid1(VALU_DEP_2)
	v_cmp_eq_u32_e32 vcc_lo, 0, v8
	v_min_u32_e32 v6, 32, v6
	s_delay_alu instid0(VALU_DEP_1) | instskip(NEXT) | instid1(VALU_DEP_1)
	v_subrev_nc_u32_e32 v7, 28, v6
	v_dual_lshlrev_b32 v3, v7, v3 :: v_dual_sub_nc_u32 v6, 29, v6
	s_delay_alu instid0(VALU_DEP_1) | instskip(NEXT) | instid1(VALU_DEP_1)
	v_dual_lshlrev_b32 v2, 24, v2 :: v_dual_bitop2_b32 v3, 7, v3 bitop3:0x40
	v_dual_cndmask_b32 v3, v5, v3 :: v_dual_cndmask_b32 v6, v8, v6
	s_delay_alu instid0(VALU_DEP_2) | instskip(NEXT) | instid1(VALU_DEP_2)
	v_and_b32_e32 v2, 0x80000000, v2
	v_lshlrev_b32_e32 v3, 20, v3
	s_delay_alu instid0(VALU_DEP_3) | instskip(NEXT) | instid1(VALU_DEP_1)
	v_lshl_add_u32 v5, v6, 23, 0x3b800000
	v_or3_b32 v3, v2, v5, v3
.LBB34_168:
	s_or_b32 exec_lo, exec_lo, s12
	s_delay_alu instid0(VALU_DEP_1) | instskip(SKIP_1) | instid1(VALU_DEP_2)
	v_bfe_u32 v2, v3, 16, 1
	v_cmp_o_f32_e32 vcc_lo, v3, v3
	v_add3_u32 v2, v3, v2, 0x7fff
	s_delay_alu instid0(VALU_DEP_1) | instskip(NEXT) | instid1(VALU_DEP_1)
	v_lshrrev_b32_e32 v2, 16, v2
	v_cndmask_b32_e32 v2, 0x7fc0, v2, vcc_lo
.LBB34_169:
	s_mov_b32 s1, -1
.LBB34_170:
	s_branch .LBB34_205
.LBB34_171:
	s_cmp_gt_i32 s0, 22
	s_cbranch_scc0 .LBB34_181
; %bb.172:
	s_cmp_lt_i32 s0, 24
	s_cbranch_scc1 .LBB34_184
; %bb.173:
	s_cmp_gt_i32 s0, 24
	s_cbranch_scc0 .LBB34_185
; %bb.174:
	s_wait_loadcnt 0x0
	global_load_u8 v2, v[0:1], off
	s_mov_b32 s1, 0
	s_mov_b32 s12, exec_lo
	s_wait_loadcnt 0x0
	v_cmpx_lt_i16_e32 0x7f, v2
	s_xor_b32 s12, exec_lo, s12
	s_cbranch_execz .LBB34_197
; %bb.175:
	s_mov_b32 s1, -1
	s_mov_b32 s17, exec_lo
	v_cmpx_eq_u16_e32 0x80, v2
; %bb.176:
	s_xor_b32 s1, exec_lo, -1
; %bb.177:
	s_or_b32 exec_lo, exec_lo, s17
	s_delay_alu instid0(SALU_CYCLE_1)
	s_and_b32 s1, s1, exec_lo
	s_or_saveexec_b32 s12, s12
	v_mov_b32_e32 v3, 0x7f800001
	s_xor_b32 exec_lo, exec_lo, s12
	s_cbranch_execnz .LBB34_198
.LBB34_178:
	s_or_b32 exec_lo, exec_lo, s12
	s_and_saveexec_b32 s12, s1
	s_cbranch_execz .LBB34_180
.LBB34_179:
	v_and_b32_e32 v3, 0xffff, v2
	s_delay_alu instid0(VALU_DEP_1) | instskip(SKIP_1) | instid1(VALU_DEP_2)
	v_and_b32_e32 v5, 3, v3
	v_bfe_u32 v8, v3, 2, 5
	v_clz_i32_u32_e32 v6, v5
	s_delay_alu instid0(VALU_DEP_2) | instskip(NEXT) | instid1(VALU_DEP_2)
	v_cmp_eq_u32_e32 vcc_lo, 0, v8
	v_min_u32_e32 v6, 32, v6
	s_delay_alu instid0(VALU_DEP_1) | instskip(NEXT) | instid1(VALU_DEP_1)
	v_subrev_nc_u32_e32 v7, 29, v6
	v_dual_lshlrev_b32 v3, v7, v3 :: v_dual_sub_nc_u32 v6, 30, v6
	s_delay_alu instid0(VALU_DEP_1) | instskip(NEXT) | instid1(VALU_DEP_1)
	v_dual_lshlrev_b32 v2, 24, v2 :: v_dual_bitop2_b32 v3, 3, v3 bitop3:0x40
	v_dual_cndmask_b32 v3, v5, v3 :: v_dual_cndmask_b32 v6, v8, v6
	s_delay_alu instid0(VALU_DEP_2) | instskip(NEXT) | instid1(VALU_DEP_2)
	v_and_b32_e32 v2, 0x80000000, v2
	v_lshlrev_b32_e32 v3, 21, v3
	s_delay_alu instid0(VALU_DEP_3) | instskip(NEXT) | instid1(VALU_DEP_1)
	v_lshl_add_u32 v5, v6, 23, 0x37800000
	v_or3_b32 v3, v2, v5, v3
.LBB34_180:
	s_or_b32 exec_lo, exec_lo, s12
	s_delay_alu instid0(VALU_DEP_1) | instskip(SKIP_2) | instid1(VALU_DEP_2)
	v_bfe_u32 v2, v3, 16, 1
	v_cmp_o_f32_e32 vcc_lo, v3, v3
	s_mov_b32 s1, 0
	v_add3_u32 v2, v3, v2, 0x7fff
	s_delay_alu instid0(VALU_DEP_1) | instskip(NEXT) | instid1(VALU_DEP_1)
	v_lshrrev_b32_e32 v2, 16, v2
	v_cndmask_b32_e32 v2, 0x7fc0, v2, vcc_lo
	s_branch .LBB34_186
.LBB34_181:
	s_mov_b32 s12, -1
                                        ; implicit-def: $vgpr2
	s_branch .LBB34_192
.LBB34_182:
	s_or_saveexec_b32 s12, s12
	v_mov_b32_e32 v3, 0x7f800001
	s_xor_b32 exec_lo, exec_lo, s12
	s_cbranch_execz .LBB34_166
.LBB34_183:
	v_cmp_ne_u16_e32 vcc_lo, 0, v2
	v_mov_b32_e32 v3, 0
	s_and_not1_b32 s1, s1, exec_lo
	s_and_b32 s17, vcc_lo, exec_lo
	s_delay_alu instid0(SALU_CYCLE_1)
	s_or_b32 s1, s1, s17
	s_or_b32 exec_lo, exec_lo, s12
	s_and_saveexec_b32 s12, s1
	s_cbranch_execnz .LBB34_167
	s_branch .LBB34_168
.LBB34_184:
	s_mov_b32 s1, -1
                                        ; implicit-def: $vgpr2
	s_branch .LBB34_189
.LBB34_185:
	s_mov_b32 s1, -1
                                        ; implicit-def: $vgpr2
.LBB34_186:
	s_delay_alu instid0(SALU_CYCLE_1)
	s_and_b32 vcc_lo, exec_lo, s1
	s_cbranch_vccz .LBB34_188
; %bb.187:
	s_wait_loadcnt 0x0
	global_load_u8 v2, v[0:1], off
	s_wait_loadcnt 0x0
	v_lshlrev_b32_e32 v2, 24, v2
	s_delay_alu instid0(VALU_DEP_1) | instskip(NEXT) | instid1(VALU_DEP_1)
	v_and_b32_e32 v3, 0x7f000000, v2
	v_clz_i32_u32_e32 v5, v3
	v_add_nc_u32_e32 v7, 0x1000000, v3
	v_cmp_ne_u32_e32 vcc_lo, 0, v3
	s_delay_alu instid0(VALU_DEP_3) | instskip(NEXT) | instid1(VALU_DEP_1)
	v_min_u32_e32 v5, 32, v5
	v_sub_nc_u32_e64 v5, v5, 4 clamp
	s_delay_alu instid0(VALU_DEP_1) | instskip(NEXT) | instid1(VALU_DEP_1)
	v_dual_lshlrev_b32 v6, v5, v3 :: v_dual_lshlrev_b32 v5, 23, v5
	v_lshrrev_b32_e32 v6, 4, v6
	s_delay_alu instid0(VALU_DEP_1) | instskip(NEXT) | instid1(VALU_DEP_1)
	v_dual_sub_nc_u32 v5, v6, v5 :: v_dual_ashrrev_i32 v6, 8, v7
	v_add_nc_u32_e32 v5, 0x3c000000, v5
	s_delay_alu instid0(VALU_DEP_1) | instskip(NEXT) | instid1(VALU_DEP_1)
	v_and_or_b32 v5, 0x7f800000, v6, v5
	v_cndmask_b32_e32 v3, 0, v5, vcc_lo
	s_delay_alu instid0(VALU_DEP_1) | instskip(SKIP_1) | instid1(VALU_DEP_2)
	v_and_or_b32 v2, 0x80000000, v2, v3
	v_bfe_u32 v3, v3, 16, 1
	v_cmp_o_f32_e32 vcc_lo, v2, v2
	s_delay_alu instid0(VALU_DEP_2) | instskip(NEXT) | instid1(VALU_DEP_1)
	v_add3_u32 v3, v2, v3, 0x7fff
	v_lshrrev_b32_e32 v3, 16, v3
	s_delay_alu instid0(VALU_DEP_1)
	v_cndmask_b32_e32 v2, 0x7fc0, v3, vcc_lo
.LBB34_188:
	s_mov_b32 s1, 0
.LBB34_189:
	s_delay_alu instid0(SALU_CYCLE_1)
	s_and_not1_b32 vcc_lo, exec_lo, s1
	s_cbranch_vccnz .LBB34_191
; %bb.190:
	s_wait_loadcnt 0x0
	global_load_u8 v2, v[0:1], off
	s_wait_loadcnt 0x0
	v_lshlrev_b32_e32 v3, 25, v2
	v_lshlrev_b16 v2, 8, v2
	s_delay_alu instid0(VALU_DEP_2) | instskip(NEXT) | instid1(VALU_DEP_2)
	v_cmp_gt_u32_e32 vcc_lo, 0x8000000, v3
	v_and_or_b32 v6, 0x7f00, v2, 0.5
	v_lshrrev_b32_e32 v5, 4, v3
	v_bfe_i32 v2, v2, 0, 16
	s_delay_alu instid0(VALU_DEP_3) | instskip(NEXT) | instid1(VALU_DEP_3)
	v_add_f32_e32 v6, -0.5, v6
	v_or_b32_e32 v5, 0x70000000, v5
	s_delay_alu instid0(VALU_DEP_1) | instskip(NEXT) | instid1(VALU_DEP_1)
	v_mul_f32_e32 v5, 0x7800000, v5
	v_cndmask_b32_e32 v3, v5, v6, vcc_lo
	s_delay_alu instid0(VALU_DEP_1) | instskip(SKIP_1) | instid1(VALU_DEP_2)
	v_and_or_b32 v2, 0x80000000, v2, v3
	v_bfe_u32 v3, v3, 16, 1
	v_cmp_o_f32_e32 vcc_lo, v2, v2
	s_delay_alu instid0(VALU_DEP_2) | instskip(NEXT) | instid1(VALU_DEP_1)
	v_add3_u32 v3, v2, v3, 0x7fff
	v_lshrrev_b32_e32 v3, 16, v3
	s_delay_alu instid0(VALU_DEP_1)
	v_cndmask_b32_e32 v2, 0x7fc0, v3, vcc_lo
.LBB34_191:
	s_mov_b32 s12, 0
	s_mov_b32 s1, -1
.LBB34_192:
	s_and_not1_b32 vcc_lo, exec_lo, s12
	s_cbranch_vccnz .LBB34_205
; %bb.193:
	s_cmp_gt_i32 s0, 14
	s_cbranch_scc0 .LBB34_196
; %bb.194:
	s_cmp_eq_u32 s0, 15
	s_cbranch_scc0 .LBB34_199
; %bb.195:
	s_wait_loadcnt 0x0
	global_load_u16 v2, v[0:1], off
	s_mov_b32 s1, -1
	s_mov_b32 s14, 0
	s_branch .LBB34_200
.LBB34_196:
	s_mov_b32 s12, -1
                                        ; implicit-def: $vgpr2
	s_branch .LBB34_201
.LBB34_197:
	s_or_saveexec_b32 s12, s12
	v_mov_b32_e32 v3, 0x7f800001
	s_xor_b32 exec_lo, exec_lo, s12
	s_cbranch_execz .LBB34_178
.LBB34_198:
	v_cmp_ne_u16_e32 vcc_lo, 0, v2
	v_mov_b32_e32 v3, 0
	s_and_not1_b32 s1, s1, exec_lo
	s_and_b32 s17, vcc_lo, exec_lo
	s_delay_alu instid0(SALU_CYCLE_1)
	s_or_b32 s1, s1, s17
	s_or_b32 exec_lo, exec_lo, s12
	s_and_saveexec_b32 s12, s1
	s_cbranch_execnz .LBB34_179
	s_branch .LBB34_180
.LBB34_199:
	s_mov_b32 s14, -1
                                        ; implicit-def: $vgpr2
.LBB34_200:
	s_mov_b32 s12, 0
.LBB34_201:
	s_delay_alu instid0(SALU_CYCLE_1)
	s_and_b32 vcc_lo, exec_lo, s12
	s_cbranch_vccz .LBB34_205
; %bb.202:
	s_cmp_eq_u32 s0, 11
	s_cbranch_scc0 .LBB34_204
; %bb.203:
	s_wait_loadcnt 0x0
	global_load_u8 v2, v[0:1], off
	s_mov_b32 s14, 0
	s_mov_b32 s1, -1
	s_wait_loadcnt 0x0
	v_cmp_ne_u16_e32 vcc_lo, 0, v2
	v_cndmask_b32_e64 v2, 0, 1.0, vcc_lo
	s_delay_alu instid0(VALU_DEP_1)
	v_lshrrev_b32_e32 v2, 16, v2
	s_branch .LBB34_205
.LBB34_204:
	s_mov_b32 s14, -1
                                        ; implicit-def: $vgpr2
.LBB34_205:
	s_branch .LBB34_10
.LBB34_206:
	s_cmp_lt_i32 s0, 5
	s_cbranch_scc1 .LBB34_211
; %bb.207:
	s_cmp_lt_i32 s0, 8
	s_cbranch_scc1 .LBB34_212
; %bb.208:
	;; [unrolled: 3-line block ×3, first 2 shown]
	s_cmp_gt_i32 s0, 9
	s_cbranch_scc0 .LBB34_214
; %bb.210:
	s_wait_loadcnt 0x0
	global_load_b64 v[2:3], v[0:1], off
	s_mov_b32 s1, 0
	s_wait_loadcnt 0x0
	v_cvt_f32_f64_e32 v2, v[2:3]
	s_delay_alu instid0(VALU_DEP_1) | instskip(SKIP_1) | instid1(VALU_DEP_2)
	v_bfe_u32 v3, v2, 16, 1
	v_cmp_o_f32_e32 vcc_lo, v2, v2
	v_add3_u32 v3, v2, v3, 0x7fff
	s_delay_alu instid0(VALU_DEP_1) | instskip(NEXT) | instid1(VALU_DEP_1)
	v_lshrrev_b32_e32 v3, 16, v3
	v_cndmask_b32_e32 v2, 0x7fc0, v3, vcc_lo
	s_branch .LBB34_215
.LBB34_211:
                                        ; implicit-def: $vgpr2
	s_branch .LBB34_233
.LBB34_212:
	s_mov_b32 s1, -1
                                        ; implicit-def: $vgpr2
	s_branch .LBB34_221
.LBB34_213:
	s_mov_b32 s1, -1
                                        ; implicit-def: $vgpr2
	s_branch .LBB34_218
.LBB34_214:
	s_mov_b32 s1, -1
                                        ; implicit-def: $vgpr2
.LBB34_215:
	s_delay_alu instid0(SALU_CYCLE_1)
	s_and_not1_b32 vcc_lo, exec_lo, s1
	s_cbranch_vccnz .LBB34_217
; %bb.216:
	s_wait_loadcnt 0x0
	global_load_b32 v2, v[0:1], off
	s_wait_loadcnt 0x0
	v_bfe_u32 v3, v2, 16, 1
	v_cmp_o_f32_e32 vcc_lo, v2, v2
	s_delay_alu instid0(VALU_DEP_2) | instskip(NEXT) | instid1(VALU_DEP_1)
	v_add3_u32 v3, v2, v3, 0x7fff
	v_lshrrev_b32_e32 v3, 16, v3
	s_delay_alu instid0(VALU_DEP_1)
	v_cndmask_b32_e32 v2, 0x7fc0, v3, vcc_lo
.LBB34_217:
	s_mov_b32 s1, 0
.LBB34_218:
	s_delay_alu instid0(SALU_CYCLE_1)
	s_and_not1_b32 vcc_lo, exec_lo, s1
	s_cbranch_vccnz .LBB34_220
; %bb.219:
	s_wait_loadcnt 0x0
	global_load_b32 v2, v[0:1], off
	s_wait_loadcnt 0x0
	v_cvt_f32_f16_e32 v3, v2
	v_cmp_o_f16_e32 vcc_lo, v2, v2
	s_delay_alu instid0(VALU_DEP_2) | instskip(NEXT) | instid1(VALU_DEP_1)
	v_bfe_u32 v5, v3, 16, 1
	v_add3_u32 v3, v3, v5, 0x7fff
	s_delay_alu instid0(VALU_DEP_1) | instskip(NEXT) | instid1(VALU_DEP_1)
	v_lshrrev_b32_e32 v3, 16, v3
	v_cndmask_b32_e32 v2, 0x7fc0, v3, vcc_lo
.LBB34_220:
	s_mov_b32 s1, 0
.LBB34_221:
	s_delay_alu instid0(SALU_CYCLE_1)
	s_and_not1_b32 vcc_lo, exec_lo, s1
	s_cbranch_vccnz .LBB34_232
; %bb.222:
	s_cmp_lt_i32 s0, 6
	s_cbranch_scc1 .LBB34_225
; %bb.223:
	s_cmp_gt_i32 s0, 6
	s_cbranch_scc0 .LBB34_226
; %bb.224:
	s_wait_loadcnt 0x0
	global_load_b64 v[2:3], v[0:1], off
	s_mov_b32 s1, 0
	s_wait_loadcnt 0x0
	v_cvt_f32_f64_e32 v2, v[2:3]
	s_delay_alu instid0(VALU_DEP_1) | instskip(SKIP_1) | instid1(VALU_DEP_2)
	v_bfe_u32 v3, v2, 16, 1
	v_cmp_o_f32_e32 vcc_lo, v2, v2
	v_add3_u32 v3, v2, v3, 0x7fff
	s_delay_alu instid0(VALU_DEP_1) | instskip(NEXT) | instid1(VALU_DEP_1)
	v_lshrrev_b32_e32 v3, 16, v3
	v_cndmask_b32_e32 v2, 0x7fc0, v3, vcc_lo
	s_branch .LBB34_227
.LBB34_225:
	s_mov_b32 s1, -1
                                        ; implicit-def: $vgpr2
	s_branch .LBB34_230
.LBB34_226:
	s_mov_b32 s1, -1
                                        ; implicit-def: $vgpr2
.LBB34_227:
	s_delay_alu instid0(SALU_CYCLE_1)
	s_and_not1_b32 vcc_lo, exec_lo, s1
	s_cbranch_vccnz .LBB34_229
; %bb.228:
	s_wait_loadcnt 0x0
	global_load_b32 v2, v[0:1], off
	s_wait_loadcnt 0x0
	v_bfe_u32 v3, v2, 16, 1
	v_cmp_o_f32_e32 vcc_lo, v2, v2
	s_delay_alu instid0(VALU_DEP_2) | instskip(NEXT) | instid1(VALU_DEP_1)
	v_add3_u32 v3, v2, v3, 0x7fff
	v_lshrrev_b32_e32 v3, 16, v3
	s_delay_alu instid0(VALU_DEP_1)
	v_cndmask_b32_e32 v2, 0x7fc0, v3, vcc_lo
.LBB34_229:
	s_mov_b32 s1, 0
.LBB34_230:
	s_delay_alu instid0(SALU_CYCLE_1)
	s_and_not1_b32 vcc_lo, exec_lo, s1
	s_cbranch_vccnz .LBB34_232
; %bb.231:
	s_wait_loadcnt 0x0
	global_load_u16 v2, v[0:1], off
	s_wait_loadcnt 0x0
	v_cvt_f32_f16_e32 v3, v2
	v_cmp_o_f16_e32 vcc_lo, v2, v2
	s_delay_alu instid0(VALU_DEP_2) | instskip(NEXT) | instid1(VALU_DEP_1)
	v_bfe_u32 v5, v3, 16, 1
	v_add3_u32 v3, v3, v5, 0x7fff
	s_delay_alu instid0(VALU_DEP_1) | instskip(NEXT) | instid1(VALU_DEP_1)
	v_lshrrev_b32_e32 v3, 16, v3
	v_cndmask_b32_e32 v2, 0x7fc0, v3, vcc_lo
.LBB34_232:
	s_cbranch_execnz .LBB34_252
.LBB34_233:
	s_cmp_lt_i32 s0, 2
	s_cbranch_scc1 .LBB34_237
; %bb.234:
	s_cmp_lt_i32 s0, 3
	s_cbranch_scc1 .LBB34_238
; %bb.235:
	s_cmp_gt_i32 s0, 3
	s_cbranch_scc0 .LBB34_239
; %bb.236:
	s_wait_loadcnt 0x0
	global_load_b64 v[2:3], v[0:1], off
	s_mov_b32 s1, 0
	s_wait_loadcnt 0x0
	v_xor_b32_e32 v5, v2, v3
	v_cls_i32_e32 v6, v3
	s_delay_alu instid0(VALU_DEP_2) | instskip(NEXT) | instid1(VALU_DEP_1)
	v_ashrrev_i32_e32 v5, 31, v5
	v_add_nc_u32_e32 v5, 32, v5
	s_delay_alu instid0(VALU_DEP_1) | instskip(NEXT) | instid1(VALU_DEP_1)
	v_add_min_u32_e64 v5, v6, -1, v5
	v_lshlrev_b64_e32 v[2:3], v5, v[2:3]
	s_delay_alu instid0(VALU_DEP_1) | instskip(NEXT) | instid1(VALU_DEP_1)
	v_min_u32_e32 v2, 1, v2
	v_dual_sub_nc_u32 v3, 32, v5 :: v_dual_bitop2_b32 v2, v3, v2 bitop3:0x54
	s_delay_alu instid0(VALU_DEP_1) | instskip(NEXT) | instid1(VALU_DEP_1)
	v_cvt_f32_i32_e32 v2, v2
	v_ldexp_f32 v2, v2, v3
	s_delay_alu instid0(VALU_DEP_1) | instskip(NEXT) | instid1(VALU_DEP_1)
	v_bfe_u32 v3, v2, 16, 1
	v_add3_u32 v2, v2, v3, 0x7fff
	s_delay_alu instid0(VALU_DEP_1)
	v_lshrrev_b32_e32 v2, 16, v2
	s_branch .LBB34_240
.LBB34_237:
	s_mov_b32 s1, -1
                                        ; implicit-def: $vgpr2
	s_branch .LBB34_246
.LBB34_238:
	s_mov_b32 s1, -1
                                        ; implicit-def: $vgpr2
	s_branch .LBB34_243
.LBB34_239:
	s_mov_b32 s1, -1
                                        ; implicit-def: $vgpr2
.LBB34_240:
	s_delay_alu instid0(SALU_CYCLE_1)
	s_and_not1_b32 vcc_lo, exec_lo, s1
	s_cbranch_vccnz .LBB34_242
; %bb.241:
	s_wait_loadcnt 0x0
	global_load_b32 v2, v[0:1], off
	s_wait_loadcnt 0x0
	v_cvt_f32_i32_e32 v2, v2
	s_delay_alu instid0(VALU_DEP_1) | instskip(NEXT) | instid1(VALU_DEP_1)
	v_bfe_u32 v3, v2, 16, 1
	v_add3_u32 v2, v2, v3, 0x7fff
	s_delay_alu instid0(VALU_DEP_1)
	v_lshrrev_b32_e32 v2, 16, v2
.LBB34_242:
	s_mov_b32 s1, 0
.LBB34_243:
	s_delay_alu instid0(SALU_CYCLE_1)
	s_and_not1_b32 vcc_lo, exec_lo, s1
	s_cbranch_vccnz .LBB34_245
; %bb.244:
	s_wait_loadcnt 0x0
	global_load_i16 v2, v[0:1], off
	s_wait_loadcnt 0x0
	v_cvt_f32_i32_e32 v2, v2
	s_delay_alu instid0(VALU_DEP_1) | instskip(NEXT) | instid1(VALU_DEP_1)
	v_bfe_u32 v3, v2, 16, 1
	v_add3_u32 v2, v2, v3, 0x7fff
	s_delay_alu instid0(VALU_DEP_1)
	v_lshrrev_b32_e32 v2, 16, v2
.LBB34_245:
	s_mov_b32 s1, 0
.LBB34_246:
	s_delay_alu instid0(SALU_CYCLE_1)
	s_and_not1_b32 vcc_lo, exec_lo, s1
	s_cbranch_vccnz .LBB34_252
; %bb.247:
	s_cmp_gt_i32 s0, 0
	s_mov_b32 s0, 0
	s_cbranch_scc0 .LBB34_249
; %bb.248:
	s_wait_loadcnt 0x0
	global_load_i8 v2, v[0:1], off
	s_wait_loadcnt 0x0
	v_cvt_f32_i32_e32 v2, v2
	s_delay_alu instid0(VALU_DEP_1) | instskip(NEXT) | instid1(VALU_DEP_1)
	v_bfe_u32 v3, v2, 16, 1
	v_add3_u32 v2, v2, v3, 0x7fff
	s_delay_alu instid0(VALU_DEP_1)
	v_lshrrev_b32_e32 v2, 16, v2
	s_branch .LBB34_250
.LBB34_249:
	s_mov_b32 s0, -1
                                        ; implicit-def: $vgpr2
.LBB34_250:
	s_delay_alu instid0(SALU_CYCLE_1)
	s_and_not1_b32 vcc_lo, exec_lo, s0
	s_cbranch_vccnz .LBB34_252
; %bb.251:
	global_load_u8 v0, v[0:1], off
	s_wait_loadcnt 0x0
	v_cvt_f32_ubyte0_e32 v0, v0
	s_delay_alu instid0(VALU_DEP_1) | instskip(NEXT) | instid1(VALU_DEP_1)
	v_bfe_u32 v1, v0, 16, 1
	v_add3_u32 v0, v0, v1, 0x7fff
	s_delay_alu instid0(VALU_DEP_1)
	v_lshrrev_b32_e32 v2, 16, v0
.LBB34_252:
	s_branch .LBB34_11
.LBB34_253:
	s_mov_b32 s0, 0
.LBB34_254:
	s_mov_b32 s1, 0
                                        ; implicit-def: $vgpr4
.LBB34_255:
	s_and_b32 s12, s0, exec_lo
	s_and_b32 s14, s14, exec_lo
	s_or_not1_b32 s1, s1, exec_lo
.LBB34_256:
	s_wait_xcnt 0x0
	s_or_b32 exec_lo, exec_lo, s15
	s_mov_b32 s17, 0
	s_mov_b32 s0, 0
                                        ; implicit-def: $vgpr0_vgpr1
                                        ; implicit-def: $vgpr3
	s_and_saveexec_b32 s15, s1
	s_cbranch_execz .LBB34_265
; %bb.257:
	s_mov_b32 s0, -1
	s_mov_b32 s16, s14
	s_mov_b32 s17, s12
	s_mov_b32 s18, exec_lo
	v_cmpx_gt_i32_e64 s13, v4
	s_cbranch_execz .LBB34_522
; %bb.258:
	v_mul_lo_u32 v0, v4, s3
	s_and_b32 s0, 0xffff, s10
	s_delay_alu instid0(SALU_CYCLE_1) | instskip(NEXT) | instid1(VALU_DEP_1)
	s_cmp_lt_i32 s0, 11
	v_ashrrev_i32_e32 v1, 31, v0
	s_delay_alu instid0(VALU_DEP_1)
	v_add_nc_u64_e32 v[0:1], s[6:7], v[0:1]
	s_cbranch_scc1 .LBB34_268
; %bb.259:
	s_cmp_gt_i32 s0, 25
	s_cbranch_scc0 .LBB34_321
; %bb.260:
	s_cmp_gt_i32 s0, 28
	s_cbranch_scc0 .LBB34_322
	;; [unrolled: 3-line block ×4, first 2 shown]
; %bb.263:
	s_cmp_eq_u32 s0, 46
	s_mov_b32 s17, 0
	s_cbranch_scc0 .LBB34_332
; %bb.264:
	s_wait_loadcnt 0x0
	global_load_b32 v2, v[0:1], off
	s_mov_b32 s1, -1
	s_mov_b32 s16, 0
	s_branch .LBB34_334
.LBB34_265:
	s_or_b32 exec_lo, exec_lo, s15
	s_mov_b32 s13, 0
	s_and_saveexec_b32 s1, s14
	s_cbranch_execnz .LBB34_873
.LBB34_266:
	s_or_b32 exec_lo, exec_lo, s1
	s_and_saveexec_b32 s1, s16
	s_delay_alu instid0(SALU_CYCLE_1)
	s_xor_b32 s1, exec_lo, s1
	s_cbranch_execz .LBB34_874
.LBB34_267:
	s_wait_loadcnt 0x0
	global_load_u8 v2, v[0:1], off
	s_or_b32 s0, s0, exec_lo
	s_wait_loadcnt 0x0
	v_cmp_ne_u16_e32 vcc_lo, 0, v2
	v_cndmask_b32_e64 v2, 0, 1.0, vcc_lo
	s_delay_alu instid0(VALU_DEP_1)
	v_lshrrev_b32_e32 v3, 16, v2
	s_wait_xcnt 0x0
	s_or_b32 exec_lo, exec_lo, s1
	s_and_saveexec_b32 s1, s17
	s_cbranch_execz .LBB34_920
	s_branch .LBB34_875
.LBB34_268:
	s_mov_b32 s1, 0
	s_mov_b32 s16, s14
                                        ; implicit-def: $vgpr2
	s_cbranch_execnz .LBB34_471
.LBB34_269:
	s_and_not1_b32 vcc_lo, exec_lo, s1
	s_cbranch_vccnz .LBB34_519
.LBB34_270:
	s_wait_loadcnt 0x0
	s_delay_alu instid0(VALU_DEP_1) | instskip(SKIP_1) | instid1(VALU_DEP_1)
	v_lshlrev_b32_e32 v0, 16, v2
                                        ; implicit-def: $vgpr3
                                        ; implicit-def: $vgpr2
	s_mov_b32 s1, exec_lo
	v_and_b32_e32 v1, 0x7fffffff, v0
	v_cmpx_ngt_f32_e64 0x48000000, |v0|
	s_xor_b32 s17, exec_lo, s1
	s_cbranch_execz .LBB34_272
; %bb.271:
	s_mov_b32 s0, 0x7fffff
	v_mov_b32_e32 v3, 0
	v_and_or_b32 v2, v1, s0, 0x800000
	s_mov_b64 s[0:1], 0xfe5163ab
	v_lshrrev_b32_e32 v5, 23, v1
	s_delay_alu instid0(VALU_DEP_2) | instskip(NEXT) | instid1(VALU_DEP_1)
	v_mul_u64_e32 v[6:7], s[0:1], v[2:3]
	v_dual_mov_b32 v8, v7 :: v_dual_mov_b32 v9, v3
	v_dual_mov_b32 v11, v3 :: v_dual_mov_b32 v13, v3
	v_mov_b32_e32 v15, v3
	s_delay_alu instid0(VALU_DEP_3) | instskip(NEXT) | instid1(VALU_DEP_1)
	v_mad_nc_u64_u32 v[8:9], 0x3c439041, v2, v[8:9]
	v_mov_b32_e32 v10, v9
	s_delay_alu instid0(VALU_DEP_1) | instskip(NEXT) | instid1(VALU_DEP_1)
	v_mad_nc_u64_u32 v[10:11], 0xdb629599, v2, v[10:11]
	v_mov_b32_e32 v12, v11
	s_delay_alu instid0(VALU_DEP_1) | instskip(NEXT) | instid1(VALU_DEP_1)
	;; [unrolled: 3-line block ×3, first 2 shown]
	v_mad_nc_u64_u32 v[14:15], 0xfc2757d1, v2, v[14:15]
	v_dual_mov_b32 v17, v3 :: v_dual_mov_b32 v16, v15
	s_delay_alu instid0(VALU_DEP_1) | instskip(NEXT) | instid1(VALU_DEP_1)
	v_mad_nc_u64_u32 v[16:17], 0x4e441529, v2, v[16:17]
	v_dual_mov_b32 v18, v17 :: v_dual_add_nc_u32 v5, 0xffffff88, v5
	s_delay_alu instid0(VALU_DEP_1) | instskip(SKIP_2) | instid1(VALU_DEP_2)
	v_cmp_lt_u32_e32 vcc_lo, 63, v5
	v_mov_b32_e32 v19, v3
	v_cndmask_b32_e64 v7, 0, 0xffffffc0, vcc_lo
	v_mad_nc_u64_u32 v[2:3], 0xa2f9836e, v2, v[18:19]
	v_dual_cndmask_b32 v9, v16, v12, vcc_lo :: v_dual_cndmask_b32 v11, v14, v10, vcc_lo
	s_delay_alu instid0(VALU_DEP_3) | instskip(NEXT) | instid1(VALU_DEP_1)
	v_dual_cndmask_b32 v6, v10, v6 :: v_dual_add_nc_u32 v5, v7, v5
	v_cmp_lt_u32_e64 s0, 31, v5
	s_delay_alu instid0(VALU_DEP_4) | instskip(NEXT) | instid1(VALU_DEP_2)
	v_dual_cndmask_b32 v2, v2, v14 :: v_dual_cndmask_b32 v3, v3, v16
	v_cndmask_b32_e64 v7, 0, 0xffffffe0, s0
	s_delay_alu instid0(VALU_DEP_1) | instskip(NEXT) | instid1(VALU_DEP_1)
	v_add_nc_u32_e32 v5, v7, v5
	v_cmp_lt_u32_e64 s1, 31, v5
	s_delay_alu instid0(VALU_DEP_1) | instskip(NEXT) | instid1(VALU_DEP_1)
	v_cndmask_b32_e64 v7, 0, 0xffffffe0, s1
	v_dual_add_nc_u32 v5, v7, v5 :: v_dual_cndmask_b32 v7, v12, v8, vcc_lo
	v_dual_cndmask_b32 v8, v2, v9, s0 :: v_dual_cndmask_b32 v2, v3, v2, s0
	s_delay_alu instid0(VALU_DEP_2) | instskip(NEXT) | instid1(VALU_DEP_3)
	v_dual_cndmask_b32 v3, v9, v11, s0 :: v_dual_sub_nc_u32 v9, 32, v5
	v_cndmask_b32_e64 v11, v11, v7, s0
	v_cmp_eq_u32_e32 vcc_lo, 0, v5
	s_delay_alu instid0(VALU_DEP_3) | instskip(SKIP_1) | instid1(VALU_DEP_4)
	v_dual_cndmask_b32 v2, v2, v8, s1 :: v_dual_cndmask_b32 v8, v8, v3, s1
	v_cndmask_b32_e64 v5, v7, v6, s0
	v_cndmask_b32_e64 v3, v3, v11, s1
	s_delay_alu instid0(VALU_DEP_3) | instskip(NEXT) | instid1(VALU_DEP_2)
	v_alignbit_b32 v12, v2, v8, v9
	v_alignbit_b32 v10, v8, v3, v9
	s_delay_alu instid0(VALU_DEP_1) | instskip(NEXT) | instid1(VALU_DEP_1)
	v_dual_cndmask_b32 v2, v12, v2, vcc_lo :: v_dual_cndmask_b32 v6, v10, v8, vcc_lo
	v_bfe_u32 v7, v2, 29, 1
	s_delay_alu instid0(VALU_DEP_2) | instskip(NEXT) | instid1(VALU_DEP_2)
	v_alignbit_b32 v8, v2, v6, 30
	v_dual_sub_nc_u32 v10, 0, v7 :: v_dual_cndmask_b32 v5, v11, v5, s1
	s_delay_alu instid0(VALU_DEP_1) | instskip(NEXT) | instid1(VALU_DEP_2)
	v_xor_b32_e32 v8, v8, v10
	v_alignbit_b32 v9, v3, v5, v9
	s_delay_alu instid0(VALU_DEP_1) | instskip(NEXT) | instid1(VALU_DEP_3)
	v_cndmask_b32_e32 v3, v9, v3, vcc_lo
	v_clz_i32_u32_e32 v9, v8
	s_delay_alu instid0(VALU_DEP_2) | instskip(NEXT) | instid1(VALU_DEP_2)
	v_alignbit_b32 v6, v6, v3, 30
	v_min_u32_e32 v9, 32, v9
	v_alignbit_b32 v3, v3, v5, 30
	s_delay_alu instid0(VALU_DEP_2) | instskip(NEXT) | instid1(VALU_DEP_2)
	v_dual_sub_nc_u32 v6, 31, v9 :: v_dual_bitop2_b32 v5, v6, v10 bitop3:0x14
	v_xor_b32_e32 v3, v3, v10
	v_dual_lshrrev_b32 v10, 29, v2 :: v_dual_lshlrev_b32 v11, 23, v9
	s_delay_alu instid0(VALU_DEP_3) | instskip(NEXT) | instid1(VALU_DEP_3)
	v_alignbit_b32 v8, v8, v5, v6
	v_alignbit_b32 v3, v5, v3, v6
	s_delay_alu instid0(VALU_DEP_3) | instskip(NEXT) | instid1(VALU_DEP_2)
	v_lshlrev_b32_e32 v5, 31, v10
	v_alignbit_b32 v6, v8, v3, 9
	s_delay_alu instid0(VALU_DEP_2) | instskip(NEXT) | instid1(VALU_DEP_2)
	v_dual_lshrrev_b32 v8, 9, v8 :: v_dual_bitop2_b32 v10, 0.5, v5 bitop3:0x54
	v_clz_i32_u32_e32 v12, v6
	s_delay_alu instid0(VALU_DEP_2) | instskip(SKIP_1) | instid1(VALU_DEP_3)
	v_sub_nc_u32_e32 v10, v10, v11
	v_or_b32_e32 v5, 0x33000000, v5
	v_min_u32_e32 v11, 32, v12
	s_delay_alu instid0(VALU_DEP_1) | instskip(NEXT) | instid1(VALU_DEP_4)
	v_add_lshl_u32 v9, v11, v9, 23
	v_or_b32_e32 v8, v8, v10
	v_not_b32_e32 v10, v11
	s_delay_alu instid0(VALU_DEP_3) | instskip(NEXT) | instid1(VALU_DEP_2)
	v_sub_nc_u32_e32 v5, v5, v9
	v_alignbit_b32 v3, v6, v3, v10
	s_delay_alu instid0(VALU_DEP_1) | instskip(NEXT) | instid1(VALU_DEP_1)
	v_dual_mul_f32 v12, 0x3fc90fda, v8 :: v_dual_lshrrev_b32 v3, 9, v3
	v_fma_f32 v6, 0x3fc90fda, v8, -v12
	s_delay_alu instid0(VALU_DEP_2) | instskip(NEXT) | instid1(VALU_DEP_2)
	v_or_b32_e32 v3, v5, v3
	v_fmamk_f32 v6, v8, 0x33a22168, v6
	s_delay_alu instid0(VALU_DEP_1) | instskip(NEXT) | instid1(VALU_DEP_1)
	v_dual_fmac_f32 v6, 0x3fc90fda, v3 :: v_dual_lshrrev_b32 v3, 30, v2
	v_dual_add_f32 v2, v12, v6 :: v_dual_add_nc_u32 v3, v7, v3
.LBB34_272:
	s_and_not1_saveexec_b32 s0, s17
; %bb.273:
	v_mul_f32_e64 v2, 0x3f22f983, |v0|
	s_delay_alu instid0(VALU_DEP_1) | instskip(NEXT) | instid1(VALU_DEP_1)
	v_rndne_f32_e32 v3, v2
	v_fma_f32 v2, 0xbfc90fda, v3, |v0|
	s_delay_alu instid0(VALU_DEP_1) | instskip(NEXT) | instid1(VALU_DEP_1)
	v_fmamk_f32 v2, v3, 0xb3a22168, v2
	v_fmamk_f32 v2, v3, 0xa7c234c4, v2
	v_cvt_i32_f32_e32 v3, v3
; %bb.274:
	s_or_b32 exec_lo, exec_lo, s0
	s_delay_alu instid0(VALU_DEP_1) | instskip(SKIP_3) | instid1(VALU_DEP_1)
	v_dual_mul_f32 v5, v2, v2 :: v_dual_bitop2_b32 v8, 1, v3 bitop3:0x40
	s_mov_b32 s0, 0xb94c1982
	s_mov_b32 s1, 0x37d75334
	s_mov_b32 s19, 0
	v_dual_fmaak_f32 v6, s0, v5, 0x3c0881c4 :: v_dual_lshlrev_b32 v3, 30, v3
	v_cmp_eq_u32_e32 vcc_lo, 0, v8
	s_mov_b32 s17, -1
	s_mov_b32 s0, s12
	s_delay_alu instid0(VALU_DEP_2) | instskip(SKIP_3) | instid1(SALU_CYCLE_1)
	v_fmaak_f32 v6, v5, v6, 0xbe2aaa9d
	v_fmaak_f32 v7, s1, v5, 0xbab64f3b
	v_bitop3_b32 v1, v1, v3, 0x80000000 bitop3:0x78
	s_and_b32 s1, s8, 0xff
	s_cmp_lt_i32 s1, 11
	s_delay_alu instid0(VALU_DEP_2) | instskip(NEXT) | instid1(VALU_DEP_1)
	v_dual_mul_f32 v6, v5, v6 :: v_dual_fmaak_f32 v7, v5, v7, 0x3d2aabf7
	v_dual_fmac_f32 v2, v2, v6 :: v_dual_fmaak_f32 v7, v5, v7, 0xbf000004
	s_delay_alu instid0(VALU_DEP_1) | instskip(NEXT) | instid1(VALU_DEP_1)
	v_fma_f32 v5, v5, v7, 1.0
	v_cndmask_b32_e32 v2, v5, v2, vcc_lo
	v_cmp_class_f32_e64 vcc_lo, v0, 0x1f8
	s_delay_alu instid0(VALU_DEP_2) | instskip(SKIP_1) | instid1(VALU_DEP_2)
	v_xor3_b32 v1, v1, v2, v0
	v_mul_lo_u32 v0, v4, s2
	v_cndmask_b32_e32 v2, 0x7fc00000, v1, vcc_lo
	s_delay_alu instid0(VALU_DEP_1) | instskip(NEXT) | instid1(VALU_DEP_1)
	v_bfe_u32 v1, v2, 16, 1
	v_add3_u32 v3, v2, v1, 0x7fff
	s_delay_alu instid0(VALU_DEP_1) | instskip(SKIP_1) | instid1(VALU_DEP_2)
	v_dual_ashrrev_i32 v1, 31, v0 :: v_dual_lshrrev_b32 v3, 16, v3
	v_cmp_o_f32_e32 vcc_lo, v2, v2
	v_add_nc_u64_e32 v[0:1], s[4:5], v[0:1]
	s_delay_alu instid0(VALU_DEP_3)
	v_cndmask_b32_e32 v2, 0x7fc0, v3, vcc_lo
	s_cbranch_scc1 .LBB34_281
; %bb.275:
	s_and_b32 s17, 0xffff, s1
	s_delay_alu instid0(SALU_CYCLE_1)
	s_cmp_gt_i32 s17, 25
	s_cbranch_scc0 .LBB34_323
; %bb.276:
	s_cmp_gt_i32 s17, 28
	s_cbranch_scc0 .LBB34_325
; %bb.277:
	;; [unrolled: 3-line block ×4, first 2 shown]
	s_mov_b32 s20, 0
	s_mov_b32 s0, -1
	s_cmp_eq_u32 s17, 46
	s_cbranch_scc0 .LBB34_338
; %bb.280:
	v_and_b32_e32 v3, 0xffff, v2
	s_mov_b32 s19, -1
	s_mov_b32 s0, 0
	global_store_b32 v[0:1], v3, off
	s_branch .LBB34_338
.LBB34_281:
	s_and_b32 vcc_lo, exec_lo, s17
	s_cbranch_vccz .LBB34_407
; %bb.282:
	s_and_b32 s1, 0xffff, s1
	s_mov_b32 s17, -1
	s_cmp_lt_i32 s1, 5
	s_cbranch_scc1 .LBB34_303
; %bb.283:
	s_cmp_lt_i32 s1, 8
	s_cbranch_scc1 .LBB34_293
; %bb.284:
	;; [unrolled: 3-line block ×3, first 2 shown]
	s_cmp_gt_i32 s1, 9
	s_cbranch_scc0 .LBB34_287
; %bb.286:
	s_wait_xcnt 0x0
	v_dual_mov_b32 v8, 0 :: v_dual_lshlrev_b32 v3, 16, v2
	s_mov_b32 s17, 0
	s_delay_alu instid0(VALU_DEP_1) | instskip(NEXT) | instid1(VALU_DEP_2)
	v_cvt_f64_f32_e32 v[6:7], v3
	v_mov_b32_e32 v9, v8
	global_store_b128 v[0:1], v[6:9], off
.LBB34_287:
	s_and_not1_b32 vcc_lo, exec_lo, s17
	s_cbranch_vccnz .LBB34_289
; %bb.288:
	s_wait_xcnt 0x0
	v_dual_mov_b32 v7, 0 :: v_dual_lshlrev_b32 v6, 16, v2
	global_store_b64 v[0:1], v[6:7], off
.LBB34_289:
	s_mov_b32 s17, 0
.LBB34_290:
	s_delay_alu instid0(SALU_CYCLE_1)
	s_and_not1_b32 vcc_lo, exec_lo, s17
	s_cbranch_vccnz .LBB34_292
; %bb.291:
	s_wait_xcnt 0x0
	v_lshlrev_b32_e32 v3, 16, v2
	s_delay_alu instid0(VALU_DEP_1) | instskip(NEXT) | instid1(VALU_DEP_1)
	v_cvt_f16_f32_e32 v3, v3
	v_and_b32_e32 v3, 0xffff, v3
	global_store_b32 v[0:1], v3, off
.LBB34_292:
	s_mov_b32 s17, 0
.LBB34_293:
	s_delay_alu instid0(SALU_CYCLE_1)
	s_and_not1_b32 vcc_lo, exec_lo, s17
	s_cbranch_vccnz .LBB34_302
; %bb.294:
	s_cmp_lt_i32 s1, 6
	s_mov_b32 s17, -1
	s_cbranch_scc1 .LBB34_300
; %bb.295:
	s_cmp_gt_i32 s1, 6
	s_cbranch_scc0 .LBB34_297
; %bb.296:
	s_wait_xcnt 0x0
	v_lshlrev_b32_e32 v3, 16, v2
	s_mov_b32 s17, 0
	s_delay_alu instid0(VALU_DEP_1)
	v_cvt_f64_f32_e32 v[6:7], v3
	global_store_b64 v[0:1], v[6:7], off
.LBB34_297:
	s_and_not1_b32 vcc_lo, exec_lo, s17
	s_cbranch_vccnz .LBB34_299
; %bb.298:
	s_wait_xcnt 0x0
	v_lshlrev_b32_e32 v3, 16, v2
	global_store_b32 v[0:1], v3, off
.LBB34_299:
	s_mov_b32 s17, 0
.LBB34_300:
	s_delay_alu instid0(SALU_CYCLE_1)
	s_and_not1_b32 vcc_lo, exec_lo, s17
	s_cbranch_vccnz .LBB34_302
; %bb.301:
	s_wait_xcnt 0x0
	v_lshlrev_b32_e32 v3, 16, v2
	s_delay_alu instid0(VALU_DEP_1)
	v_cvt_f16_f32_e32 v3, v3
	global_store_b16 v[0:1], v3, off
.LBB34_302:
	s_mov_b32 s17, 0
.LBB34_303:
	s_delay_alu instid0(SALU_CYCLE_1)
	s_and_not1_b32 vcc_lo, exec_lo, s17
	s_cbranch_vccnz .LBB34_319
; %bb.304:
	s_cmp_lt_i32 s1, 2
	s_mov_b32 s17, -1
	s_cbranch_scc1 .LBB34_314
; %bb.305:
	s_cmp_lt_i32 s1, 3
	s_cbranch_scc1 .LBB34_311
; %bb.306:
	s_cmp_gt_i32 s1, 3
	s_cbranch_scc0 .LBB34_308
; %bb.307:
	s_wait_xcnt 0x0
	v_lshlrev_b32_e32 v3, 16, v2
	s_mov_b32 s17, 0
	s_delay_alu instid0(VALU_DEP_1) | instskip(NEXT) | instid1(VALU_DEP_1)
	v_trunc_f32_e32 v3, v3
	v_mul_f32_e64 v5, 0x2f800000, |v3|
	v_ashrrev_i32_e32 v6, 31, v3
	s_delay_alu instid0(VALU_DEP_2) | instskip(NEXT) | instid1(VALU_DEP_1)
	v_floor_f32_e32 v5, v5
	v_fma_f32 v7, 0xcf800000, v5, |v3|
	v_cvt_u32_f32_e32 v3, v5
	s_delay_alu instid0(VALU_DEP_2) | instskip(NEXT) | instid1(VALU_DEP_2)
	v_cvt_u32_f32_e32 v5, v7
	v_dual_mov_b32 v7, v6 :: v_dual_bitop2_b32 v9, v3, v6 bitop3:0x14
	s_delay_alu instid0(VALU_DEP_2) | instskip(NEXT) | instid1(VALU_DEP_1)
	v_xor_b32_e32 v8, v5, v6
	v_sub_nc_u64_e32 v[6:7], v[8:9], v[6:7]
	global_store_b64 v[0:1], v[6:7], off
.LBB34_308:
	s_and_not1_b32 vcc_lo, exec_lo, s17
	s_cbranch_vccnz .LBB34_310
; %bb.309:
	s_wait_xcnt 0x0
	v_lshlrev_b32_e32 v3, 16, v2
	s_delay_alu instid0(VALU_DEP_1)
	v_cvt_i32_f32_e32 v3, v3
	global_store_b32 v[0:1], v3, off
.LBB34_310:
	s_mov_b32 s17, 0
.LBB34_311:
	s_delay_alu instid0(SALU_CYCLE_1)
	s_and_not1_b32 vcc_lo, exec_lo, s17
	s_cbranch_vccnz .LBB34_313
; %bb.312:
	s_wait_xcnt 0x0
	v_lshlrev_b32_e32 v3, 16, v2
	s_delay_alu instid0(VALU_DEP_1)
	v_cvt_i32_f32_e32 v3, v3
	global_store_b16 v[0:1], v3, off
.LBB34_313:
	s_mov_b32 s17, 0
.LBB34_314:
	s_delay_alu instid0(SALU_CYCLE_1)
	s_and_not1_b32 vcc_lo, exec_lo, s17
	s_cbranch_vccnz .LBB34_319
; %bb.315:
	s_wait_xcnt 0x0
	v_lshlrev_b32_e32 v2, 16, v2
	s_cmp_gt_i32 s1, 0
	s_mov_b32 s1, -1
	s_cbranch_scc0 .LBB34_317
; %bb.316:
	s_delay_alu instid0(VALU_DEP_1)
	v_cvt_i32_f32_e32 v3, v2
	s_mov_b32 s1, 0
	global_store_b8 v[0:1], v3, off
.LBB34_317:
	s_and_not1_b32 vcc_lo, exec_lo, s1
	s_cbranch_vccnz .LBB34_319
; %bb.318:
	v_trunc_f32_e32 v2, v2
	s_wait_xcnt 0x0
	s_delay_alu instid0(VALU_DEP_1) | instskip(NEXT) | instid1(VALU_DEP_1)
	v_mul_f32_e64 v3, 0x2f800000, |v2|
	v_floor_f32_e32 v3, v3
	s_delay_alu instid0(VALU_DEP_1) | instskip(SKIP_1) | instid1(VALU_DEP_2)
	v_fma_f32 v3, 0xcf800000, v3, |v2|
	v_ashrrev_i32_e32 v2, 31, v2
	v_cvt_u32_f32_e32 v3, v3
	s_delay_alu instid0(VALU_DEP_1) | instskip(NEXT) | instid1(VALU_DEP_1)
	v_xor_b32_e32 v3, v3, v2
	v_sub_nc_u32_e32 v2, v3, v2
	global_store_b8 v[0:1], v2, off
.LBB34_319:
	s_branch .LBB34_408
.LBB34_320:
	s_mov_b32 s1, 0
	s_branch .LBB34_520
.LBB34_321:
	s_mov_b32 s17, -1
	s_mov_b32 s1, 0
	s_mov_b32 s16, s14
                                        ; implicit-def: $vgpr2
	s_branch .LBB34_435
.LBB34_322:
	s_mov_b32 s17, -1
	s_mov_b32 s1, 0
	s_mov_b32 s16, s14
                                        ; implicit-def: $vgpr2
	s_branch .LBB34_416
.LBB34_323:
	s_mov_b32 s20, -1
	s_mov_b32 s0, s12
	s_branch .LBB34_365
.LBB34_324:
	s_mov_b32 s17, -1
	s_mov_b32 s1, 0
	s_mov_b32 s16, s14
                                        ; implicit-def: $vgpr2
	s_branch .LBB34_411
.LBB34_325:
	s_mov_b32 s20, -1
	s_mov_b32 s0, s12
	s_branch .LBB34_348
.LBB34_326:
	s_and_not1_saveexec_b32 s19, s19
	s_cbranch_execz .LBB34_95
.LBB34_327:
	v_add_f32_e64 v5, 0x46000000, |v6|
	s_and_not1_b32 s18, s18, exec_lo
	s_delay_alu instid0(VALU_DEP_1) | instskip(NEXT) | instid1(VALU_DEP_1)
	v_and_b32_e32 v5, 0xff, v5
	v_cmp_ne_u32_e32 vcc_lo, 0, v5
	s_and_b32 s20, vcc_lo, exec_lo
	s_delay_alu instid0(SALU_CYCLE_1)
	s_or_b32 s18, s18, s20
	s_or_b32 exec_lo, exec_lo, s19
	v_mov_b32_e32 v7, 0
	s_and_saveexec_b32 s19, s18
	s_cbranch_execnz .LBB34_96
	s_branch .LBB34_97
.LBB34_328:
	s_mov_b32 s17, -1
	s_mov_b32 s1, 0
	s_mov_b32 s16, s14
	s_branch .LBB34_333
.LBB34_329:
	s_mov_b32 s20, -1
	s_mov_b32 s0, s12
	s_branch .LBB34_344
.LBB34_330:
	s_and_not1_saveexec_b32 s19, s19
	s_cbranch_execz .LBB34_108
.LBB34_331:
	v_add_f32_e64 v5, 0x42800000, |v6|
	s_and_not1_b32 s18, s18, exec_lo
	s_delay_alu instid0(VALU_DEP_1) | instskip(NEXT) | instid1(VALU_DEP_1)
	v_and_b32_e32 v5, 0xff, v5
	v_cmp_ne_u32_e32 vcc_lo, 0, v5
	s_and_b32 s20, vcc_lo, exec_lo
	s_delay_alu instid0(SALU_CYCLE_1)
	s_or_b32 s18, s18, s20
	s_or_b32 exec_lo, exec_lo, s19
	v_mov_b32_e32 v7, 0
	s_and_saveexec_b32 s19, s18
	s_cbranch_execnz .LBB34_109
	s_branch .LBB34_110
.LBB34_332:
	s_mov_b32 s16, -1
	s_mov_b32 s1, 0
.LBB34_333:
                                        ; implicit-def: $vgpr2
.LBB34_334:
	s_and_b32 vcc_lo, exec_lo, s17
	s_cbranch_vccz .LBB34_410
; %bb.335:
	s_cmp_eq_u32 s0, 44
	s_cbranch_scc0 .LBB34_409
; %bb.336:
	s_wait_loadcnt 0x0
	global_load_u8 v2, v[0:1], off
	s_mov_b32 s16, 0
	s_mov_b32 s1, -1
	s_wait_loadcnt 0x0
	v_lshlrev_b32_e32 v3, 23, v2
	v_cmp_ne_u32_e32 vcc_lo, 0xff, v2
	s_delay_alu instid0(VALU_DEP_2) | instskip(SKIP_1) | instid1(VALU_DEP_2)
	v_cndmask_b32_e32 v3, 0x7f800001, v3, vcc_lo
	v_cmp_ne_u32_e32 vcc_lo, 0, v2
	v_cndmask_b32_e32 v2, 0x400000, v3, vcc_lo
	s_delay_alu instid0(VALU_DEP_1) | instskip(NEXT) | instid1(VALU_DEP_1)
	v_add_nc_u32_e32 v3, 0x7fff, v2
	v_lshrrev_b32_e32 v3, 16, v3
	v_cmp_o_f32_e32 vcc_lo, v2, v2
	s_delay_alu instid0(VALU_DEP_2)
	v_cndmask_b32_e32 v2, 0x7fc0, v3, vcc_lo
	s_branch .LBB34_410
.LBB34_337:
	s_mov_b32 s20, -1
	s_mov_b32 s0, s12
.LBB34_338:
	s_and_b32 vcc_lo, exec_lo, s20
	s_cbranch_vccz .LBB34_343
; %bb.339:
	s_cmp_eq_u32 s17, 44
	s_mov_b32 s0, -1
	s_cbranch_scc0 .LBB34_343
; %bb.340:
	s_wait_xcnt 0x0
	v_and_b32_e32 v3, 0xffff, v2
	v_mov_b32_e32 v5, 0xff
	s_mov_b32 s19, exec_lo
	s_delay_alu instid0(VALU_DEP_2) | instskip(NEXT) | instid1(VALU_DEP_1)
	v_bfe_u32 v6, v3, 7, 8
	v_cmpx_ne_u32_e32 0xff, v6
	s_cbranch_execz .LBB34_342
; %bb.341:
	v_dual_lshlrev_b32 v5, 16, v3 :: v_dual_bitop2_b32 v7, 64, v3 bitop3:0x40
	v_lshrrev_b32_e32 v3, 7, v3
	s_delay_alu instid0(VALU_DEP_2) | instskip(NEXT) | instid1(VALU_DEP_3)
	v_and_or_b32 v5, 0x3f0000, v5, v6
	v_cmp_ne_u32_e32 vcc_lo, 0, v7
	s_delay_alu instid0(VALU_DEP_2) | instskip(SKIP_1) | instid1(SALU_CYCLE_1)
	v_cmp_ne_u32_e64 s0, 0, v5
	s_and_b32 s0, vcc_lo, s0
	v_cndmask_b32_e64 v5, 0, 1, s0
	s_delay_alu instid0(VALU_DEP_1)
	v_add_nc_u32_e32 v5, v3, v5
.LBB34_342:
	s_or_b32 exec_lo, exec_lo, s19
	s_mov_b32 s19, -1
	s_mov_b32 s0, 0
	global_store_b8 v[0:1], v5, off
.LBB34_343:
	s_mov_b32 s20, 0
.LBB34_344:
	s_delay_alu instid0(SALU_CYCLE_1)
	s_and_b32 vcc_lo, exec_lo, s20
	s_cbranch_vccz .LBB34_347
; %bb.345:
	s_cmp_eq_u32 s17, 29
	s_mov_b32 s0, -1
	s_cbranch_scc0 .LBB34_347
; %bb.346:
	s_wait_xcnt 0x0
	v_lshlrev_b32_e32 v3, 16, v2
	s_mov_b32 s19, -1
	s_mov_b32 s0, 0
	s_mov_b32 s20, 0
	s_delay_alu instid0(VALU_DEP_1) | instskip(NEXT) | instid1(VALU_DEP_1)
	v_trunc_f32_e32 v3, v3
	v_mul_f32_e32 v5, 0x2f800000, v3
	s_delay_alu instid0(VALU_DEP_1) | instskip(NEXT) | instid1(VALU_DEP_1)
	v_floor_f32_e32 v5, v5
	v_fmamk_f32 v3, v5, 0xcf800000, v3
	v_cvt_u32_f32_e32 v7, v5
	s_delay_alu instid0(VALU_DEP_2)
	v_cvt_u32_f32_e32 v6, v3
	global_store_b64 v[0:1], v[6:7], off
	s_branch .LBB34_348
.LBB34_347:
	s_mov_b32 s20, 0
.LBB34_348:
	s_delay_alu instid0(SALU_CYCLE_1)
	s_and_b32 vcc_lo, exec_lo, s20
	s_cbranch_vccz .LBB34_364
; %bb.349:
	s_cmp_lt_i32 s17, 27
	s_mov_b32 s19, -1
	s_cbranch_scc1 .LBB34_355
; %bb.350:
	s_cmp_gt_i32 s17, 27
	s_cbranch_scc0 .LBB34_352
; %bb.351:
	s_wait_xcnt 0x0
	v_lshlrev_b32_e32 v3, 16, v2
	s_mov_b32 s19, 0
	s_delay_alu instid0(VALU_DEP_1)
	v_cvt_u32_f32_e32 v3, v3
	global_store_b32 v[0:1], v3, off
.LBB34_352:
	s_and_not1_b32 vcc_lo, exec_lo, s19
	s_cbranch_vccnz .LBB34_354
; %bb.353:
	s_wait_xcnt 0x0
	v_lshlrev_b32_e32 v3, 16, v2
	s_delay_alu instid0(VALU_DEP_1)
	v_cvt_u32_f32_e32 v3, v3
	global_store_b16 v[0:1], v3, off
.LBB34_354:
	s_mov_b32 s19, 0
.LBB34_355:
	s_delay_alu instid0(SALU_CYCLE_1)
	s_and_not1_b32 vcc_lo, exec_lo, s19
	s_cbranch_vccnz .LBB34_363
; %bb.356:
	s_wait_xcnt 0x0
	v_dual_mov_b32 v7, 0x80 :: v_dual_lshlrev_b32 v6, 16, v2
	s_mov_b32 s19, exec_lo
	s_delay_alu instid0(VALU_DEP_1) | instskip(NEXT) | instid1(VALU_DEP_1)
	v_and_b32_e32 v5, 0x7fffffff, v6
	v_cmpx_gt_u32_e32 0x43800000, v5
	s_cbranch_execz .LBB34_362
; %bb.357:
	v_and_b32_e32 v3, 0xffff, v2
	v_cmp_lt_u32_e32 vcc_lo, 0x3bffffff, v5
	s_mov_b32 s20, 0
                                        ; implicit-def: $vgpr5
	s_and_saveexec_b32 s21, vcc_lo
	s_delay_alu instid0(SALU_CYCLE_1)
	s_xor_b32 s21, exec_lo, s21
	s_cbranch_execz .LBB34_535
; %bb.358:
	v_bfe_u32 v5, v3, 4, 1
	s_mov_b32 s20, exec_lo
	s_delay_alu instid0(VALU_DEP_1) | instskip(NEXT) | instid1(VALU_DEP_1)
	v_add3_u32 v5, v6, v5, 0x487ffff
                                        ; implicit-def: $vgpr6
	v_lshrrev_b32_e32 v5, 20, v5
	s_and_not1_saveexec_b32 s21, s21
	s_cbranch_execnz .LBB34_536
.LBB34_359:
	s_or_b32 exec_lo, exec_lo, s21
	v_mov_b32_e32 v7, 0
	s_and_saveexec_b32 s21, s20
.LBB34_360:
	v_lshrrev_b32_e32 v3, 8, v3
	s_delay_alu instid0(VALU_DEP_1)
	v_and_or_b32 v7, 0x80, v3, v5
.LBB34_361:
	s_or_b32 exec_lo, exec_lo, s21
.LBB34_362:
	s_delay_alu instid0(SALU_CYCLE_1)
	s_or_b32 exec_lo, exec_lo, s19
	global_store_b8 v[0:1], v7, off
.LBB34_363:
	s_mov_b32 s19, -1
.LBB34_364:
	s_mov_b32 s20, 0
.LBB34_365:
	s_delay_alu instid0(SALU_CYCLE_1)
	s_and_b32 vcc_lo, exec_lo, s20
	s_cbranch_vccz .LBB34_406
; %bb.366:
	s_cmp_gt_i32 s17, 22
	s_mov_b32 s20, -1
	s_cbranch_scc0 .LBB34_398
; %bb.367:
	s_cmp_lt_i32 s17, 24
	s_mov_b32 s19, -1
	s_cbranch_scc1 .LBB34_387
; %bb.368:
	s_cmp_gt_i32 s17, 24
	s_cbranch_scc0 .LBB34_376
; %bb.369:
	s_wait_xcnt 0x0
	v_dual_mov_b32 v7, 0x80 :: v_dual_lshlrev_b32 v6, 16, v2
	s_mov_b32 s19, exec_lo
	s_delay_alu instid0(VALU_DEP_1) | instskip(NEXT) | instid1(VALU_DEP_1)
	v_and_b32_e32 v5, 0x7fffffff, v6
	v_cmpx_gt_u32_e32 0x47800000, v5
	s_cbranch_execz .LBB34_375
; %bb.370:
	v_and_b32_e32 v3, 0xffff, v2
	v_cmp_lt_u32_e32 vcc_lo, 0x37ffffff, v5
	s_mov_b32 s20, 0
                                        ; implicit-def: $vgpr5
	s_and_saveexec_b32 s21, vcc_lo
	s_delay_alu instid0(SALU_CYCLE_1)
	s_xor_b32 s21, exec_lo, s21
	s_cbranch_execz .LBB34_538
; %bb.371:
	v_bfe_u32 v5, v3, 5, 1
	s_mov_b32 s20, exec_lo
	s_delay_alu instid0(VALU_DEP_1) | instskip(NEXT) | instid1(VALU_DEP_1)
	v_add3_u32 v5, v6, v5, 0x88fffff
                                        ; implicit-def: $vgpr6
	v_lshrrev_b32_e32 v5, 21, v5
	s_and_not1_saveexec_b32 s21, s21
	s_cbranch_execnz .LBB34_539
.LBB34_372:
	s_or_b32 exec_lo, exec_lo, s21
	v_mov_b32_e32 v7, 0
	s_and_saveexec_b32 s21, s20
.LBB34_373:
	v_lshrrev_b32_e32 v3, 8, v3
	s_delay_alu instid0(VALU_DEP_1)
	v_and_or_b32 v7, 0x80, v3, v5
.LBB34_374:
	s_or_b32 exec_lo, exec_lo, s21
.LBB34_375:
	s_delay_alu instid0(SALU_CYCLE_1)
	s_or_b32 exec_lo, exec_lo, s19
	s_mov_b32 s19, 0
	global_store_b8 v[0:1], v7, off
.LBB34_376:
	s_and_b32 vcc_lo, exec_lo, s19
	s_cbranch_vccz .LBB34_386
; %bb.377:
	s_wait_xcnt 0x0
	v_lshlrev_b32_e32 v6, 16, v2
	v_and_b32_e32 v3, 0xffff, v2
	s_mov_b32 s19, exec_lo
                                        ; implicit-def: $vgpr5
	s_delay_alu instid0(VALU_DEP_2) | instskip(NEXT) | instid1(VALU_DEP_1)
	v_and_b32_e32 v7, 0x7fffffff, v6
	v_cmpx_gt_u32_e32 0x43f00000, v7
	s_xor_b32 s19, exec_lo, s19
	s_cbranch_execz .LBB34_383
; %bb.378:
	s_mov_b32 s20, exec_lo
                                        ; implicit-def: $vgpr5
	v_cmpx_lt_u32_e32 0x3c7fffff, v7
	s_xor_b32 s20, exec_lo, s20
; %bb.379:
	v_bfe_u32 v5, v3, 4, 1
	s_delay_alu instid0(VALU_DEP_1) | instskip(NEXT) | instid1(VALU_DEP_1)
	v_add3_u32 v5, v6, v5, 0x407ffff
	v_and_b32_e32 v6, 0xff00000, v5
	v_lshrrev_b32_e32 v5, 20, v5
	s_delay_alu instid0(VALU_DEP_2) | instskip(NEXT) | instid1(VALU_DEP_2)
	v_cmp_ne_u32_e32 vcc_lo, 0x7f00000, v6
                                        ; implicit-def: $vgpr6
	v_cndmask_b32_e32 v5, 0x7e, v5, vcc_lo
; %bb.380:
	s_and_not1_saveexec_b32 s20, s20
; %bb.381:
	v_add_f32_e64 v5, 0x46800000, |v6|
; %bb.382:
	s_or_b32 exec_lo, exec_lo, s20
                                        ; implicit-def: $vgpr7
.LBB34_383:
	s_and_not1_saveexec_b32 s19, s19
; %bb.384:
	v_mov_b32_e32 v5, 0x7f
	v_cmp_lt_u32_e32 vcc_lo, 0x7f800000, v7
	s_delay_alu instid0(VALU_DEP_2)
	v_cndmask_b32_e32 v5, 0x7e, v5, vcc_lo
; %bb.385:
	s_or_b32 exec_lo, exec_lo, s19
	v_lshrrev_b32_e32 v3, 8, v3
	s_delay_alu instid0(VALU_DEP_1)
	v_and_or_b32 v3, 0x80, v3, v5
	global_store_b8 v[0:1], v3, off
.LBB34_386:
	s_mov_b32 s19, 0
.LBB34_387:
	s_delay_alu instid0(SALU_CYCLE_1)
	s_and_not1_b32 vcc_lo, exec_lo, s19
	s_cbranch_vccnz .LBB34_397
; %bb.388:
	s_wait_xcnt 0x0
	v_lshlrev_b32_e32 v6, 16, v2
	v_and_b32_e32 v3, 0xffff, v2
	s_mov_b32 s19, exec_lo
                                        ; implicit-def: $vgpr5
	s_delay_alu instid0(VALU_DEP_2) | instskip(NEXT) | instid1(VALU_DEP_1)
	v_and_b32_e32 v7, 0x7fffffff, v6
	v_cmpx_gt_u32_e32 0x47800000, v7
	s_xor_b32 s19, exec_lo, s19
	s_cbranch_execz .LBB34_394
; %bb.389:
	s_mov_b32 s20, exec_lo
                                        ; implicit-def: $vgpr5
	v_cmpx_lt_u32_e32 0x387fffff, v7
	s_xor_b32 s20, exec_lo, s20
; %bb.390:
	v_bfe_u32 v5, v3, 5, 1
	s_delay_alu instid0(VALU_DEP_1) | instskip(NEXT) | instid1(VALU_DEP_1)
	v_add3_u32 v5, v6, v5, 0x80fffff
                                        ; implicit-def: $vgpr6
	v_lshrrev_b32_e32 v5, 21, v5
; %bb.391:
	s_and_not1_saveexec_b32 s20, s20
; %bb.392:
	v_add_f32_e64 v5, 0x43000000, |v6|
; %bb.393:
	s_or_b32 exec_lo, exec_lo, s20
                                        ; implicit-def: $vgpr7
.LBB34_394:
	s_and_not1_saveexec_b32 s19, s19
; %bb.395:
	v_mov_b32_e32 v5, 0x7f
	v_cmp_lt_u32_e32 vcc_lo, 0x7f800000, v7
	s_delay_alu instid0(VALU_DEP_2)
	v_cndmask_b32_e32 v5, 0x7c, v5, vcc_lo
; %bb.396:
	s_or_b32 exec_lo, exec_lo, s19
	v_lshrrev_b32_e32 v3, 8, v3
	s_delay_alu instid0(VALU_DEP_1)
	v_and_or_b32 v3, 0x80, v3, v5
	global_store_b8 v[0:1], v3, off
.LBB34_397:
	s_mov_b32 s20, 0
	s_mov_b32 s19, -1
.LBB34_398:
	s_and_not1_b32 vcc_lo, exec_lo, s20
	s_cbranch_vccnz .LBB34_406
; %bb.399:
	s_cmp_gt_i32 s17, 14
	s_mov_b32 s20, -1
	s_cbranch_scc0 .LBB34_403
; %bb.400:
	s_cmp_eq_u32 s17, 15
	s_mov_b32 s0, -1
	s_cbranch_scc0 .LBB34_402
; %bb.401:
	s_mov_b32 s19, -1
	s_mov_b32 s0, 0
	global_store_b16 v[0:1], v2, off
.LBB34_402:
	s_mov_b32 s20, 0
.LBB34_403:
	s_delay_alu instid0(SALU_CYCLE_1)
	s_and_b32 vcc_lo, exec_lo, s20
	s_cbranch_vccz .LBB34_406
; %bb.404:
	s_cmp_eq_u32 s17, 11
	s_mov_b32 s0, -1
	s_cbranch_scc0 .LBB34_406
; %bb.405:
	s_wait_xcnt 0x0
	v_and_b32_e32 v3, 0x7fff, v2
	s_mov_b32 s0, 0
	s_mov_b32 s19, -1
	s_delay_alu instid0(VALU_DEP_1)
	v_cmp_ne_u16_e32 vcc_lo, 0, v3
	v_cndmask_b32_e64 v3, 0, 1, vcc_lo
	global_store_b8 v[0:1], v3, off
.LBB34_406:
.LBB34_407:
	s_and_not1_b32 vcc_lo, exec_lo, s19
	s_cbranch_vccnz .LBB34_320
.LBB34_408:
	v_add_nc_u32_e32 v4, 0x80, v4
	s_mov_b32 s1, -1
	s_branch .LBB34_521
.LBB34_409:
	s_mov_b32 s16, -1
                                        ; implicit-def: $vgpr2
.LBB34_410:
	s_mov_b32 s17, 0
.LBB34_411:
	s_delay_alu instid0(SALU_CYCLE_1)
	s_and_b32 vcc_lo, exec_lo, s17
	s_cbranch_vccz .LBB34_415
; %bb.412:
	s_cmp_eq_u32 s0, 29
	s_cbranch_scc0 .LBB34_414
; %bb.413:
	s_wait_loadcnt 0x0
	global_load_b64 v[2:3], v[0:1], off
	s_mov_b32 s1, -1
	s_mov_b32 s16, 0
	s_mov_b32 s17, 0
	s_wait_loadcnt 0x0
	v_clz_i32_u32_e32 v5, v3
	s_delay_alu instid0(VALU_DEP_1) | instskip(NEXT) | instid1(VALU_DEP_1)
	v_min_u32_e32 v5, 32, v5
	v_lshlrev_b64_e32 v[2:3], v5, v[2:3]
	s_delay_alu instid0(VALU_DEP_1) | instskip(NEXT) | instid1(VALU_DEP_1)
	v_min_u32_e32 v2, 1, v2
	v_dual_sub_nc_u32 v3, 32, v5 :: v_dual_bitop2_b32 v2, v3, v2 bitop3:0x54
	s_delay_alu instid0(VALU_DEP_1) | instskip(NEXT) | instid1(VALU_DEP_1)
	v_cvt_f32_u32_e32 v2, v2
	v_ldexp_f32 v2, v2, v3
	s_delay_alu instid0(VALU_DEP_1) | instskip(NEXT) | instid1(VALU_DEP_1)
	v_bfe_u32 v3, v2, 16, 1
	v_add3_u32 v2, v2, v3, 0x7fff
	s_delay_alu instid0(VALU_DEP_1)
	v_lshrrev_b32_e32 v2, 16, v2
	s_branch .LBB34_416
.LBB34_414:
	s_mov_b32 s16, -1
                                        ; implicit-def: $vgpr2
.LBB34_415:
	s_mov_b32 s17, 0
.LBB34_416:
	s_delay_alu instid0(SALU_CYCLE_1)
	s_and_b32 vcc_lo, exec_lo, s17
	s_cbranch_vccz .LBB34_434
; %bb.417:
	s_cmp_lt_i32 s0, 27
	s_cbranch_scc1 .LBB34_420
; %bb.418:
	s_cmp_gt_i32 s0, 27
	s_cbranch_scc0 .LBB34_421
; %bb.419:
	s_wait_loadcnt 0x0
	global_load_b32 v2, v[0:1], off
	s_mov_b32 s1, 0
	s_wait_loadcnt 0x0
	v_cvt_f32_u32_e32 v2, v2
	s_delay_alu instid0(VALU_DEP_1) | instskip(NEXT) | instid1(VALU_DEP_1)
	v_bfe_u32 v3, v2, 16, 1
	v_add3_u32 v2, v2, v3, 0x7fff
	s_delay_alu instid0(VALU_DEP_1)
	v_lshrrev_b32_e32 v2, 16, v2
	s_branch .LBB34_422
.LBB34_420:
	s_mov_b32 s1, -1
                                        ; implicit-def: $vgpr2
	s_branch .LBB34_425
.LBB34_421:
	s_mov_b32 s1, -1
                                        ; implicit-def: $vgpr2
.LBB34_422:
	s_delay_alu instid0(SALU_CYCLE_1)
	s_and_not1_b32 vcc_lo, exec_lo, s1
	s_cbranch_vccnz .LBB34_424
; %bb.423:
	s_wait_loadcnt 0x0
	global_load_u16 v2, v[0:1], off
	s_wait_loadcnt 0x0
	v_cvt_f32_u32_e32 v2, v2
	s_delay_alu instid0(VALU_DEP_1) | instskip(NEXT) | instid1(VALU_DEP_1)
	v_bfe_u32 v3, v2, 16, 1
	v_add3_u32 v2, v2, v3, 0x7fff
	s_delay_alu instid0(VALU_DEP_1)
	v_lshrrev_b32_e32 v2, 16, v2
.LBB34_424:
	s_mov_b32 s1, 0
.LBB34_425:
	s_delay_alu instid0(SALU_CYCLE_1)
	s_and_not1_b32 vcc_lo, exec_lo, s1
	s_cbranch_vccnz .LBB34_433
; %bb.426:
	s_wait_loadcnt 0x0
	global_load_u8 v2, v[0:1], off
	s_mov_b32 s1, 0
	s_mov_b32 s17, exec_lo
	s_wait_loadcnt 0x0
	v_cmpx_lt_i16_e32 0x7f, v2
	s_xor_b32 s17, exec_lo, s17
	s_cbranch_execz .LBB34_447
; %bb.427:
	s_mov_b32 s1, -1
	s_mov_b32 s19, exec_lo
	v_cmpx_eq_u16_e32 0x80, v2
; %bb.428:
	s_xor_b32 s1, exec_lo, -1
; %bb.429:
	s_or_b32 exec_lo, exec_lo, s19
	s_delay_alu instid0(SALU_CYCLE_1)
	s_and_b32 s1, s1, exec_lo
	s_or_saveexec_b32 s17, s17
	v_mov_b32_e32 v3, 0x7f800001
	s_xor_b32 exec_lo, exec_lo, s17
	s_cbranch_execnz .LBB34_448
.LBB34_430:
	s_or_b32 exec_lo, exec_lo, s17
	s_and_saveexec_b32 s17, s1
	s_cbranch_execz .LBB34_432
.LBB34_431:
	v_and_b32_e32 v3, 0xffff, v2
	s_delay_alu instid0(VALU_DEP_1) | instskip(SKIP_1) | instid1(VALU_DEP_2)
	v_and_b32_e32 v5, 7, v3
	v_bfe_u32 v8, v3, 3, 4
	v_clz_i32_u32_e32 v6, v5
	s_delay_alu instid0(VALU_DEP_2) | instskip(NEXT) | instid1(VALU_DEP_2)
	v_cmp_eq_u32_e32 vcc_lo, 0, v8
	v_min_u32_e32 v6, 32, v6
	s_delay_alu instid0(VALU_DEP_1) | instskip(NEXT) | instid1(VALU_DEP_1)
	v_subrev_nc_u32_e32 v7, 28, v6
	v_dual_lshlrev_b32 v3, v7, v3 :: v_dual_sub_nc_u32 v6, 29, v6
	s_delay_alu instid0(VALU_DEP_1) | instskip(NEXT) | instid1(VALU_DEP_1)
	v_dual_lshlrev_b32 v2, 24, v2 :: v_dual_bitop2_b32 v3, 7, v3 bitop3:0x40
	v_dual_cndmask_b32 v3, v5, v3 :: v_dual_cndmask_b32 v6, v8, v6
	s_delay_alu instid0(VALU_DEP_2) | instskip(NEXT) | instid1(VALU_DEP_2)
	v_and_b32_e32 v2, 0x80000000, v2
	v_lshlrev_b32_e32 v3, 20, v3
	s_delay_alu instid0(VALU_DEP_3) | instskip(NEXT) | instid1(VALU_DEP_1)
	v_lshl_add_u32 v5, v6, 23, 0x3b800000
	v_or3_b32 v3, v2, v5, v3
.LBB34_432:
	s_or_b32 exec_lo, exec_lo, s17
	s_delay_alu instid0(VALU_DEP_1) | instskip(SKIP_1) | instid1(VALU_DEP_2)
	v_bfe_u32 v2, v3, 16, 1
	v_cmp_o_f32_e32 vcc_lo, v3, v3
	v_add3_u32 v2, v3, v2, 0x7fff
	s_delay_alu instid0(VALU_DEP_1) | instskip(NEXT) | instid1(VALU_DEP_1)
	v_lshrrev_b32_e32 v2, 16, v2
	v_cndmask_b32_e32 v2, 0x7fc0, v2, vcc_lo
.LBB34_433:
	s_mov_b32 s1, -1
.LBB34_434:
	s_mov_b32 s17, 0
.LBB34_435:
	s_delay_alu instid0(SALU_CYCLE_1)
	s_and_b32 vcc_lo, exec_lo, s17
	s_cbranch_vccz .LBB34_470
; %bb.436:
	s_cmp_gt_i32 s0, 22
	s_cbranch_scc0 .LBB34_446
; %bb.437:
	s_cmp_lt_i32 s0, 24
	s_cbranch_scc1 .LBB34_449
; %bb.438:
	s_cmp_gt_i32 s0, 24
	s_cbranch_scc0 .LBB34_450
; %bb.439:
	s_wait_loadcnt 0x0
	global_load_u8 v2, v[0:1], off
	s_mov_b32 s1, 0
	s_mov_b32 s17, exec_lo
	s_wait_loadcnt 0x0
	v_cmpx_lt_i16_e32 0x7f, v2
	s_xor_b32 s17, exec_lo, s17
	s_cbranch_execz .LBB34_462
; %bb.440:
	s_mov_b32 s1, -1
	s_mov_b32 s19, exec_lo
	v_cmpx_eq_u16_e32 0x80, v2
; %bb.441:
	s_xor_b32 s1, exec_lo, -1
; %bb.442:
	s_or_b32 exec_lo, exec_lo, s19
	s_delay_alu instid0(SALU_CYCLE_1)
	s_and_b32 s1, s1, exec_lo
	s_or_saveexec_b32 s17, s17
	v_mov_b32_e32 v3, 0x7f800001
	s_xor_b32 exec_lo, exec_lo, s17
	s_cbranch_execnz .LBB34_463
.LBB34_443:
	s_or_b32 exec_lo, exec_lo, s17
	s_and_saveexec_b32 s17, s1
	s_cbranch_execz .LBB34_445
.LBB34_444:
	v_and_b32_e32 v3, 0xffff, v2
	s_delay_alu instid0(VALU_DEP_1) | instskip(SKIP_1) | instid1(VALU_DEP_2)
	v_and_b32_e32 v5, 3, v3
	v_bfe_u32 v8, v3, 2, 5
	v_clz_i32_u32_e32 v6, v5
	s_delay_alu instid0(VALU_DEP_2) | instskip(NEXT) | instid1(VALU_DEP_2)
	v_cmp_eq_u32_e32 vcc_lo, 0, v8
	v_min_u32_e32 v6, 32, v6
	s_delay_alu instid0(VALU_DEP_1) | instskip(NEXT) | instid1(VALU_DEP_1)
	v_subrev_nc_u32_e32 v7, 29, v6
	v_dual_lshlrev_b32 v3, v7, v3 :: v_dual_sub_nc_u32 v6, 30, v6
	s_delay_alu instid0(VALU_DEP_1) | instskip(NEXT) | instid1(VALU_DEP_1)
	v_dual_lshlrev_b32 v2, 24, v2 :: v_dual_bitop2_b32 v3, 3, v3 bitop3:0x40
	v_dual_cndmask_b32 v3, v5, v3 :: v_dual_cndmask_b32 v6, v8, v6
	s_delay_alu instid0(VALU_DEP_2) | instskip(NEXT) | instid1(VALU_DEP_2)
	v_and_b32_e32 v2, 0x80000000, v2
	v_lshlrev_b32_e32 v3, 21, v3
	s_delay_alu instid0(VALU_DEP_3) | instskip(NEXT) | instid1(VALU_DEP_1)
	v_lshl_add_u32 v5, v6, 23, 0x37800000
	v_or3_b32 v3, v2, v5, v3
.LBB34_445:
	s_or_b32 exec_lo, exec_lo, s17
	s_delay_alu instid0(VALU_DEP_1) | instskip(SKIP_2) | instid1(VALU_DEP_2)
	v_bfe_u32 v2, v3, 16, 1
	v_cmp_o_f32_e32 vcc_lo, v3, v3
	s_mov_b32 s1, 0
	v_add3_u32 v2, v3, v2, 0x7fff
	s_delay_alu instid0(VALU_DEP_1) | instskip(NEXT) | instid1(VALU_DEP_1)
	v_lshrrev_b32_e32 v2, 16, v2
	v_cndmask_b32_e32 v2, 0x7fc0, v2, vcc_lo
	s_branch .LBB34_451
.LBB34_446:
	s_mov_b32 s17, -1
                                        ; implicit-def: $vgpr2
	s_branch .LBB34_457
.LBB34_447:
	s_or_saveexec_b32 s17, s17
	v_mov_b32_e32 v3, 0x7f800001
	s_xor_b32 exec_lo, exec_lo, s17
	s_cbranch_execz .LBB34_430
.LBB34_448:
	v_cmp_ne_u16_e32 vcc_lo, 0, v2
	v_mov_b32_e32 v3, 0
	s_and_not1_b32 s1, s1, exec_lo
	s_and_b32 s19, vcc_lo, exec_lo
	s_delay_alu instid0(SALU_CYCLE_1)
	s_or_b32 s1, s1, s19
	s_or_b32 exec_lo, exec_lo, s17
	s_and_saveexec_b32 s17, s1
	s_cbranch_execnz .LBB34_431
	s_branch .LBB34_432
.LBB34_449:
	s_mov_b32 s1, -1
                                        ; implicit-def: $vgpr2
	s_branch .LBB34_454
.LBB34_450:
	s_mov_b32 s1, -1
                                        ; implicit-def: $vgpr2
.LBB34_451:
	s_delay_alu instid0(SALU_CYCLE_1)
	s_and_b32 vcc_lo, exec_lo, s1
	s_cbranch_vccz .LBB34_453
; %bb.452:
	s_wait_loadcnt 0x0
	global_load_u8 v2, v[0:1], off
	s_wait_loadcnt 0x0
	v_lshlrev_b32_e32 v2, 24, v2
	s_delay_alu instid0(VALU_DEP_1) | instskip(NEXT) | instid1(VALU_DEP_1)
	v_and_b32_e32 v3, 0x7f000000, v2
	v_clz_i32_u32_e32 v5, v3
	v_add_nc_u32_e32 v7, 0x1000000, v3
	v_cmp_ne_u32_e32 vcc_lo, 0, v3
	s_delay_alu instid0(VALU_DEP_3) | instskip(NEXT) | instid1(VALU_DEP_1)
	v_min_u32_e32 v5, 32, v5
	v_sub_nc_u32_e64 v5, v5, 4 clamp
	s_delay_alu instid0(VALU_DEP_1) | instskip(NEXT) | instid1(VALU_DEP_1)
	v_dual_lshlrev_b32 v6, v5, v3 :: v_dual_lshlrev_b32 v5, 23, v5
	v_lshrrev_b32_e32 v6, 4, v6
	s_delay_alu instid0(VALU_DEP_1) | instskip(NEXT) | instid1(VALU_DEP_1)
	v_dual_sub_nc_u32 v5, v6, v5 :: v_dual_ashrrev_i32 v6, 8, v7
	v_add_nc_u32_e32 v5, 0x3c000000, v5
	s_delay_alu instid0(VALU_DEP_1) | instskip(NEXT) | instid1(VALU_DEP_1)
	v_and_or_b32 v5, 0x7f800000, v6, v5
	v_cndmask_b32_e32 v3, 0, v5, vcc_lo
	s_delay_alu instid0(VALU_DEP_1) | instskip(SKIP_1) | instid1(VALU_DEP_2)
	v_and_or_b32 v2, 0x80000000, v2, v3
	v_bfe_u32 v3, v3, 16, 1
	v_cmp_o_f32_e32 vcc_lo, v2, v2
	s_delay_alu instid0(VALU_DEP_2) | instskip(NEXT) | instid1(VALU_DEP_1)
	v_add3_u32 v3, v2, v3, 0x7fff
	v_lshrrev_b32_e32 v3, 16, v3
	s_delay_alu instid0(VALU_DEP_1)
	v_cndmask_b32_e32 v2, 0x7fc0, v3, vcc_lo
.LBB34_453:
	s_mov_b32 s1, 0
.LBB34_454:
	s_delay_alu instid0(SALU_CYCLE_1)
	s_and_not1_b32 vcc_lo, exec_lo, s1
	s_cbranch_vccnz .LBB34_456
; %bb.455:
	s_wait_loadcnt 0x0
	global_load_u8 v2, v[0:1], off
	s_wait_loadcnt 0x0
	v_lshlrev_b32_e32 v3, 25, v2
	v_lshlrev_b16 v2, 8, v2
	s_delay_alu instid0(VALU_DEP_2) | instskip(NEXT) | instid1(VALU_DEP_2)
	v_cmp_gt_u32_e32 vcc_lo, 0x8000000, v3
	v_and_or_b32 v6, 0x7f00, v2, 0.5
	v_lshrrev_b32_e32 v5, 4, v3
	v_bfe_i32 v2, v2, 0, 16
	s_delay_alu instid0(VALU_DEP_3) | instskip(NEXT) | instid1(VALU_DEP_3)
	v_add_f32_e32 v6, -0.5, v6
	v_or_b32_e32 v5, 0x70000000, v5
	s_delay_alu instid0(VALU_DEP_1) | instskip(NEXT) | instid1(VALU_DEP_1)
	v_mul_f32_e32 v5, 0x7800000, v5
	v_cndmask_b32_e32 v3, v5, v6, vcc_lo
	s_delay_alu instid0(VALU_DEP_1) | instskip(SKIP_1) | instid1(VALU_DEP_2)
	v_and_or_b32 v2, 0x80000000, v2, v3
	v_bfe_u32 v3, v3, 16, 1
	v_cmp_o_f32_e32 vcc_lo, v2, v2
	s_delay_alu instid0(VALU_DEP_2) | instskip(NEXT) | instid1(VALU_DEP_1)
	v_add3_u32 v3, v2, v3, 0x7fff
	v_lshrrev_b32_e32 v3, 16, v3
	s_delay_alu instid0(VALU_DEP_1)
	v_cndmask_b32_e32 v2, 0x7fc0, v3, vcc_lo
.LBB34_456:
	s_mov_b32 s17, 0
	s_mov_b32 s1, -1
.LBB34_457:
	s_and_not1_b32 vcc_lo, exec_lo, s17
	s_cbranch_vccnz .LBB34_470
; %bb.458:
	s_cmp_gt_i32 s0, 14
	s_cbranch_scc0 .LBB34_461
; %bb.459:
	s_cmp_eq_u32 s0, 15
	s_cbranch_scc0 .LBB34_464
; %bb.460:
	s_wait_loadcnt 0x0
	global_load_u16 v2, v[0:1], off
	s_mov_b32 s1, -1
	s_mov_b32 s16, 0
	s_branch .LBB34_465
.LBB34_461:
	s_mov_b32 s17, -1
                                        ; implicit-def: $vgpr2
	s_branch .LBB34_466
.LBB34_462:
	s_or_saveexec_b32 s17, s17
	v_mov_b32_e32 v3, 0x7f800001
	s_xor_b32 exec_lo, exec_lo, s17
	s_cbranch_execz .LBB34_443
.LBB34_463:
	v_cmp_ne_u16_e32 vcc_lo, 0, v2
	v_mov_b32_e32 v3, 0
	s_and_not1_b32 s1, s1, exec_lo
	s_and_b32 s19, vcc_lo, exec_lo
	s_delay_alu instid0(SALU_CYCLE_1)
	s_or_b32 s1, s1, s19
	s_or_b32 exec_lo, exec_lo, s17
	s_and_saveexec_b32 s17, s1
	s_cbranch_execnz .LBB34_444
	s_branch .LBB34_445
.LBB34_464:
	s_mov_b32 s16, -1
                                        ; implicit-def: $vgpr2
.LBB34_465:
	s_mov_b32 s17, 0
.LBB34_466:
	s_delay_alu instid0(SALU_CYCLE_1)
	s_and_b32 vcc_lo, exec_lo, s17
	s_cbranch_vccz .LBB34_470
; %bb.467:
	s_cmp_eq_u32 s0, 11
	s_cbranch_scc0 .LBB34_469
; %bb.468:
	s_wait_loadcnt 0x0
	global_load_u8 v2, v[0:1], off
	s_mov_b32 s16, 0
	s_mov_b32 s1, -1
	s_wait_loadcnt 0x0
	v_cmp_ne_u16_e32 vcc_lo, 0, v2
	v_cndmask_b32_e64 v2, 0, 1.0, vcc_lo
	s_delay_alu instid0(VALU_DEP_1)
	v_lshrrev_b32_e32 v2, 16, v2
	s_branch .LBB34_470
.LBB34_469:
	s_mov_b32 s16, -1
                                        ; implicit-def: $vgpr2
.LBB34_470:
	s_branch .LBB34_269
.LBB34_471:
	s_cmp_lt_i32 s0, 5
	s_cbranch_scc1 .LBB34_476
; %bb.472:
	s_cmp_lt_i32 s0, 8
	s_cbranch_scc1 .LBB34_477
; %bb.473:
	;; [unrolled: 3-line block ×3, first 2 shown]
	s_cmp_gt_i32 s0, 9
	s_cbranch_scc0 .LBB34_479
; %bb.475:
	s_wait_loadcnt 0x0
	global_load_b64 v[2:3], v[0:1], off
	s_mov_b32 s1, 0
	s_wait_loadcnt 0x0
	v_cvt_f32_f64_e32 v2, v[2:3]
	s_delay_alu instid0(VALU_DEP_1) | instskip(SKIP_1) | instid1(VALU_DEP_2)
	v_bfe_u32 v3, v2, 16, 1
	v_cmp_o_f32_e32 vcc_lo, v2, v2
	v_add3_u32 v3, v2, v3, 0x7fff
	s_delay_alu instid0(VALU_DEP_1) | instskip(NEXT) | instid1(VALU_DEP_1)
	v_lshrrev_b32_e32 v3, 16, v3
	v_cndmask_b32_e32 v2, 0x7fc0, v3, vcc_lo
	s_branch .LBB34_480
.LBB34_476:
	s_mov_b32 s1, -1
                                        ; implicit-def: $vgpr2
	s_branch .LBB34_498
.LBB34_477:
	s_mov_b32 s1, -1
                                        ; implicit-def: $vgpr2
	s_branch .LBB34_486
.LBB34_478:
	s_mov_b32 s1, -1
                                        ; implicit-def: $vgpr2
	s_branch .LBB34_483
.LBB34_479:
	s_mov_b32 s1, -1
                                        ; implicit-def: $vgpr2
.LBB34_480:
	s_delay_alu instid0(SALU_CYCLE_1)
	s_and_not1_b32 vcc_lo, exec_lo, s1
	s_cbranch_vccnz .LBB34_482
; %bb.481:
	s_wait_loadcnt 0x0
	global_load_b32 v2, v[0:1], off
	s_wait_loadcnt 0x0
	v_bfe_u32 v3, v2, 16, 1
	v_cmp_o_f32_e32 vcc_lo, v2, v2
	s_delay_alu instid0(VALU_DEP_2) | instskip(NEXT) | instid1(VALU_DEP_1)
	v_add3_u32 v3, v2, v3, 0x7fff
	v_lshrrev_b32_e32 v3, 16, v3
	s_delay_alu instid0(VALU_DEP_1)
	v_cndmask_b32_e32 v2, 0x7fc0, v3, vcc_lo
.LBB34_482:
	s_mov_b32 s1, 0
.LBB34_483:
	s_delay_alu instid0(SALU_CYCLE_1)
	s_and_not1_b32 vcc_lo, exec_lo, s1
	s_cbranch_vccnz .LBB34_485
; %bb.484:
	s_wait_loadcnt 0x0
	global_load_b32 v2, v[0:1], off
	s_wait_loadcnt 0x0
	v_cvt_f32_f16_e32 v3, v2
	v_cmp_o_f16_e32 vcc_lo, v2, v2
	s_delay_alu instid0(VALU_DEP_2) | instskip(NEXT) | instid1(VALU_DEP_1)
	v_bfe_u32 v5, v3, 16, 1
	v_add3_u32 v3, v3, v5, 0x7fff
	s_delay_alu instid0(VALU_DEP_1) | instskip(NEXT) | instid1(VALU_DEP_1)
	v_lshrrev_b32_e32 v3, 16, v3
	v_cndmask_b32_e32 v2, 0x7fc0, v3, vcc_lo
.LBB34_485:
	s_mov_b32 s1, 0
.LBB34_486:
	s_delay_alu instid0(SALU_CYCLE_1)
	s_and_not1_b32 vcc_lo, exec_lo, s1
	s_cbranch_vccnz .LBB34_497
; %bb.487:
	s_cmp_lt_i32 s0, 6
	s_cbranch_scc1 .LBB34_490
; %bb.488:
	s_cmp_gt_i32 s0, 6
	s_cbranch_scc0 .LBB34_491
; %bb.489:
	s_wait_loadcnt 0x0
	global_load_b64 v[2:3], v[0:1], off
	s_mov_b32 s1, 0
	s_wait_loadcnt 0x0
	v_cvt_f32_f64_e32 v2, v[2:3]
	s_delay_alu instid0(VALU_DEP_1) | instskip(SKIP_1) | instid1(VALU_DEP_2)
	v_bfe_u32 v3, v2, 16, 1
	v_cmp_o_f32_e32 vcc_lo, v2, v2
	v_add3_u32 v3, v2, v3, 0x7fff
	s_delay_alu instid0(VALU_DEP_1) | instskip(NEXT) | instid1(VALU_DEP_1)
	v_lshrrev_b32_e32 v3, 16, v3
	v_cndmask_b32_e32 v2, 0x7fc0, v3, vcc_lo
	s_branch .LBB34_492
.LBB34_490:
	s_mov_b32 s1, -1
                                        ; implicit-def: $vgpr2
	s_branch .LBB34_495
.LBB34_491:
	s_mov_b32 s1, -1
                                        ; implicit-def: $vgpr2
.LBB34_492:
	s_delay_alu instid0(SALU_CYCLE_1)
	s_and_not1_b32 vcc_lo, exec_lo, s1
	s_cbranch_vccnz .LBB34_494
; %bb.493:
	s_wait_loadcnt 0x0
	global_load_b32 v2, v[0:1], off
	s_wait_loadcnt 0x0
	v_bfe_u32 v3, v2, 16, 1
	v_cmp_o_f32_e32 vcc_lo, v2, v2
	s_delay_alu instid0(VALU_DEP_2) | instskip(NEXT) | instid1(VALU_DEP_1)
	v_add3_u32 v3, v2, v3, 0x7fff
	v_lshrrev_b32_e32 v3, 16, v3
	s_delay_alu instid0(VALU_DEP_1)
	v_cndmask_b32_e32 v2, 0x7fc0, v3, vcc_lo
.LBB34_494:
	s_mov_b32 s1, 0
.LBB34_495:
	s_delay_alu instid0(SALU_CYCLE_1)
	s_and_not1_b32 vcc_lo, exec_lo, s1
	s_cbranch_vccnz .LBB34_497
; %bb.496:
	s_wait_loadcnt 0x0
	global_load_u16 v2, v[0:1], off
	s_wait_loadcnt 0x0
	v_cvt_f32_f16_e32 v3, v2
	v_cmp_o_f16_e32 vcc_lo, v2, v2
	s_delay_alu instid0(VALU_DEP_2) | instskip(NEXT) | instid1(VALU_DEP_1)
	v_bfe_u32 v5, v3, 16, 1
	v_add3_u32 v3, v3, v5, 0x7fff
	s_delay_alu instid0(VALU_DEP_1) | instskip(NEXT) | instid1(VALU_DEP_1)
	v_lshrrev_b32_e32 v3, 16, v3
	v_cndmask_b32_e32 v2, 0x7fc0, v3, vcc_lo
.LBB34_497:
	s_mov_b32 s1, 0
.LBB34_498:
	s_delay_alu instid0(SALU_CYCLE_1)
	s_and_not1_b32 vcc_lo, exec_lo, s1
	s_cbranch_vccnz .LBB34_518
; %bb.499:
	s_cmp_lt_i32 s0, 2
	s_cbranch_scc1 .LBB34_503
; %bb.500:
	s_cmp_lt_i32 s0, 3
	s_cbranch_scc1 .LBB34_504
; %bb.501:
	s_cmp_gt_i32 s0, 3
	s_cbranch_scc0 .LBB34_505
; %bb.502:
	s_wait_loadcnt 0x0
	global_load_b64 v[2:3], v[0:1], off
	s_mov_b32 s1, 0
	s_wait_loadcnt 0x0
	v_xor_b32_e32 v5, v2, v3
	v_cls_i32_e32 v6, v3
	s_delay_alu instid0(VALU_DEP_2) | instskip(NEXT) | instid1(VALU_DEP_1)
	v_ashrrev_i32_e32 v5, 31, v5
	v_add_nc_u32_e32 v5, 32, v5
	s_delay_alu instid0(VALU_DEP_1) | instskip(NEXT) | instid1(VALU_DEP_1)
	v_add_min_u32_e64 v5, v6, -1, v5
	v_lshlrev_b64_e32 v[2:3], v5, v[2:3]
	s_delay_alu instid0(VALU_DEP_1) | instskip(NEXT) | instid1(VALU_DEP_1)
	v_min_u32_e32 v2, 1, v2
	v_dual_sub_nc_u32 v3, 32, v5 :: v_dual_bitop2_b32 v2, v3, v2 bitop3:0x54
	s_delay_alu instid0(VALU_DEP_1) | instskip(NEXT) | instid1(VALU_DEP_1)
	v_cvt_f32_i32_e32 v2, v2
	v_ldexp_f32 v2, v2, v3
	s_delay_alu instid0(VALU_DEP_1) | instskip(NEXT) | instid1(VALU_DEP_1)
	v_bfe_u32 v3, v2, 16, 1
	v_add3_u32 v2, v2, v3, 0x7fff
	s_delay_alu instid0(VALU_DEP_1)
	v_lshrrev_b32_e32 v2, 16, v2
	s_branch .LBB34_506
.LBB34_503:
	s_mov_b32 s1, -1
                                        ; implicit-def: $vgpr2
	s_branch .LBB34_512
.LBB34_504:
	s_mov_b32 s1, -1
                                        ; implicit-def: $vgpr2
	s_branch .LBB34_509
.LBB34_505:
	s_mov_b32 s1, -1
                                        ; implicit-def: $vgpr2
.LBB34_506:
	s_delay_alu instid0(SALU_CYCLE_1)
	s_and_not1_b32 vcc_lo, exec_lo, s1
	s_cbranch_vccnz .LBB34_508
; %bb.507:
	s_wait_loadcnt 0x0
	global_load_b32 v2, v[0:1], off
	s_wait_loadcnt 0x0
	v_cvt_f32_i32_e32 v2, v2
	s_delay_alu instid0(VALU_DEP_1) | instskip(NEXT) | instid1(VALU_DEP_1)
	v_bfe_u32 v3, v2, 16, 1
	v_add3_u32 v2, v2, v3, 0x7fff
	s_delay_alu instid0(VALU_DEP_1)
	v_lshrrev_b32_e32 v2, 16, v2
.LBB34_508:
	s_mov_b32 s1, 0
.LBB34_509:
	s_delay_alu instid0(SALU_CYCLE_1)
	s_and_not1_b32 vcc_lo, exec_lo, s1
	s_cbranch_vccnz .LBB34_511
; %bb.510:
	s_wait_loadcnt 0x0
	global_load_i16 v2, v[0:1], off
	s_wait_loadcnt 0x0
	v_cvt_f32_i32_e32 v2, v2
	s_delay_alu instid0(VALU_DEP_1) | instskip(NEXT) | instid1(VALU_DEP_1)
	v_bfe_u32 v3, v2, 16, 1
	v_add3_u32 v2, v2, v3, 0x7fff
	s_delay_alu instid0(VALU_DEP_1)
	v_lshrrev_b32_e32 v2, 16, v2
.LBB34_511:
	s_mov_b32 s1, 0
.LBB34_512:
	s_delay_alu instid0(SALU_CYCLE_1)
	s_and_not1_b32 vcc_lo, exec_lo, s1
	s_cbranch_vccnz .LBB34_518
; %bb.513:
	s_cmp_gt_i32 s0, 0
	s_mov_b32 s0, 0
	s_cbranch_scc0 .LBB34_515
; %bb.514:
	s_wait_loadcnt 0x0
	global_load_i8 v2, v[0:1], off
	s_wait_loadcnt 0x0
	v_cvt_f32_i32_e32 v2, v2
	s_delay_alu instid0(VALU_DEP_1) | instskip(NEXT) | instid1(VALU_DEP_1)
	v_bfe_u32 v3, v2, 16, 1
	v_add3_u32 v2, v2, v3, 0x7fff
	s_delay_alu instid0(VALU_DEP_1)
	v_lshrrev_b32_e32 v2, 16, v2
	s_branch .LBB34_516
.LBB34_515:
	s_mov_b32 s0, -1
                                        ; implicit-def: $vgpr2
.LBB34_516:
	s_delay_alu instid0(SALU_CYCLE_1)
	s_and_not1_b32 vcc_lo, exec_lo, s0
	s_cbranch_vccnz .LBB34_518
; %bb.517:
	global_load_u8 v0, v[0:1], off
	s_wait_loadcnt 0x0
	v_cvt_f32_ubyte0_e32 v0, v0
	s_delay_alu instid0(VALU_DEP_1) | instskip(NEXT) | instid1(VALU_DEP_1)
	v_bfe_u32 v1, v0, 16, 1
	v_add3_u32 v0, v0, v1, 0x7fff
	s_delay_alu instid0(VALU_DEP_1)
	v_lshrrev_b32_e32 v2, 16, v0
.LBB34_518:
	s_branch .LBB34_270
.LBB34_519:
	s_mov_b32 s1, 0
	s_mov_b32 s0, s12
.LBB34_520:
                                        ; implicit-def: $vgpr4
.LBB34_521:
	s_and_not1_b32 s17, s12, exec_lo
	s_and_b32 s0, s0, exec_lo
	s_and_not1_b32 s19, s14, exec_lo
	s_and_b32 s16, s16, exec_lo
	s_or_b32 s17, s17, s0
	s_or_b32 s16, s19, s16
	s_or_not1_b32 s0, s1, exec_lo
.LBB34_522:
	s_wait_xcnt 0x0
	s_or_b32 exec_lo, exec_lo, s18
	s_mov_b32 s1, 0
	s_mov_b32 s19, 0
	;; [unrolled: 1-line block ×3, first 2 shown]
                                        ; implicit-def: $vgpr0_vgpr1
                                        ; implicit-def: $vgpr3
	s_and_saveexec_b32 s18, s0
	s_cbranch_execz .LBB34_872
; %bb.523:
	s_mov_b32 s20, -1
	s_mov_b32 s0, s16
	s_mov_b32 s1, s17
	s_mov_b32 s19, exec_lo
	v_cmpx_gt_i32_e64 s13, v4
	s_cbranch_execz .LBB34_786
; %bb.524:
	v_mul_lo_u32 v0, v4, s3
	s_and_b32 s0, 0xffff, s10
	s_delay_alu instid0(SALU_CYCLE_1) | instskip(NEXT) | instid1(VALU_DEP_1)
	s_cmp_lt_i32 s0, 11
	v_ashrrev_i32_e32 v1, 31, v0
	s_delay_alu instid0(VALU_DEP_1)
	v_add_nc_u64_e32 v[0:1], s[6:7], v[0:1]
	s_cbranch_scc1 .LBB34_531
; %bb.525:
	s_cmp_gt_i32 s0, 25
	s_cbranch_scc0 .LBB34_532
; %bb.526:
	s_cmp_gt_i32 s0, 28
	s_cbranch_scc0 .LBB34_533
	;; [unrolled: 3-line block ×4, first 2 shown]
; %bb.529:
	s_cmp_eq_u32 s0, 46
	s_mov_b32 s21, 0
	s_cbranch_scc0 .LBB34_540
; %bb.530:
	s_wait_loadcnt 0x0
	global_load_b32 v2, v[0:1], off
	s_mov_b32 s1, -1
	s_mov_b32 s20, 0
	s_branch .LBB34_542
.LBB34_531:
	s_mov_b32 s21, -1
	s_mov_b32 s1, 0
	s_mov_b32 s20, s16
                                        ; implicit-def: $vgpr2
	s_branch .LBB34_607
.LBB34_532:
	s_mov_b32 s21, -1
	s_mov_b32 s1, 0
	s_mov_b32 s20, s16
                                        ; implicit-def: $vgpr2
	s_branch .LBB34_571
.LBB34_533:
	s_mov_b32 s21, -1
	s_mov_b32 s1, 0
	s_mov_b32 s20, s16
                                        ; implicit-def: $vgpr2
	s_branch .LBB34_552
.LBB34_534:
	s_mov_b32 s21, -1
	s_mov_b32 s1, 0
	s_mov_b32 s20, s16
                                        ; implicit-def: $vgpr2
	s_branch .LBB34_547
.LBB34_535:
	s_and_not1_saveexec_b32 s21, s21
	s_cbranch_execz .LBB34_359
.LBB34_536:
	v_add_f32_e64 v5, 0x46000000, |v6|
	s_and_not1_b32 s20, s20, exec_lo
	s_delay_alu instid0(VALU_DEP_1) | instskip(NEXT) | instid1(VALU_DEP_1)
	v_and_b32_e32 v5, 0xff, v5
	v_cmp_ne_u32_e32 vcc_lo, 0, v5
	s_and_b32 s22, vcc_lo, exec_lo
	s_delay_alu instid0(SALU_CYCLE_1)
	s_or_b32 s20, s20, s22
	s_or_b32 exec_lo, exec_lo, s21
	v_mov_b32_e32 v7, 0
	s_and_saveexec_b32 s21, s20
	s_cbranch_execnz .LBB34_360
	s_branch .LBB34_361
.LBB34_537:
	s_mov_b32 s21, -1
	s_mov_b32 s1, 0
	s_mov_b32 s20, s16
	s_branch .LBB34_541
.LBB34_538:
	s_and_not1_saveexec_b32 s21, s21
	s_cbranch_execz .LBB34_372
.LBB34_539:
	v_add_f32_e64 v5, 0x42800000, |v6|
	s_and_not1_b32 s20, s20, exec_lo
	s_delay_alu instid0(VALU_DEP_1) | instskip(NEXT) | instid1(VALU_DEP_1)
	v_and_b32_e32 v5, 0xff, v5
	v_cmp_ne_u32_e32 vcc_lo, 0, v5
	s_and_b32 s22, vcc_lo, exec_lo
	s_delay_alu instid0(SALU_CYCLE_1)
	s_or_b32 s20, s20, s22
	s_or_b32 exec_lo, exec_lo, s21
	v_mov_b32_e32 v7, 0
	s_and_saveexec_b32 s21, s20
	s_cbranch_execnz .LBB34_373
	s_branch .LBB34_374
.LBB34_540:
	s_mov_b32 s1, 0
.LBB34_541:
                                        ; implicit-def: $vgpr2
.LBB34_542:
	s_and_b32 vcc_lo, exec_lo, s21
	s_cbranch_vccz .LBB34_546
; %bb.543:
	s_cmp_eq_u32 s0, 44
	s_cbranch_scc0 .LBB34_545
; %bb.544:
	s_wait_loadcnt 0x0
	global_load_u8 v2, v[0:1], off
	s_mov_b32 s20, 0
	s_mov_b32 s1, -1
	s_wait_loadcnt 0x0
	v_lshlrev_b32_e32 v3, 23, v2
	v_cmp_ne_u32_e32 vcc_lo, 0xff, v2
	s_delay_alu instid0(VALU_DEP_2) | instskip(SKIP_1) | instid1(VALU_DEP_2)
	v_cndmask_b32_e32 v3, 0x7f800001, v3, vcc_lo
	v_cmp_ne_u32_e32 vcc_lo, 0, v2
	v_cndmask_b32_e32 v2, 0x400000, v3, vcc_lo
	s_delay_alu instid0(VALU_DEP_1) | instskip(NEXT) | instid1(VALU_DEP_1)
	v_add_nc_u32_e32 v3, 0x7fff, v2
	v_lshrrev_b32_e32 v3, 16, v3
	v_cmp_o_f32_e32 vcc_lo, v2, v2
	s_delay_alu instid0(VALU_DEP_2)
	v_cndmask_b32_e32 v2, 0x7fc0, v3, vcc_lo
	s_branch .LBB34_546
.LBB34_545:
	s_mov_b32 s20, -1
                                        ; implicit-def: $vgpr2
.LBB34_546:
	s_mov_b32 s21, 0
.LBB34_547:
	s_delay_alu instid0(SALU_CYCLE_1)
	s_and_b32 vcc_lo, exec_lo, s21
	s_cbranch_vccz .LBB34_551
; %bb.548:
	s_cmp_eq_u32 s0, 29
	s_cbranch_scc0 .LBB34_550
; %bb.549:
	s_wait_loadcnt 0x0
	global_load_b64 v[2:3], v[0:1], off
	s_mov_b32 s1, -1
	s_mov_b32 s20, 0
	s_mov_b32 s21, 0
	s_wait_loadcnt 0x0
	v_clz_i32_u32_e32 v5, v3
	s_delay_alu instid0(VALU_DEP_1) | instskip(NEXT) | instid1(VALU_DEP_1)
	v_min_u32_e32 v5, 32, v5
	v_lshlrev_b64_e32 v[2:3], v5, v[2:3]
	s_delay_alu instid0(VALU_DEP_1) | instskip(NEXT) | instid1(VALU_DEP_1)
	v_min_u32_e32 v2, 1, v2
	v_dual_sub_nc_u32 v3, 32, v5 :: v_dual_bitop2_b32 v2, v3, v2 bitop3:0x54
	s_delay_alu instid0(VALU_DEP_1) | instskip(NEXT) | instid1(VALU_DEP_1)
	v_cvt_f32_u32_e32 v2, v2
	v_ldexp_f32 v2, v2, v3
	s_delay_alu instid0(VALU_DEP_1) | instskip(NEXT) | instid1(VALU_DEP_1)
	v_bfe_u32 v3, v2, 16, 1
	v_add3_u32 v2, v2, v3, 0x7fff
	s_delay_alu instid0(VALU_DEP_1)
	v_lshrrev_b32_e32 v2, 16, v2
	s_branch .LBB34_552
.LBB34_550:
	s_mov_b32 s20, -1
                                        ; implicit-def: $vgpr2
.LBB34_551:
	s_mov_b32 s21, 0
.LBB34_552:
	s_delay_alu instid0(SALU_CYCLE_1)
	s_and_b32 vcc_lo, exec_lo, s21
	s_cbranch_vccz .LBB34_570
; %bb.553:
	s_cmp_lt_i32 s0, 27
	s_cbranch_scc1 .LBB34_556
; %bb.554:
	s_cmp_gt_i32 s0, 27
	s_cbranch_scc0 .LBB34_557
; %bb.555:
	s_wait_loadcnt 0x0
	global_load_b32 v2, v[0:1], off
	s_mov_b32 s1, 0
	s_wait_loadcnt 0x0
	v_cvt_f32_u32_e32 v2, v2
	s_delay_alu instid0(VALU_DEP_1) | instskip(NEXT) | instid1(VALU_DEP_1)
	v_bfe_u32 v3, v2, 16, 1
	v_add3_u32 v2, v2, v3, 0x7fff
	s_delay_alu instid0(VALU_DEP_1)
	v_lshrrev_b32_e32 v2, 16, v2
	s_branch .LBB34_558
.LBB34_556:
	s_mov_b32 s1, -1
                                        ; implicit-def: $vgpr2
	s_branch .LBB34_561
.LBB34_557:
	s_mov_b32 s1, -1
                                        ; implicit-def: $vgpr2
.LBB34_558:
	s_delay_alu instid0(SALU_CYCLE_1)
	s_and_not1_b32 vcc_lo, exec_lo, s1
	s_cbranch_vccnz .LBB34_560
; %bb.559:
	s_wait_loadcnt 0x0
	global_load_u16 v2, v[0:1], off
	s_wait_loadcnt 0x0
	v_cvt_f32_u32_e32 v2, v2
	s_delay_alu instid0(VALU_DEP_1) | instskip(NEXT) | instid1(VALU_DEP_1)
	v_bfe_u32 v3, v2, 16, 1
	v_add3_u32 v2, v2, v3, 0x7fff
	s_delay_alu instid0(VALU_DEP_1)
	v_lshrrev_b32_e32 v2, 16, v2
.LBB34_560:
	s_mov_b32 s1, 0
.LBB34_561:
	s_delay_alu instid0(SALU_CYCLE_1)
	s_and_not1_b32 vcc_lo, exec_lo, s1
	s_cbranch_vccnz .LBB34_569
; %bb.562:
	s_wait_loadcnt 0x0
	global_load_u8 v2, v[0:1], off
	s_mov_b32 s1, 0
	s_mov_b32 s21, exec_lo
	s_wait_loadcnt 0x0
	v_cmpx_lt_i16_e32 0x7f, v2
	s_xor_b32 s21, exec_lo, s21
	s_cbranch_execz .LBB34_583
; %bb.563:
	s_mov_b32 s1, -1
	s_mov_b32 s22, exec_lo
	v_cmpx_eq_u16_e32 0x80, v2
; %bb.564:
	s_xor_b32 s1, exec_lo, -1
; %bb.565:
	s_or_b32 exec_lo, exec_lo, s22
	s_delay_alu instid0(SALU_CYCLE_1)
	s_and_b32 s1, s1, exec_lo
	s_or_saveexec_b32 s21, s21
	v_mov_b32_e32 v3, 0x7f800001
	s_xor_b32 exec_lo, exec_lo, s21
	s_cbranch_execnz .LBB34_584
.LBB34_566:
	s_or_b32 exec_lo, exec_lo, s21
	s_and_saveexec_b32 s21, s1
	s_cbranch_execz .LBB34_568
.LBB34_567:
	v_and_b32_e32 v3, 0xffff, v2
	s_delay_alu instid0(VALU_DEP_1) | instskip(SKIP_1) | instid1(VALU_DEP_2)
	v_and_b32_e32 v5, 7, v3
	v_bfe_u32 v8, v3, 3, 4
	v_clz_i32_u32_e32 v6, v5
	s_delay_alu instid0(VALU_DEP_2) | instskip(NEXT) | instid1(VALU_DEP_2)
	v_cmp_eq_u32_e32 vcc_lo, 0, v8
	v_min_u32_e32 v6, 32, v6
	s_delay_alu instid0(VALU_DEP_1) | instskip(NEXT) | instid1(VALU_DEP_1)
	v_subrev_nc_u32_e32 v7, 28, v6
	v_dual_lshlrev_b32 v3, v7, v3 :: v_dual_sub_nc_u32 v6, 29, v6
	s_delay_alu instid0(VALU_DEP_1) | instskip(NEXT) | instid1(VALU_DEP_1)
	v_dual_lshlrev_b32 v2, 24, v2 :: v_dual_bitop2_b32 v3, 7, v3 bitop3:0x40
	v_dual_cndmask_b32 v3, v5, v3 :: v_dual_cndmask_b32 v6, v8, v6
	s_delay_alu instid0(VALU_DEP_2) | instskip(NEXT) | instid1(VALU_DEP_2)
	v_and_b32_e32 v2, 0x80000000, v2
	v_lshlrev_b32_e32 v3, 20, v3
	s_delay_alu instid0(VALU_DEP_3) | instskip(NEXT) | instid1(VALU_DEP_1)
	v_lshl_add_u32 v5, v6, 23, 0x3b800000
	v_or3_b32 v3, v2, v5, v3
.LBB34_568:
	s_or_b32 exec_lo, exec_lo, s21
	s_delay_alu instid0(VALU_DEP_1) | instskip(SKIP_1) | instid1(VALU_DEP_2)
	v_bfe_u32 v2, v3, 16, 1
	v_cmp_o_f32_e32 vcc_lo, v3, v3
	v_add3_u32 v2, v3, v2, 0x7fff
	s_delay_alu instid0(VALU_DEP_1) | instskip(NEXT) | instid1(VALU_DEP_1)
	v_lshrrev_b32_e32 v2, 16, v2
	v_cndmask_b32_e32 v2, 0x7fc0, v2, vcc_lo
.LBB34_569:
	s_mov_b32 s1, -1
.LBB34_570:
	s_mov_b32 s21, 0
.LBB34_571:
	s_delay_alu instid0(SALU_CYCLE_1)
	s_and_b32 vcc_lo, exec_lo, s21
	s_cbranch_vccz .LBB34_606
; %bb.572:
	s_cmp_gt_i32 s0, 22
	s_cbranch_scc0 .LBB34_582
; %bb.573:
	s_cmp_lt_i32 s0, 24
	s_cbranch_scc1 .LBB34_585
; %bb.574:
	s_cmp_gt_i32 s0, 24
	s_cbranch_scc0 .LBB34_586
; %bb.575:
	s_wait_loadcnt 0x0
	global_load_u8 v2, v[0:1], off
	s_mov_b32 s1, 0
	s_mov_b32 s21, exec_lo
	s_wait_loadcnt 0x0
	v_cmpx_lt_i16_e32 0x7f, v2
	s_xor_b32 s21, exec_lo, s21
	s_cbranch_execz .LBB34_598
; %bb.576:
	s_mov_b32 s1, -1
	s_mov_b32 s22, exec_lo
	v_cmpx_eq_u16_e32 0x80, v2
; %bb.577:
	s_xor_b32 s1, exec_lo, -1
; %bb.578:
	s_or_b32 exec_lo, exec_lo, s22
	s_delay_alu instid0(SALU_CYCLE_1)
	s_and_b32 s1, s1, exec_lo
	s_or_saveexec_b32 s21, s21
	v_mov_b32_e32 v3, 0x7f800001
	s_xor_b32 exec_lo, exec_lo, s21
	s_cbranch_execnz .LBB34_599
.LBB34_579:
	s_or_b32 exec_lo, exec_lo, s21
	s_and_saveexec_b32 s21, s1
	s_cbranch_execz .LBB34_581
.LBB34_580:
	v_and_b32_e32 v3, 0xffff, v2
	s_delay_alu instid0(VALU_DEP_1) | instskip(SKIP_1) | instid1(VALU_DEP_2)
	v_and_b32_e32 v5, 3, v3
	v_bfe_u32 v8, v3, 2, 5
	v_clz_i32_u32_e32 v6, v5
	s_delay_alu instid0(VALU_DEP_2) | instskip(NEXT) | instid1(VALU_DEP_2)
	v_cmp_eq_u32_e32 vcc_lo, 0, v8
	v_min_u32_e32 v6, 32, v6
	s_delay_alu instid0(VALU_DEP_1) | instskip(NEXT) | instid1(VALU_DEP_1)
	v_subrev_nc_u32_e32 v7, 29, v6
	v_dual_lshlrev_b32 v3, v7, v3 :: v_dual_sub_nc_u32 v6, 30, v6
	s_delay_alu instid0(VALU_DEP_1) | instskip(NEXT) | instid1(VALU_DEP_1)
	v_dual_lshlrev_b32 v2, 24, v2 :: v_dual_bitop2_b32 v3, 3, v3 bitop3:0x40
	v_dual_cndmask_b32 v3, v5, v3 :: v_dual_cndmask_b32 v6, v8, v6
	s_delay_alu instid0(VALU_DEP_2) | instskip(NEXT) | instid1(VALU_DEP_2)
	v_and_b32_e32 v2, 0x80000000, v2
	v_lshlrev_b32_e32 v3, 21, v3
	s_delay_alu instid0(VALU_DEP_3) | instskip(NEXT) | instid1(VALU_DEP_1)
	v_lshl_add_u32 v5, v6, 23, 0x37800000
	v_or3_b32 v3, v2, v5, v3
.LBB34_581:
	s_or_b32 exec_lo, exec_lo, s21
	s_delay_alu instid0(VALU_DEP_1) | instskip(SKIP_2) | instid1(VALU_DEP_2)
	v_bfe_u32 v2, v3, 16, 1
	v_cmp_o_f32_e32 vcc_lo, v3, v3
	s_mov_b32 s1, 0
	v_add3_u32 v2, v3, v2, 0x7fff
	s_delay_alu instid0(VALU_DEP_1) | instskip(NEXT) | instid1(VALU_DEP_1)
	v_lshrrev_b32_e32 v2, 16, v2
	v_cndmask_b32_e32 v2, 0x7fc0, v2, vcc_lo
	s_branch .LBB34_587
.LBB34_582:
	s_mov_b32 s21, -1
                                        ; implicit-def: $vgpr2
	s_branch .LBB34_593
.LBB34_583:
	s_or_saveexec_b32 s21, s21
	v_mov_b32_e32 v3, 0x7f800001
	s_xor_b32 exec_lo, exec_lo, s21
	s_cbranch_execz .LBB34_566
.LBB34_584:
	v_cmp_ne_u16_e32 vcc_lo, 0, v2
	v_mov_b32_e32 v3, 0
	s_and_not1_b32 s1, s1, exec_lo
	s_and_b32 s22, vcc_lo, exec_lo
	s_delay_alu instid0(SALU_CYCLE_1)
	s_or_b32 s1, s1, s22
	s_or_b32 exec_lo, exec_lo, s21
	s_and_saveexec_b32 s21, s1
	s_cbranch_execnz .LBB34_567
	s_branch .LBB34_568
.LBB34_585:
	s_mov_b32 s1, -1
                                        ; implicit-def: $vgpr2
	s_branch .LBB34_590
.LBB34_586:
	s_mov_b32 s1, -1
                                        ; implicit-def: $vgpr2
.LBB34_587:
	s_delay_alu instid0(SALU_CYCLE_1)
	s_and_b32 vcc_lo, exec_lo, s1
	s_cbranch_vccz .LBB34_589
; %bb.588:
	s_wait_loadcnt 0x0
	global_load_u8 v2, v[0:1], off
	s_wait_loadcnt 0x0
	v_lshlrev_b32_e32 v2, 24, v2
	s_delay_alu instid0(VALU_DEP_1) | instskip(NEXT) | instid1(VALU_DEP_1)
	v_and_b32_e32 v3, 0x7f000000, v2
	v_clz_i32_u32_e32 v5, v3
	v_add_nc_u32_e32 v7, 0x1000000, v3
	v_cmp_ne_u32_e32 vcc_lo, 0, v3
	s_delay_alu instid0(VALU_DEP_3) | instskip(NEXT) | instid1(VALU_DEP_1)
	v_min_u32_e32 v5, 32, v5
	v_sub_nc_u32_e64 v5, v5, 4 clamp
	s_delay_alu instid0(VALU_DEP_1) | instskip(NEXT) | instid1(VALU_DEP_1)
	v_dual_lshlrev_b32 v6, v5, v3 :: v_dual_lshlrev_b32 v5, 23, v5
	v_lshrrev_b32_e32 v6, 4, v6
	s_delay_alu instid0(VALU_DEP_1) | instskip(NEXT) | instid1(VALU_DEP_1)
	v_dual_sub_nc_u32 v5, v6, v5 :: v_dual_ashrrev_i32 v6, 8, v7
	v_add_nc_u32_e32 v5, 0x3c000000, v5
	s_delay_alu instid0(VALU_DEP_1) | instskip(NEXT) | instid1(VALU_DEP_1)
	v_and_or_b32 v5, 0x7f800000, v6, v5
	v_cndmask_b32_e32 v3, 0, v5, vcc_lo
	s_delay_alu instid0(VALU_DEP_1) | instskip(SKIP_1) | instid1(VALU_DEP_2)
	v_and_or_b32 v2, 0x80000000, v2, v3
	v_bfe_u32 v3, v3, 16, 1
	v_cmp_o_f32_e32 vcc_lo, v2, v2
	s_delay_alu instid0(VALU_DEP_2) | instskip(NEXT) | instid1(VALU_DEP_1)
	v_add3_u32 v3, v2, v3, 0x7fff
	v_lshrrev_b32_e32 v3, 16, v3
	s_delay_alu instid0(VALU_DEP_1)
	v_cndmask_b32_e32 v2, 0x7fc0, v3, vcc_lo
.LBB34_589:
	s_mov_b32 s1, 0
.LBB34_590:
	s_delay_alu instid0(SALU_CYCLE_1)
	s_and_not1_b32 vcc_lo, exec_lo, s1
	s_cbranch_vccnz .LBB34_592
; %bb.591:
	s_wait_loadcnt 0x0
	global_load_u8 v2, v[0:1], off
	s_wait_loadcnt 0x0
	v_lshlrev_b32_e32 v3, 25, v2
	v_lshlrev_b16 v2, 8, v2
	s_delay_alu instid0(VALU_DEP_2) | instskip(NEXT) | instid1(VALU_DEP_2)
	v_cmp_gt_u32_e32 vcc_lo, 0x8000000, v3
	v_and_or_b32 v6, 0x7f00, v2, 0.5
	v_lshrrev_b32_e32 v5, 4, v3
	v_bfe_i32 v2, v2, 0, 16
	s_delay_alu instid0(VALU_DEP_3) | instskip(NEXT) | instid1(VALU_DEP_3)
	v_add_f32_e32 v6, -0.5, v6
	v_or_b32_e32 v5, 0x70000000, v5
	s_delay_alu instid0(VALU_DEP_1) | instskip(NEXT) | instid1(VALU_DEP_1)
	v_mul_f32_e32 v5, 0x7800000, v5
	v_cndmask_b32_e32 v3, v5, v6, vcc_lo
	s_delay_alu instid0(VALU_DEP_1) | instskip(SKIP_1) | instid1(VALU_DEP_2)
	v_and_or_b32 v2, 0x80000000, v2, v3
	v_bfe_u32 v3, v3, 16, 1
	v_cmp_o_f32_e32 vcc_lo, v2, v2
	s_delay_alu instid0(VALU_DEP_2) | instskip(NEXT) | instid1(VALU_DEP_1)
	v_add3_u32 v3, v2, v3, 0x7fff
	v_lshrrev_b32_e32 v3, 16, v3
	s_delay_alu instid0(VALU_DEP_1)
	v_cndmask_b32_e32 v2, 0x7fc0, v3, vcc_lo
.LBB34_592:
	s_mov_b32 s21, 0
	s_mov_b32 s1, -1
.LBB34_593:
	s_and_not1_b32 vcc_lo, exec_lo, s21
	s_cbranch_vccnz .LBB34_606
; %bb.594:
	s_cmp_gt_i32 s0, 14
	s_cbranch_scc0 .LBB34_597
; %bb.595:
	s_cmp_eq_u32 s0, 15
	s_cbranch_scc0 .LBB34_600
; %bb.596:
	s_wait_loadcnt 0x0
	global_load_u16 v2, v[0:1], off
	s_mov_b32 s1, -1
	s_mov_b32 s20, 0
	s_branch .LBB34_601
.LBB34_597:
	s_mov_b32 s21, -1
                                        ; implicit-def: $vgpr2
	s_branch .LBB34_602
.LBB34_598:
	s_or_saveexec_b32 s21, s21
	v_mov_b32_e32 v3, 0x7f800001
	s_xor_b32 exec_lo, exec_lo, s21
	s_cbranch_execz .LBB34_579
.LBB34_599:
	v_cmp_ne_u16_e32 vcc_lo, 0, v2
	v_mov_b32_e32 v3, 0
	s_and_not1_b32 s1, s1, exec_lo
	s_and_b32 s22, vcc_lo, exec_lo
	s_delay_alu instid0(SALU_CYCLE_1)
	s_or_b32 s1, s1, s22
	s_or_b32 exec_lo, exec_lo, s21
	s_and_saveexec_b32 s21, s1
	s_cbranch_execnz .LBB34_580
	s_branch .LBB34_581
.LBB34_600:
	s_mov_b32 s20, -1
                                        ; implicit-def: $vgpr2
.LBB34_601:
	s_mov_b32 s21, 0
.LBB34_602:
	s_delay_alu instid0(SALU_CYCLE_1)
	s_and_b32 vcc_lo, exec_lo, s21
	s_cbranch_vccz .LBB34_606
; %bb.603:
	s_cmp_eq_u32 s0, 11
	s_cbranch_scc0 .LBB34_605
; %bb.604:
	s_wait_loadcnt 0x0
	global_load_u8 v2, v[0:1], off
	s_mov_b32 s20, 0
	s_mov_b32 s1, -1
	s_wait_loadcnt 0x0
	v_cmp_ne_u16_e32 vcc_lo, 0, v2
	v_cndmask_b32_e64 v2, 0, 1.0, vcc_lo
	s_delay_alu instid0(VALU_DEP_1)
	v_lshrrev_b32_e32 v2, 16, v2
	s_branch .LBB34_606
.LBB34_605:
	s_mov_b32 s20, -1
                                        ; implicit-def: $vgpr2
.LBB34_606:
	s_mov_b32 s21, 0
.LBB34_607:
	s_delay_alu instid0(SALU_CYCLE_1)
	s_and_b32 vcc_lo, exec_lo, s21
	s_cbranch_vccz .LBB34_656
; %bb.608:
	s_cmp_lt_i32 s0, 5
	s_cbranch_scc1 .LBB34_613
; %bb.609:
	s_cmp_lt_i32 s0, 8
	s_cbranch_scc1 .LBB34_614
	;; [unrolled: 3-line block ×3, first 2 shown]
; %bb.611:
	s_cmp_gt_i32 s0, 9
	s_cbranch_scc0 .LBB34_616
; %bb.612:
	s_wait_loadcnt 0x0
	global_load_b64 v[2:3], v[0:1], off
	s_mov_b32 s1, 0
	s_wait_loadcnt 0x0
	v_cvt_f32_f64_e32 v2, v[2:3]
	s_delay_alu instid0(VALU_DEP_1) | instskip(SKIP_1) | instid1(VALU_DEP_2)
	v_bfe_u32 v3, v2, 16, 1
	v_cmp_o_f32_e32 vcc_lo, v2, v2
	v_add3_u32 v3, v2, v3, 0x7fff
	s_delay_alu instid0(VALU_DEP_1) | instskip(NEXT) | instid1(VALU_DEP_1)
	v_lshrrev_b32_e32 v3, 16, v3
	v_cndmask_b32_e32 v2, 0x7fc0, v3, vcc_lo
	s_branch .LBB34_617
.LBB34_613:
	s_mov_b32 s1, -1
                                        ; implicit-def: $vgpr2
	s_branch .LBB34_635
.LBB34_614:
	s_mov_b32 s1, -1
                                        ; implicit-def: $vgpr2
	s_branch .LBB34_623
.LBB34_615:
	s_mov_b32 s1, -1
                                        ; implicit-def: $vgpr2
	s_branch .LBB34_620
.LBB34_616:
	s_mov_b32 s1, -1
                                        ; implicit-def: $vgpr2
.LBB34_617:
	s_delay_alu instid0(SALU_CYCLE_1)
	s_and_not1_b32 vcc_lo, exec_lo, s1
	s_cbranch_vccnz .LBB34_619
; %bb.618:
	s_wait_loadcnt 0x0
	global_load_b32 v2, v[0:1], off
	s_wait_loadcnt 0x0
	v_bfe_u32 v3, v2, 16, 1
	v_cmp_o_f32_e32 vcc_lo, v2, v2
	s_delay_alu instid0(VALU_DEP_2) | instskip(NEXT) | instid1(VALU_DEP_1)
	v_add3_u32 v3, v2, v3, 0x7fff
	v_lshrrev_b32_e32 v3, 16, v3
	s_delay_alu instid0(VALU_DEP_1)
	v_cndmask_b32_e32 v2, 0x7fc0, v3, vcc_lo
.LBB34_619:
	s_mov_b32 s1, 0
.LBB34_620:
	s_delay_alu instid0(SALU_CYCLE_1)
	s_and_not1_b32 vcc_lo, exec_lo, s1
	s_cbranch_vccnz .LBB34_622
; %bb.621:
	s_wait_loadcnt 0x0
	global_load_b32 v2, v[0:1], off
	s_wait_loadcnt 0x0
	v_cvt_f32_f16_e32 v3, v2
	v_cmp_o_f16_e32 vcc_lo, v2, v2
	s_delay_alu instid0(VALU_DEP_2) | instskip(NEXT) | instid1(VALU_DEP_1)
	v_bfe_u32 v5, v3, 16, 1
	v_add3_u32 v3, v3, v5, 0x7fff
	s_delay_alu instid0(VALU_DEP_1) | instskip(NEXT) | instid1(VALU_DEP_1)
	v_lshrrev_b32_e32 v3, 16, v3
	v_cndmask_b32_e32 v2, 0x7fc0, v3, vcc_lo
.LBB34_622:
	s_mov_b32 s1, 0
.LBB34_623:
	s_delay_alu instid0(SALU_CYCLE_1)
	s_and_not1_b32 vcc_lo, exec_lo, s1
	s_cbranch_vccnz .LBB34_634
; %bb.624:
	s_cmp_lt_i32 s0, 6
	s_cbranch_scc1 .LBB34_627
; %bb.625:
	s_cmp_gt_i32 s0, 6
	s_cbranch_scc0 .LBB34_628
; %bb.626:
	s_wait_loadcnt 0x0
	global_load_b64 v[2:3], v[0:1], off
	s_mov_b32 s1, 0
	s_wait_loadcnt 0x0
	v_cvt_f32_f64_e32 v2, v[2:3]
	s_delay_alu instid0(VALU_DEP_1) | instskip(SKIP_1) | instid1(VALU_DEP_2)
	v_bfe_u32 v3, v2, 16, 1
	v_cmp_o_f32_e32 vcc_lo, v2, v2
	v_add3_u32 v3, v2, v3, 0x7fff
	s_delay_alu instid0(VALU_DEP_1) | instskip(NEXT) | instid1(VALU_DEP_1)
	v_lshrrev_b32_e32 v3, 16, v3
	v_cndmask_b32_e32 v2, 0x7fc0, v3, vcc_lo
	s_branch .LBB34_629
.LBB34_627:
	s_mov_b32 s1, -1
                                        ; implicit-def: $vgpr2
	s_branch .LBB34_632
.LBB34_628:
	s_mov_b32 s1, -1
                                        ; implicit-def: $vgpr2
.LBB34_629:
	s_delay_alu instid0(SALU_CYCLE_1)
	s_and_not1_b32 vcc_lo, exec_lo, s1
	s_cbranch_vccnz .LBB34_631
; %bb.630:
	s_wait_loadcnt 0x0
	global_load_b32 v2, v[0:1], off
	s_wait_loadcnt 0x0
	v_bfe_u32 v3, v2, 16, 1
	v_cmp_o_f32_e32 vcc_lo, v2, v2
	s_delay_alu instid0(VALU_DEP_2) | instskip(NEXT) | instid1(VALU_DEP_1)
	v_add3_u32 v3, v2, v3, 0x7fff
	v_lshrrev_b32_e32 v3, 16, v3
	s_delay_alu instid0(VALU_DEP_1)
	v_cndmask_b32_e32 v2, 0x7fc0, v3, vcc_lo
.LBB34_631:
	s_mov_b32 s1, 0
.LBB34_632:
	s_delay_alu instid0(SALU_CYCLE_1)
	s_and_not1_b32 vcc_lo, exec_lo, s1
	s_cbranch_vccnz .LBB34_634
; %bb.633:
	s_wait_loadcnt 0x0
	global_load_u16 v2, v[0:1], off
	s_wait_loadcnt 0x0
	v_cvt_f32_f16_e32 v3, v2
	v_cmp_o_f16_e32 vcc_lo, v2, v2
	s_delay_alu instid0(VALU_DEP_2) | instskip(NEXT) | instid1(VALU_DEP_1)
	v_bfe_u32 v5, v3, 16, 1
	v_add3_u32 v3, v3, v5, 0x7fff
	s_delay_alu instid0(VALU_DEP_1) | instskip(NEXT) | instid1(VALU_DEP_1)
	v_lshrrev_b32_e32 v3, 16, v3
	v_cndmask_b32_e32 v2, 0x7fc0, v3, vcc_lo
.LBB34_634:
	s_mov_b32 s1, 0
.LBB34_635:
	s_delay_alu instid0(SALU_CYCLE_1)
	s_and_not1_b32 vcc_lo, exec_lo, s1
	s_cbranch_vccnz .LBB34_655
; %bb.636:
	s_cmp_lt_i32 s0, 2
	s_cbranch_scc1 .LBB34_640
; %bb.637:
	s_cmp_lt_i32 s0, 3
	s_cbranch_scc1 .LBB34_641
; %bb.638:
	s_cmp_gt_i32 s0, 3
	s_cbranch_scc0 .LBB34_642
; %bb.639:
	s_wait_loadcnt 0x0
	global_load_b64 v[2:3], v[0:1], off
	s_mov_b32 s1, 0
	s_wait_loadcnt 0x0
	v_xor_b32_e32 v5, v2, v3
	v_cls_i32_e32 v6, v3
	s_delay_alu instid0(VALU_DEP_2) | instskip(NEXT) | instid1(VALU_DEP_1)
	v_ashrrev_i32_e32 v5, 31, v5
	v_add_nc_u32_e32 v5, 32, v5
	s_delay_alu instid0(VALU_DEP_1) | instskip(NEXT) | instid1(VALU_DEP_1)
	v_add_min_u32_e64 v5, v6, -1, v5
	v_lshlrev_b64_e32 v[2:3], v5, v[2:3]
	s_delay_alu instid0(VALU_DEP_1) | instskip(NEXT) | instid1(VALU_DEP_1)
	v_min_u32_e32 v2, 1, v2
	v_dual_sub_nc_u32 v3, 32, v5 :: v_dual_bitop2_b32 v2, v3, v2 bitop3:0x54
	s_delay_alu instid0(VALU_DEP_1) | instskip(NEXT) | instid1(VALU_DEP_1)
	v_cvt_f32_i32_e32 v2, v2
	v_ldexp_f32 v2, v2, v3
	s_delay_alu instid0(VALU_DEP_1) | instskip(NEXT) | instid1(VALU_DEP_1)
	v_bfe_u32 v3, v2, 16, 1
	v_add3_u32 v2, v2, v3, 0x7fff
	s_delay_alu instid0(VALU_DEP_1)
	v_lshrrev_b32_e32 v2, 16, v2
	s_branch .LBB34_643
.LBB34_640:
	s_mov_b32 s1, -1
                                        ; implicit-def: $vgpr2
	s_branch .LBB34_649
.LBB34_641:
	s_mov_b32 s1, -1
                                        ; implicit-def: $vgpr2
	s_branch .LBB34_646
.LBB34_642:
	s_mov_b32 s1, -1
                                        ; implicit-def: $vgpr2
.LBB34_643:
	s_delay_alu instid0(SALU_CYCLE_1)
	s_and_not1_b32 vcc_lo, exec_lo, s1
	s_cbranch_vccnz .LBB34_645
; %bb.644:
	s_wait_loadcnt 0x0
	global_load_b32 v2, v[0:1], off
	s_wait_loadcnt 0x0
	v_cvt_f32_i32_e32 v2, v2
	s_delay_alu instid0(VALU_DEP_1) | instskip(NEXT) | instid1(VALU_DEP_1)
	v_bfe_u32 v3, v2, 16, 1
	v_add3_u32 v2, v2, v3, 0x7fff
	s_delay_alu instid0(VALU_DEP_1)
	v_lshrrev_b32_e32 v2, 16, v2
.LBB34_645:
	s_mov_b32 s1, 0
.LBB34_646:
	s_delay_alu instid0(SALU_CYCLE_1)
	s_and_not1_b32 vcc_lo, exec_lo, s1
	s_cbranch_vccnz .LBB34_648
; %bb.647:
	s_wait_loadcnt 0x0
	global_load_i16 v2, v[0:1], off
	s_wait_loadcnt 0x0
	v_cvt_f32_i32_e32 v2, v2
	s_delay_alu instid0(VALU_DEP_1) | instskip(NEXT) | instid1(VALU_DEP_1)
	v_bfe_u32 v3, v2, 16, 1
	v_add3_u32 v2, v2, v3, 0x7fff
	s_delay_alu instid0(VALU_DEP_1)
	v_lshrrev_b32_e32 v2, 16, v2
.LBB34_648:
	s_mov_b32 s1, 0
.LBB34_649:
	s_delay_alu instid0(SALU_CYCLE_1)
	s_and_not1_b32 vcc_lo, exec_lo, s1
	s_cbranch_vccnz .LBB34_655
; %bb.650:
	s_cmp_gt_i32 s0, 0
	s_mov_b32 s0, 0
	s_cbranch_scc0 .LBB34_652
; %bb.651:
	s_wait_loadcnt 0x0
	global_load_i8 v2, v[0:1], off
	s_wait_loadcnt 0x0
	v_cvt_f32_i32_e32 v2, v2
	s_delay_alu instid0(VALU_DEP_1) | instskip(NEXT) | instid1(VALU_DEP_1)
	v_bfe_u32 v3, v2, 16, 1
	v_add3_u32 v2, v2, v3, 0x7fff
	s_delay_alu instid0(VALU_DEP_1)
	v_lshrrev_b32_e32 v2, 16, v2
	s_branch .LBB34_653
.LBB34_652:
	s_mov_b32 s0, -1
                                        ; implicit-def: $vgpr2
.LBB34_653:
	s_delay_alu instid0(SALU_CYCLE_1)
	s_and_not1_b32 vcc_lo, exec_lo, s0
	s_cbranch_vccnz .LBB34_655
; %bb.654:
	global_load_u8 v0, v[0:1], off
	s_wait_loadcnt 0x0
	v_cvt_f32_ubyte0_e32 v0, v0
	s_delay_alu instid0(VALU_DEP_1) | instskip(NEXT) | instid1(VALU_DEP_1)
	v_bfe_u32 v1, v0, 16, 1
	v_add3_u32 v0, v0, v1, 0x7fff
	s_delay_alu instid0(VALU_DEP_1)
	v_lshrrev_b32_e32 v2, 16, v0
.LBB34_655:
	s_mov_b32 s1, -1
.LBB34_656:
	s_delay_alu instid0(SALU_CYCLE_1)
	s_and_not1_b32 vcc_lo, exec_lo, s1
	s_cbranch_vccnz .LBB34_668
; %bb.657:
	s_wait_loadcnt 0x0
	v_lshlrev_b32_e32 v0, 16, v2
                                        ; implicit-def: $vgpr3
                                        ; implicit-def: $vgpr2
	s_mov_b32 s1, exec_lo
	s_delay_alu instid0(VALU_DEP_1)
	v_and_b32_e32 v1, 0x7fffffff, v0
	v_cmpx_ngt_f32_e64 0x48000000, |v0|
	s_xor_b32 s21, exec_lo, s1
	s_cbranch_execz .LBB34_659
; %bb.658:
	s_mov_b32 s0, 0x7fffff
	v_mov_b32_e32 v3, 0
	v_and_or_b32 v2, v1, s0, 0x800000
	s_mov_b64 s[0:1], 0xfe5163ab
	v_lshrrev_b32_e32 v5, 23, v1
	s_delay_alu instid0(VALU_DEP_2) | instskip(NEXT) | instid1(VALU_DEP_1)
	v_mul_u64_e32 v[6:7], s[0:1], v[2:3]
	v_dual_mov_b32 v8, v7 :: v_dual_mov_b32 v9, v3
	v_dual_mov_b32 v11, v3 :: v_dual_mov_b32 v13, v3
	v_mov_b32_e32 v15, v3
	s_delay_alu instid0(VALU_DEP_3) | instskip(NEXT) | instid1(VALU_DEP_1)
	v_mad_nc_u64_u32 v[8:9], 0x3c439041, v2, v[8:9]
	v_mov_b32_e32 v10, v9
	s_delay_alu instid0(VALU_DEP_1) | instskip(NEXT) | instid1(VALU_DEP_1)
	v_mad_nc_u64_u32 v[10:11], 0xdb629599, v2, v[10:11]
	v_mov_b32_e32 v12, v11
	s_delay_alu instid0(VALU_DEP_1) | instskip(NEXT) | instid1(VALU_DEP_1)
	;; [unrolled: 3-line block ×3, first 2 shown]
	v_mad_nc_u64_u32 v[14:15], 0xfc2757d1, v2, v[14:15]
	v_dual_mov_b32 v17, v3 :: v_dual_mov_b32 v16, v15
	s_delay_alu instid0(VALU_DEP_1) | instskip(NEXT) | instid1(VALU_DEP_1)
	v_mad_nc_u64_u32 v[16:17], 0x4e441529, v2, v[16:17]
	v_dual_mov_b32 v18, v17 :: v_dual_add_nc_u32 v5, 0xffffff88, v5
	s_delay_alu instid0(VALU_DEP_1) | instskip(SKIP_2) | instid1(VALU_DEP_2)
	v_cmp_lt_u32_e32 vcc_lo, 63, v5
	v_mov_b32_e32 v19, v3
	v_cndmask_b32_e64 v7, 0, 0xffffffc0, vcc_lo
	v_mad_nc_u64_u32 v[2:3], 0xa2f9836e, v2, v[18:19]
	v_dual_cndmask_b32 v9, v16, v12, vcc_lo :: v_dual_cndmask_b32 v11, v14, v10, vcc_lo
	s_delay_alu instid0(VALU_DEP_3) | instskip(NEXT) | instid1(VALU_DEP_1)
	v_dual_cndmask_b32 v6, v10, v6 :: v_dual_add_nc_u32 v5, v7, v5
	v_cmp_lt_u32_e64 s0, 31, v5
	s_delay_alu instid0(VALU_DEP_4) | instskip(NEXT) | instid1(VALU_DEP_2)
	v_dual_cndmask_b32 v2, v2, v14 :: v_dual_cndmask_b32 v3, v3, v16
	v_cndmask_b32_e64 v7, 0, 0xffffffe0, s0
	s_delay_alu instid0(VALU_DEP_1) | instskip(NEXT) | instid1(VALU_DEP_1)
	v_add_nc_u32_e32 v5, v7, v5
	v_cmp_lt_u32_e64 s1, 31, v5
	s_delay_alu instid0(VALU_DEP_1) | instskip(NEXT) | instid1(VALU_DEP_1)
	v_cndmask_b32_e64 v7, 0, 0xffffffe0, s1
	v_dual_add_nc_u32 v5, v7, v5 :: v_dual_cndmask_b32 v7, v12, v8, vcc_lo
	v_dual_cndmask_b32 v8, v2, v9, s0 :: v_dual_cndmask_b32 v2, v3, v2, s0
	s_delay_alu instid0(VALU_DEP_2) | instskip(NEXT) | instid1(VALU_DEP_3)
	v_dual_cndmask_b32 v3, v9, v11, s0 :: v_dual_sub_nc_u32 v9, 32, v5
	v_cndmask_b32_e64 v11, v11, v7, s0
	v_cmp_eq_u32_e32 vcc_lo, 0, v5
	s_delay_alu instid0(VALU_DEP_3) | instskip(SKIP_1) | instid1(VALU_DEP_4)
	v_dual_cndmask_b32 v2, v2, v8, s1 :: v_dual_cndmask_b32 v8, v8, v3, s1
	v_cndmask_b32_e64 v5, v7, v6, s0
	v_cndmask_b32_e64 v3, v3, v11, s1
	s_delay_alu instid0(VALU_DEP_3) | instskip(NEXT) | instid1(VALU_DEP_2)
	v_alignbit_b32 v12, v2, v8, v9
	v_alignbit_b32 v10, v8, v3, v9
	s_delay_alu instid0(VALU_DEP_1) | instskip(NEXT) | instid1(VALU_DEP_1)
	v_dual_cndmask_b32 v2, v12, v2, vcc_lo :: v_dual_cndmask_b32 v6, v10, v8, vcc_lo
	v_bfe_u32 v7, v2, 29, 1
	s_delay_alu instid0(VALU_DEP_2) | instskip(NEXT) | instid1(VALU_DEP_2)
	v_alignbit_b32 v8, v2, v6, 30
	v_dual_sub_nc_u32 v10, 0, v7 :: v_dual_cndmask_b32 v5, v11, v5, s1
	s_delay_alu instid0(VALU_DEP_1) | instskip(NEXT) | instid1(VALU_DEP_2)
	v_xor_b32_e32 v8, v8, v10
	v_alignbit_b32 v9, v3, v5, v9
	s_delay_alu instid0(VALU_DEP_1) | instskip(NEXT) | instid1(VALU_DEP_3)
	v_cndmask_b32_e32 v3, v9, v3, vcc_lo
	v_clz_i32_u32_e32 v9, v8
	s_delay_alu instid0(VALU_DEP_2) | instskip(NEXT) | instid1(VALU_DEP_2)
	v_alignbit_b32 v6, v6, v3, 30
	v_min_u32_e32 v9, 32, v9
	v_alignbit_b32 v3, v3, v5, 30
	s_delay_alu instid0(VALU_DEP_2) | instskip(NEXT) | instid1(VALU_DEP_2)
	v_dual_sub_nc_u32 v6, 31, v9 :: v_dual_bitop2_b32 v5, v6, v10 bitop3:0x14
	v_xor_b32_e32 v3, v3, v10
	v_dual_lshrrev_b32 v10, 29, v2 :: v_dual_lshlrev_b32 v11, 23, v9
	s_delay_alu instid0(VALU_DEP_3) | instskip(NEXT) | instid1(VALU_DEP_3)
	v_alignbit_b32 v8, v8, v5, v6
	v_alignbit_b32 v3, v5, v3, v6
	s_delay_alu instid0(VALU_DEP_3) | instskip(NEXT) | instid1(VALU_DEP_2)
	v_lshlrev_b32_e32 v5, 31, v10
	v_alignbit_b32 v6, v8, v3, 9
	s_delay_alu instid0(VALU_DEP_2) | instskip(NEXT) | instid1(VALU_DEP_2)
	v_dual_lshrrev_b32 v8, 9, v8 :: v_dual_bitop2_b32 v10, 0.5, v5 bitop3:0x54
	v_clz_i32_u32_e32 v12, v6
	s_delay_alu instid0(VALU_DEP_2) | instskip(SKIP_1) | instid1(VALU_DEP_3)
	v_sub_nc_u32_e32 v10, v10, v11
	v_or_b32_e32 v5, 0x33000000, v5
	v_min_u32_e32 v11, 32, v12
	s_delay_alu instid0(VALU_DEP_1) | instskip(NEXT) | instid1(VALU_DEP_4)
	v_add_lshl_u32 v9, v11, v9, 23
	v_or_b32_e32 v8, v8, v10
	v_not_b32_e32 v10, v11
	s_delay_alu instid0(VALU_DEP_3) | instskip(NEXT) | instid1(VALU_DEP_2)
	v_sub_nc_u32_e32 v5, v5, v9
	v_alignbit_b32 v3, v6, v3, v10
	s_delay_alu instid0(VALU_DEP_1) | instskip(NEXT) | instid1(VALU_DEP_1)
	v_dual_mul_f32 v12, 0x3fc90fda, v8 :: v_dual_lshrrev_b32 v3, 9, v3
	v_fma_f32 v6, 0x3fc90fda, v8, -v12
	s_delay_alu instid0(VALU_DEP_2) | instskip(NEXT) | instid1(VALU_DEP_2)
	v_or_b32_e32 v3, v5, v3
	v_fmamk_f32 v6, v8, 0x33a22168, v6
	s_delay_alu instid0(VALU_DEP_1) | instskip(NEXT) | instid1(VALU_DEP_1)
	v_dual_fmac_f32 v6, 0x3fc90fda, v3 :: v_dual_lshrrev_b32 v3, 30, v2
	v_dual_add_f32 v2, v12, v6 :: v_dual_add_nc_u32 v3, v7, v3
.LBB34_659:
	s_and_not1_saveexec_b32 s0, s21
; %bb.660:
	v_mul_f32_e64 v2, 0x3f22f983, |v0|
	s_delay_alu instid0(VALU_DEP_1) | instskip(NEXT) | instid1(VALU_DEP_1)
	v_rndne_f32_e32 v3, v2
	v_fma_f32 v2, 0xbfc90fda, v3, |v0|
	s_delay_alu instid0(VALU_DEP_1) | instskip(NEXT) | instid1(VALU_DEP_1)
	v_fmamk_f32 v2, v3, 0xb3a22168, v2
	v_fmamk_f32 v2, v3, 0xa7c234c4, v2
	v_cvt_i32_f32_e32 v3, v3
; %bb.661:
	s_or_b32 exec_lo, exec_lo, s0
	s_delay_alu instid0(VALU_DEP_1) | instskip(SKIP_3) | instid1(VALU_DEP_1)
	v_dual_mul_f32 v5, v2, v2 :: v_dual_bitop2_b32 v8, 1, v3 bitop3:0x40
	s_mov_b32 s0, 0xb94c1982
	s_mov_b32 s1, 0x37d75334
	;; [unrolled: 1-line block ×3, first 2 shown]
	v_dual_fmaak_f32 v6, s0, v5, 0x3c0881c4 :: v_dual_lshlrev_b32 v3, 30, v3
	v_cmp_eq_u32_e32 vcc_lo, 0, v8
	s_mov_b32 s21, -1
	s_mov_b32 s0, s17
	s_delay_alu instid0(VALU_DEP_2) | instskip(SKIP_3) | instid1(SALU_CYCLE_1)
	v_fmaak_f32 v6, v5, v6, 0xbe2aaa9d
	v_fmaak_f32 v7, s1, v5, 0xbab64f3b
	v_bitop3_b32 v1, v1, v3, 0x80000000 bitop3:0x78
	s_and_b32 s1, s8, 0xff
	s_cmp_lt_i32 s1, 11
	s_delay_alu instid0(VALU_DEP_2) | instskip(NEXT) | instid1(VALU_DEP_1)
	v_dual_mul_f32 v6, v5, v6 :: v_dual_fmaak_f32 v7, v5, v7, 0x3d2aabf7
	v_dual_fmac_f32 v2, v2, v6 :: v_dual_fmaak_f32 v7, v5, v7, 0xbf000004
	s_delay_alu instid0(VALU_DEP_1) | instskip(NEXT) | instid1(VALU_DEP_1)
	v_fma_f32 v5, v5, v7, 1.0
	v_cndmask_b32_e32 v2, v5, v2, vcc_lo
	v_cmp_class_f32_e64 vcc_lo, v0, 0x1f8
	s_delay_alu instid0(VALU_DEP_2) | instskip(SKIP_1) | instid1(VALU_DEP_2)
	v_xor3_b32 v1, v1, v2, v0
	v_mul_lo_u32 v0, v4, s2
	v_cndmask_b32_e32 v2, 0x7fc00000, v1, vcc_lo
	s_delay_alu instid0(VALU_DEP_1) | instskip(NEXT) | instid1(VALU_DEP_1)
	v_bfe_u32 v1, v2, 16, 1
	v_add3_u32 v3, v2, v1, 0x7fff
	s_delay_alu instid0(VALU_DEP_1) | instskip(SKIP_1) | instid1(VALU_DEP_2)
	v_dual_ashrrev_i32 v1, 31, v0 :: v_dual_lshrrev_b32 v3, 16, v3
	v_cmp_o_f32_e32 vcc_lo, v2, v2
	v_add_nc_u64_e32 v[0:1], s[4:5], v[0:1]
	s_delay_alu instid0(VALU_DEP_3)
	v_cndmask_b32_e32 v2, 0x7fc0, v3, vcc_lo
	s_cbranch_scc1 .LBB34_669
; %bb.662:
	s_and_b32 s21, 0xffff, s1
	s_delay_alu instid0(SALU_CYCLE_1)
	s_cmp_gt_i32 s21, 25
	s_cbranch_scc0 .LBB34_710
; %bb.663:
	s_cmp_gt_i32 s21, 28
	s_cbranch_scc0 .LBB34_711
; %bb.664:
	;; [unrolled: 3-line block ×4, first 2 shown]
	s_mov_b32 s23, 0
	s_mov_b32 s0, -1
	s_cmp_eq_u32 s21, 46
	s_cbranch_scc0 .LBB34_714
; %bb.667:
	v_and_b32_e32 v3, 0xffff, v2
	s_mov_b32 s22, -1
	s_mov_b32 s0, 0
	global_store_b32 v[0:1], v3, off
	s_branch .LBB34_714
.LBB34_668:
	s_mov_b32 s21, 0
	s_mov_b32 s0, s17
	s_branch .LBB34_709
.LBB34_669:
	s_and_b32 vcc_lo, exec_lo, s21
	s_cbranch_vccz .LBB34_783
; %bb.670:
	s_and_b32 s1, 0xffff, s1
	s_mov_b32 s21, -1
	s_cmp_lt_i32 s1, 5
	s_cbranch_scc1 .LBB34_691
; %bb.671:
	s_cmp_lt_i32 s1, 8
	s_cbranch_scc1 .LBB34_681
; %bb.672:
	;; [unrolled: 3-line block ×3, first 2 shown]
	s_cmp_gt_i32 s1, 9
	s_cbranch_scc0 .LBB34_675
; %bb.674:
	s_wait_xcnt 0x0
	v_dual_mov_b32 v8, 0 :: v_dual_lshlrev_b32 v3, 16, v2
	s_mov_b32 s21, 0
	s_delay_alu instid0(VALU_DEP_1) | instskip(NEXT) | instid1(VALU_DEP_2)
	v_cvt_f64_f32_e32 v[6:7], v3
	v_mov_b32_e32 v9, v8
	global_store_b128 v[0:1], v[6:9], off
.LBB34_675:
	s_and_not1_b32 vcc_lo, exec_lo, s21
	s_cbranch_vccnz .LBB34_677
; %bb.676:
	s_wait_xcnt 0x0
	v_dual_mov_b32 v7, 0 :: v_dual_lshlrev_b32 v6, 16, v2
	global_store_b64 v[0:1], v[6:7], off
.LBB34_677:
	s_mov_b32 s21, 0
.LBB34_678:
	s_delay_alu instid0(SALU_CYCLE_1)
	s_and_not1_b32 vcc_lo, exec_lo, s21
	s_cbranch_vccnz .LBB34_680
; %bb.679:
	s_wait_xcnt 0x0
	v_lshlrev_b32_e32 v3, 16, v2
	s_delay_alu instid0(VALU_DEP_1) | instskip(NEXT) | instid1(VALU_DEP_1)
	v_cvt_f16_f32_e32 v3, v3
	v_and_b32_e32 v3, 0xffff, v3
	global_store_b32 v[0:1], v3, off
.LBB34_680:
	s_mov_b32 s21, 0
.LBB34_681:
	s_delay_alu instid0(SALU_CYCLE_1)
	s_and_not1_b32 vcc_lo, exec_lo, s21
	s_cbranch_vccnz .LBB34_690
; %bb.682:
	s_cmp_lt_i32 s1, 6
	s_mov_b32 s21, -1
	s_cbranch_scc1 .LBB34_688
; %bb.683:
	s_cmp_gt_i32 s1, 6
	s_cbranch_scc0 .LBB34_685
; %bb.684:
	s_wait_xcnt 0x0
	v_lshlrev_b32_e32 v3, 16, v2
	s_mov_b32 s21, 0
	s_delay_alu instid0(VALU_DEP_1)
	v_cvt_f64_f32_e32 v[6:7], v3
	global_store_b64 v[0:1], v[6:7], off
.LBB34_685:
	s_and_not1_b32 vcc_lo, exec_lo, s21
	s_cbranch_vccnz .LBB34_687
; %bb.686:
	s_wait_xcnt 0x0
	v_lshlrev_b32_e32 v3, 16, v2
	global_store_b32 v[0:1], v3, off
.LBB34_687:
	s_mov_b32 s21, 0
.LBB34_688:
	s_delay_alu instid0(SALU_CYCLE_1)
	s_and_not1_b32 vcc_lo, exec_lo, s21
	s_cbranch_vccnz .LBB34_690
; %bb.689:
	s_wait_xcnt 0x0
	v_lshlrev_b32_e32 v3, 16, v2
	s_delay_alu instid0(VALU_DEP_1)
	v_cvt_f16_f32_e32 v3, v3
	global_store_b16 v[0:1], v3, off
.LBB34_690:
	s_mov_b32 s21, 0
.LBB34_691:
	s_delay_alu instid0(SALU_CYCLE_1)
	s_and_not1_b32 vcc_lo, exec_lo, s21
	s_cbranch_vccnz .LBB34_707
; %bb.692:
	s_cmp_lt_i32 s1, 2
	s_mov_b32 s21, -1
	s_cbranch_scc1 .LBB34_702
; %bb.693:
	s_cmp_lt_i32 s1, 3
	s_cbranch_scc1 .LBB34_699
; %bb.694:
	s_cmp_gt_i32 s1, 3
	s_cbranch_scc0 .LBB34_696
; %bb.695:
	s_wait_xcnt 0x0
	v_lshlrev_b32_e32 v3, 16, v2
	s_mov_b32 s21, 0
	s_delay_alu instid0(VALU_DEP_1) | instskip(NEXT) | instid1(VALU_DEP_1)
	v_trunc_f32_e32 v3, v3
	v_mul_f32_e64 v5, 0x2f800000, |v3|
	v_ashrrev_i32_e32 v6, 31, v3
	s_delay_alu instid0(VALU_DEP_2) | instskip(NEXT) | instid1(VALU_DEP_1)
	v_floor_f32_e32 v5, v5
	v_fma_f32 v7, 0xcf800000, v5, |v3|
	v_cvt_u32_f32_e32 v3, v5
	s_delay_alu instid0(VALU_DEP_2) | instskip(NEXT) | instid1(VALU_DEP_2)
	v_cvt_u32_f32_e32 v5, v7
	v_dual_mov_b32 v7, v6 :: v_dual_bitop2_b32 v9, v3, v6 bitop3:0x14
	s_delay_alu instid0(VALU_DEP_2) | instskip(NEXT) | instid1(VALU_DEP_1)
	v_xor_b32_e32 v8, v5, v6
	v_sub_nc_u64_e32 v[6:7], v[8:9], v[6:7]
	global_store_b64 v[0:1], v[6:7], off
.LBB34_696:
	s_and_not1_b32 vcc_lo, exec_lo, s21
	s_cbranch_vccnz .LBB34_698
; %bb.697:
	s_wait_xcnt 0x0
	v_lshlrev_b32_e32 v3, 16, v2
	s_delay_alu instid0(VALU_DEP_1)
	v_cvt_i32_f32_e32 v3, v3
	global_store_b32 v[0:1], v3, off
.LBB34_698:
	s_mov_b32 s21, 0
.LBB34_699:
	s_delay_alu instid0(SALU_CYCLE_1)
	s_and_not1_b32 vcc_lo, exec_lo, s21
	s_cbranch_vccnz .LBB34_701
; %bb.700:
	s_wait_xcnt 0x0
	v_lshlrev_b32_e32 v3, 16, v2
	s_delay_alu instid0(VALU_DEP_1)
	v_cvt_i32_f32_e32 v3, v3
	global_store_b16 v[0:1], v3, off
.LBB34_701:
	s_mov_b32 s21, 0
.LBB34_702:
	s_delay_alu instid0(SALU_CYCLE_1)
	s_and_not1_b32 vcc_lo, exec_lo, s21
	s_cbranch_vccnz .LBB34_707
; %bb.703:
	s_wait_xcnt 0x0
	v_lshlrev_b32_e32 v2, 16, v2
	s_cmp_gt_i32 s1, 0
	s_mov_b32 s1, -1
	s_cbranch_scc0 .LBB34_705
; %bb.704:
	s_delay_alu instid0(VALU_DEP_1)
	v_cvt_i32_f32_e32 v3, v2
	s_mov_b32 s1, 0
	global_store_b8 v[0:1], v3, off
.LBB34_705:
	s_and_not1_b32 vcc_lo, exec_lo, s1
	s_cbranch_vccnz .LBB34_707
; %bb.706:
	v_trunc_f32_e32 v2, v2
	s_wait_xcnt 0x0
	s_delay_alu instid0(VALU_DEP_1) | instskip(NEXT) | instid1(VALU_DEP_1)
	v_mul_f32_e64 v3, 0x2f800000, |v2|
	v_floor_f32_e32 v3, v3
	s_delay_alu instid0(VALU_DEP_1) | instskip(SKIP_1) | instid1(VALU_DEP_2)
	v_fma_f32 v3, 0xcf800000, v3, |v2|
	v_ashrrev_i32_e32 v2, 31, v2
	v_cvt_u32_f32_e32 v3, v3
	s_delay_alu instid0(VALU_DEP_1) | instskip(NEXT) | instid1(VALU_DEP_1)
	v_xor_b32_e32 v3, v3, v2
	v_sub_nc_u32_e32 v2, v3, v2
	global_store_b8 v[0:1], v2, off
.LBB34_707:
	s_branch .LBB34_784
.LBB34_708:
	s_mov_b32 s21, 0
.LBB34_709:
                                        ; implicit-def: $vgpr4
	s_branch .LBB34_785
.LBB34_710:
	s_mov_b32 s23, -1
	s_mov_b32 s0, s17
	s_branch .LBB34_741
.LBB34_711:
	s_mov_b32 s23, -1
	s_mov_b32 s0, s17
	s_branch .LBB34_724
.LBB34_712:
	s_mov_b32 s23, -1
	s_mov_b32 s0, s17
	s_branch .LBB34_720
.LBB34_713:
	s_mov_b32 s23, -1
	s_mov_b32 s0, s17
.LBB34_714:
	s_and_b32 vcc_lo, exec_lo, s23
	s_cbranch_vccz .LBB34_719
; %bb.715:
	s_cmp_eq_u32 s21, 44
	s_mov_b32 s0, -1
	s_cbranch_scc0 .LBB34_719
; %bb.716:
	s_wait_xcnt 0x0
	v_and_b32_e32 v3, 0xffff, v2
	v_mov_b32_e32 v5, 0xff
	s_mov_b32 s22, exec_lo
	s_delay_alu instid0(VALU_DEP_2) | instskip(NEXT) | instid1(VALU_DEP_1)
	v_bfe_u32 v6, v3, 7, 8
	v_cmpx_ne_u32_e32 0xff, v6
	s_cbranch_execz .LBB34_718
; %bb.717:
	v_dual_lshlrev_b32 v5, 16, v3 :: v_dual_bitop2_b32 v7, 64, v3 bitop3:0x40
	v_lshrrev_b32_e32 v3, 7, v3
	s_delay_alu instid0(VALU_DEP_2) | instskip(NEXT) | instid1(VALU_DEP_3)
	v_and_or_b32 v5, 0x3f0000, v5, v6
	v_cmp_ne_u32_e32 vcc_lo, 0, v7
	s_delay_alu instid0(VALU_DEP_2) | instskip(SKIP_1) | instid1(SALU_CYCLE_1)
	v_cmp_ne_u32_e64 s0, 0, v5
	s_and_b32 s0, vcc_lo, s0
	v_cndmask_b32_e64 v5, 0, 1, s0
	s_delay_alu instid0(VALU_DEP_1)
	v_add_nc_u32_e32 v5, v3, v5
.LBB34_718:
	s_or_b32 exec_lo, exec_lo, s22
	s_mov_b32 s22, -1
	s_mov_b32 s0, 0
	global_store_b8 v[0:1], v5, off
.LBB34_719:
	s_mov_b32 s23, 0
.LBB34_720:
	s_delay_alu instid0(SALU_CYCLE_1)
	s_and_b32 vcc_lo, exec_lo, s23
	s_cbranch_vccz .LBB34_723
; %bb.721:
	s_cmp_eq_u32 s21, 29
	s_mov_b32 s0, -1
	s_cbranch_scc0 .LBB34_723
; %bb.722:
	s_wait_xcnt 0x0
	v_lshlrev_b32_e32 v3, 16, v2
	s_mov_b32 s22, -1
	s_mov_b32 s0, 0
	s_mov_b32 s23, 0
	s_delay_alu instid0(VALU_DEP_1) | instskip(NEXT) | instid1(VALU_DEP_1)
	v_trunc_f32_e32 v3, v3
	v_mul_f32_e32 v5, 0x2f800000, v3
	s_delay_alu instid0(VALU_DEP_1) | instskip(NEXT) | instid1(VALU_DEP_1)
	v_floor_f32_e32 v5, v5
	v_fmamk_f32 v3, v5, 0xcf800000, v3
	v_cvt_u32_f32_e32 v7, v5
	s_delay_alu instid0(VALU_DEP_2)
	v_cvt_u32_f32_e32 v6, v3
	global_store_b64 v[0:1], v[6:7], off
	s_branch .LBB34_724
.LBB34_723:
	s_mov_b32 s23, 0
.LBB34_724:
	s_delay_alu instid0(SALU_CYCLE_1)
	s_and_b32 vcc_lo, exec_lo, s23
	s_cbranch_vccz .LBB34_740
; %bb.725:
	s_cmp_lt_i32 s21, 27
	s_mov_b32 s22, -1
	s_cbranch_scc1 .LBB34_731
; %bb.726:
	s_cmp_gt_i32 s21, 27
	s_cbranch_scc0 .LBB34_728
; %bb.727:
	s_wait_xcnt 0x0
	v_lshlrev_b32_e32 v3, 16, v2
	s_mov_b32 s22, 0
	s_delay_alu instid0(VALU_DEP_1)
	v_cvt_u32_f32_e32 v3, v3
	global_store_b32 v[0:1], v3, off
.LBB34_728:
	s_and_not1_b32 vcc_lo, exec_lo, s22
	s_cbranch_vccnz .LBB34_730
; %bb.729:
	s_wait_xcnt 0x0
	v_lshlrev_b32_e32 v3, 16, v2
	s_delay_alu instid0(VALU_DEP_1)
	v_cvt_u32_f32_e32 v3, v3
	global_store_b16 v[0:1], v3, off
.LBB34_730:
	s_mov_b32 s22, 0
.LBB34_731:
	s_delay_alu instid0(SALU_CYCLE_1)
	s_and_not1_b32 vcc_lo, exec_lo, s22
	s_cbranch_vccnz .LBB34_739
; %bb.732:
	s_wait_xcnt 0x0
	v_dual_mov_b32 v7, 0x80 :: v_dual_lshlrev_b32 v6, 16, v2
	s_mov_b32 s22, exec_lo
	s_delay_alu instid0(VALU_DEP_1) | instskip(NEXT) | instid1(VALU_DEP_1)
	v_and_b32_e32 v5, 0x7fffffff, v6
	v_cmpx_gt_u32_e32 0x43800000, v5
	s_cbranch_execz .LBB34_738
; %bb.733:
	v_and_b32_e32 v3, 0xffff, v2
	v_cmp_lt_u32_e32 vcc_lo, 0x3bffffff, v5
	s_mov_b32 s23, 0
                                        ; implicit-def: $vgpr5
	s_and_saveexec_b32 s24, vcc_lo
	s_delay_alu instid0(SALU_CYCLE_1)
	s_xor_b32 s24, exec_lo, s24
	s_cbranch_execz .LBB34_799
; %bb.734:
	v_bfe_u32 v5, v3, 4, 1
	s_mov_b32 s23, exec_lo
	s_delay_alu instid0(VALU_DEP_1) | instskip(NEXT) | instid1(VALU_DEP_1)
	v_add3_u32 v5, v6, v5, 0x487ffff
                                        ; implicit-def: $vgpr6
	v_lshrrev_b32_e32 v5, 20, v5
	s_and_not1_saveexec_b32 s24, s24
	s_cbranch_execnz .LBB34_800
.LBB34_735:
	s_or_b32 exec_lo, exec_lo, s24
	v_mov_b32_e32 v7, 0
	s_and_saveexec_b32 s24, s23
.LBB34_736:
	v_lshrrev_b32_e32 v3, 8, v3
	s_delay_alu instid0(VALU_DEP_1)
	v_and_or_b32 v7, 0x80, v3, v5
.LBB34_737:
	s_or_b32 exec_lo, exec_lo, s24
.LBB34_738:
	s_delay_alu instid0(SALU_CYCLE_1)
	s_or_b32 exec_lo, exec_lo, s22
	global_store_b8 v[0:1], v7, off
.LBB34_739:
	s_mov_b32 s22, -1
.LBB34_740:
	s_mov_b32 s23, 0
.LBB34_741:
	s_delay_alu instid0(SALU_CYCLE_1)
	s_and_b32 vcc_lo, exec_lo, s23
	s_cbranch_vccz .LBB34_782
; %bb.742:
	s_cmp_gt_i32 s21, 22
	s_mov_b32 s23, -1
	s_cbranch_scc0 .LBB34_774
; %bb.743:
	s_cmp_lt_i32 s21, 24
	s_mov_b32 s22, -1
	s_cbranch_scc1 .LBB34_763
; %bb.744:
	s_cmp_gt_i32 s21, 24
	s_cbranch_scc0 .LBB34_752
; %bb.745:
	s_wait_xcnt 0x0
	v_dual_mov_b32 v7, 0x80 :: v_dual_lshlrev_b32 v6, 16, v2
	s_mov_b32 s22, exec_lo
	s_delay_alu instid0(VALU_DEP_1) | instskip(NEXT) | instid1(VALU_DEP_1)
	v_and_b32_e32 v5, 0x7fffffff, v6
	v_cmpx_gt_u32_e32 0x47800000, v5
	s_cbranch_execz .LBB34_751
; %bb.746:
	v_and_b32_e32 v3, 0xffff, v2
	v_cmp_lt_u32_e32 vcc_lo, 0x37ffffff, v5
	s_mov_b32 s23, 0
                                        ; implicit-def: $vgpr5
	s_and_saveexec_b32 s24, vcc_lo
	s_delay_alu instid0(SALU_CYCLE_1)
	s_xor_b32 s24, exec_lo, s24
	s_cbranch_execz .LBB34_802
; %bb.747:
	v_bfe_u32 v5, v3, 5, 1
	s_mov_b32 s23, exec_lo
	s_delay_alu instid0(VALU_DEP_1) | instskip(NEXT) | instid1(VALU_DEP_1)
	v_add3_u32 v5, v6, v5, 0x88fffff
                                        ; implicit-def: $vgpr6
	v_lshrrev_b32_e32 v5, 21, v5
	s_and_not1_saveexec_b32 s24, s24
	s_cbranch_execnz .LBB34_803
.LBB34_748:
	s_or_b32 exec_lo, exec_lo, s24
	v_mov_b32_e32 v7, 0
	s_and_saveexec_b32 s24, s23
.LBB34_749:
	v_lshrrev_b32_e32 v3, 8, v3
	s_delay_alu instid0(VALU_DEP_1)
	v_and_or_b32 v7, 0x80, v3, v5
.LBB34_750:
	s_or_b32 exec_lo, exec_lo, s24
.LBB34_751:
	s_delay_alu instid0(SALU_CYCLE_1)
	s_or_b32 exec_lo, exec_lo, s22
	s_mov_b32 s22, 0
	global_store_b8 v[0:1], v7, off
.LBB34_752:
	s_and_b32 vcc_lo, exec_lo, s22
	s_cbranch_vccz .LBB34_762
; %bb.753:
	s_wait_xcnt 0x0
	v_lshlrev_b32_e32 v6, 16, v2
	v_and_b32_e32 v3, 0xffff, v2
	s_mov_b32 s22, exec_lo
                                        ; implicit-def: $vgpr5
	s_delay_alu instid0(VALU_DEP_2) | instskip(NEXT) | instid1(VALU_DEP_1)
	v_and_b32_e32 v7, 0x7fffffff, v6
	v_cmpx_gt_u32_e32 0x43f00000, v7
	s_xor_b32 s22, exec_lo, s22
	s_cbranch_execz .LBB34_759
; %bb.754:
	s_mov_b32 s23, exec_lo
                                        ; implicit-def: $vgpr5
	v_cmpx_lt_u32_e32 0x3c7fffff, v7
	s_xor_b32 s23, exec_lo, s23
; %bb.755:
	v_bfe_u32 v5, v3, 4, 1
	s_delay_alu instid0(VALU_DEP_1) | instskip(NEXT) | instid1(VALU_DEP_1)
	v_add3_u32 v5, v6, v5, 0x407ffff
	v_and_b32_e32 v6, 0xff00000, v5
	v_lshrrev_b32_e32 v5, 20, v5
	s_delay_alu instid0(VALU_DEP_2) | instskip(NEXT) | instid1(VALU_DEP_2)
	v_cmp_ne_u32_e32 vcc_lo, 0x7f00000, v6
                                        ; implicit-def: $vgpr6
	v_cndmask_b32_e32 v5, 0x7e, v5, vcc_lo
; %bb.756:
	s_and_not1_saveexec_b32 s23, s23
; %bb.757:
	v_add_f32_e64 v5, 0x46800000, |v6|
; %bb.758:
	s_or_b32 exec_lo, exec_lo, s23
                                        ; implicit-def: $vgpr7
.LBB34_759:
	s_and_not1_saveexec_b32 s22, s22
; %bb.760:
	v_mov_b32_e32 v5, 0x7f
	v_cmp_lt_u32_e32 vcc_lo, 0x7f800000, v7
	s_delay_alu instid0(VALU_DEP_2)
	v_cndmask_b32_e32 v5, 0x7e, v5, vcc_lo
; %bb.761:
	s_or_b32 exec_lo, exec_lo, s22
	v_lshrrev_b32_e32 v3, 8, v3
	s_delay_alu instid0(VALU_DEP_1)
	v_and_or_b32 v3, 0x80, v3, v5
	global_store_b8 v[0:1], v3, off
.LBB34_762:
	s_mov_b32 s22, 0
.LBB34_763:
	s_delay_alu instid0(SALU_CYCLE_1)
	s_and_not1_b32 vcc_lo, exec_lo, s22
	s_cbranch_vccnz .LBB34_773
; %bb.764:
	s_wait_xcnt 0x0
	v_lshlrev_b32_e32 v6, 16, v2
	v_and_b32_e32 v3, 0xffff, v2
	s_mov_b32 s22, exec_lo
                                        ; implicit-def: $vgpr5
	s_delay_alu instid0(VALU_DEP_2) | instskip(NEXT) | instid1(VALU_DEP_1)
	v_and_b32_e32 v7, 0x7fffffff, v6
	v_cmpx_gt_u32_e32 0x47800000, v7
	s_xor_b32 s22, exec_lo, s22
	s_cbranch_execz .LBB34_770
; %bb.765:
	s_mov_b32 s23, exec_lo
                                        ; implicit-def: $vgpr5
	v_cmpx_lt_u32_e32 0x387fffff, v7
	s_xor_b32 s23, exec_lo, s23
; %bb.766:
	v_bfe_u32 v5, v3, 5, 1
	s_delay_alu instid0(VALU_DEP_1) | instskip(NEXT) | instid1(VALU_DEP_1)
	v_add3_u32 v5, v6, v5, 0x80fffff
                                        ; implicit-def: $vgpr6
	v_lshrrev_b32_e32 v5, 21, v5
; %bb.767:
	s_and_not1_saveexec_b32 s23, s23
; %bb.768:
	v_add_f32_e64 v5, 0x43000000, |v6|
; %bb.769:
	s_or_b32 exec_lo, exec_lo, s23
                                        ; implicit-def: $vgpr7
.LBB34_770:
	s_and_not1_saveexec_b32 s22, s22
; %bb.771:
	v_mov_b32_e32 v5, 0x7f
	v_cmp_lt_u32_e32 vcc_lo, 0x7f800000, v7
	s_delay_alu instid0(VALU_DEP_2)
	v_cndmask_b32_e32 v5, 0x7c, v5, vcc_lo
; %bb.772:
	s_or_b32 exec_lo, exec_lo, s22
	v_lshrrev_b32_e32 v3, 8, v3
	s_delay_alu instid0(VALU_DEP_1)
	v_and_or_b32 v3, 0x80, v3, v5
	global_store_b8 v[0:1], v3, off
.LBB34_773:
	s_mov_b32 s23, 0
	s_mov_b32 s22, -1
.LBB34_774:
	s_and_not1_b32 vcc_lo, exec_lo, s23
	s_cbranch_vccnz .LBB34_782
; %bb.775:
	s_cmp_gt_i32 s21, 14
	s_mov_b32 s23, -1
	s_cbranch_scc0 .LBB34_779
; %bb.776:
	s_cmp_eq_u32 s21, 15
	s_mov_b32 s0, -1
	s_cbranch_scc0 .LBB34_778
; %bb.777:
	s_mov_b32 s22, -1
	s_mov_b32 s0, 0
	global_store_b16 v[0:1], v2, off
.LBB34_778:
	s_mov_b32 s23, 0
.LBB34_779:
	s_delay_alu instid0(SALU_CYCLE_1)
	s_and_b32 vcc_lo, exec_lo, s23
	s_cbranch_vccz .LBB34_782
; %bb.780:
	s_cmp_eq_u32 s21, 11
	s_mov_b32 s0, -1
	s_cbranch_scc0 .LBB34_782
; %bb.781:
	s_wait_xcnt 0x0
	v_and_b32_e32 v3, 0x7fff, v2
	s_mov_b32 s0, 0
	s_mov_b32 s22, -1
	s_delay_alu instid0(VALU_DEP_1)
	v_cmp_ne_u16_e32 vcc_lo, 0, v3
	v_cndmask_b32_e64 v3, 0, 1, vcc_lo
	global_store_b8 v[0:1], v3, off
.LBB34_782:
.LBB34_783:
	s_and_not1_b32 vcc_lo, exec_lo, s22
	s_cbranch_vccnz .LBB34_708
.LBB34_784:
	v_add_nc_u32_e32 v4, 0x80, v4
	s_mov_b32 s21, -1
.LBB34_785:
	s_and_not1_b32 s1, s17, exec_lo
	s_and_b32 s0, s0, exec_lo
	s_and_not1_b32 s22, s16, exec_lo
	s_and_b32 s20, s20, exec_lo
	s_or_b32 s1, s1, s0
	s_or_b32 s0, s22, s20
	s_or_not1_b32 s20, s21, exec_lo
.LBB34_786:
	s_wait_xcnt 0x0
	s_or_b32 exec_lo, exec_lo, s19
	s_mov_b32 s21, 0
	s_mov_b32 s22, 0
	;; [unrolled: 1-line block ×3, first 2 shown]
                                        ; implicit-def: $vgpr0_vgpr1
                                        ; implicit-def: $vgpr3
	s_and_saveexec_b32 s19, s20
	s_cbranch_execz .LBB34_871
; %bb.787:
	v_cmp_gt_i32_e32 vcc_lo, s13, v4
	s_mov_b32 s20, 0
	s_mov_b32 s21, s0
	;; [unrolled: 1-line block ×3, first 2 shown]
                                        ; implicit-def: $vgpr0_vgpr1
                                        ; implicit-def: $vgpr3
	s_and_saveexec_b32 s13, vcc_lo
	s_cbranch_execz .LBB34_870
; %bb.788:
	v_mul_lo_u32 v0, v4, s3
	s_and_b32 s20, 0xffff, s10
	s_delay_alu instid0(SALU_CYCLE_1) | instskip(NEXT) | instid1(VALU_DEP_1)
	s_cmp_lt_i32 s20, 11
	v_ashrrev_i32_e32 v1, 31, v0
	s_delay_alu instid0(VALU_DEP_1)
	v_add_nc_u64_e32 v[0:1], s[6:7], v[0:1]
	s_cbranch_scc1 .LBB34_795
; %bb.789:
	s_cmp_gt_i32 s20, 25
	s_cbranch_scc0 .LBB34_796
; %bb.790:
	s_cmp_gt_i32 s20, 28
	s_cbranch_scc0 .LBB34_797
; %bb.791:
	s_cmp_gt_i32 s20, 43
	s_cbranch_scc0 .LBB34_798
; %bb.792:
	s_cmp_gt_i32 s20, 45
	s_cbranch_scc0 .LBB34_801
; %bb.793:
	s_cmp_eq_u32 s20, 46
	s_cbranch_scc0 .LBB34_804
; %bb.794:
	global_load_b32 v3, v[0:1], off
	s_mov_b32 s21, 0
	s_mov_b32 s23, -1
	s_branch .LBB34_806
.LBB34_795:
	s_mov_b32 s20, -1
	s_mov_b32 s21, s0
                                        ; implicit-def: $vgpr3
	s_branch .LBB34_869
.LBB34_796:
	s_mov_b32 s24, -1
	s_mov_b32 s21, s0
                                        ; implicit-def: $vgpr3
	s_branch .LBB34_835
.LBB34_797:
	s_mov_b32 s24, -1
	s_mov_b32 s21, s0
                                        ; implicit-def: $vgpr3
	s_branch .LBB34_816
.LBB34_798:
	s_mov_b32 s24, -1
	s_mov_b32 s21, s0
                                        ; implicit-def: $vgpr3
	s_branch .LBB34_811
.LBB34_799:
	s_and_not1_saveexec_b32 s24, s24
	s_cbranch_execz .LBB34_735
.LBB34_800:
	v_add_f32_e64 v5, 0x46000000, |v6|
	s_and_not1_b32 s23, s23, exec_lo
	s_delay_alu instid0(VALU_DEP_1) | instskip(NEXT) | instid1(VALU_DEP_1)
	v_and_b32_e32 v5, 0xff, v5
	v_cmp_ne_u32_e32 vcc_lo, 0, v5
	s_and_b32 s25, vcc_lo, exec_lo
	s_delay_alu instid0(SALU_CYCLE_1)
	s_or_b32 s23, s23, s25
	s_or_b32 exec_lo, exec_lo, s24
	v_mov_b32_e32 v7, 0
	s_and_saveexec_b32 s24, s23
	s_cbranch_execnz .LBB34_736
	s_branch .LBB34_737
.LBB34_801:
	s_mov_b32 s24, -1
	s_mov_b32 s21, s0
	s_branch .LBB34_805
.LBB34_802:
	s_and_not1_saveexec_b32 s24, s24
	s_cbranch_execz .LBB34_748
.LBB34_803:
	v_add_f32_e64 v5, 0x42800000, |v6|
	s_and_not1_b32 s23, s23, exec_lo
	s_delay_alu instid0(VALU_DEP_1) | instskip(NEXT) | instid1(VALU_DEP_1)
	v_and_b32_e32 v5, 0xff, v5
	v_cmp_ne_u32_e32 vcc_lo, 0, v5
	s_and_b32 s25, vcc_lo, exec_lo
	s_delay_alu instid0(SALU_CYCLE_1)
	s_or_b32 s23, s23, s25
	s_or_b32 exec_lo, exec_lo, s24
	v_mov_b32_e32 v7, 0
	s_and_saveexec_b32 s24, s23
	s_cbranch_execnz .LBB34_749
	s_branch .LBB34_750
.LBB34_804:
	s_mov_b32 s21, -1
.LBB34_805:
                                        ; implicit-def: $vgpr3
.LBB34_806:
	s_and_b32 vcc_lo, exec_lo, s24
	s_cbranch_vccz .LBB34_810
; %bb.807:
	s_cmp_eq_u32 s20, 44
	s_cbranch_scc0 .LBB34_809
; %bb.808:
	s_wait_loadcnt 0x0
	global_load_u8 v2, v[0:1], off
	s_mov_b32 s21, 0
	s_mov_b32 s23, -1
	s_wait_loadcnt 0x0
	v_lshlrev_b32_e32 v3, 23, v2
	v_cmp_ne_u32_e32 vcc_lo, 0xff, v2
	s_delay_alu instid0(VALU_DEP_2) | instskip(SKIP_1) | instid1(VALU_DEP_2)
	v_cndmask_b32_e32 v3, 0x7f800001, v3, vcc_lo
	v_cmp_ne_u32_e32 vcc_lo, 0, v2
	v_cndmask_b32_e32 v2, 0x400000, v3, vcc_lo
	s_delay_alu instid0(VALU_DEP_1) | instskip(NEXT) | instid1(VALU_DEP_1)
	v_add_nc_u32_e32 v3, 0x7fff, v2
	v_lshrrev_b32_e32 v3, 16, v3
	v_cmp_o_f32_e32 vcc_lo, v2, v2
	s_delay_alu instid0(VALU_DEP_2)
	v_cndmask_b32_e32 v3, 0x7fc0, v3, vcc_lo
	s_branch .LBB34_810
.LBB34_809:
	s_mov_b32 s21, -1
                                        ; implicit-def: $vgpr3
.LBB34_810:
	s_mov_b32 s24, 0
.LBB34_811:
	s_delay_alu instid0(SALU_CYCLE_1)
	s_and_b32 vcc_lo, exec_lo, s24
	s_cbranch_vccz .LBB34_815
; %bb.812:
	s_cmp_eq_u32 s20, 29
	s_cbranch_scc0 .LBB34_814
; %bb.813:
	s_wait_loadcnt 0x0
	global_load_b64 v[2:3], v[0:1], off
	s_mov_b32 s21, 0
	s_mov_b32 s23, -1
	s_mov_b32 s24, 0
	s_wait_loadcnt 0x0
	v_clz_i32_u32_e32 v5, v3
	s_delay_alu instid0(VALU_DEP_1) | instskip(NEXT) | instid1(VALU_DEP_1)
	v_min_u32_e32 v5, 32, v5
	v_lshlrev_b64_e32 v[2:3], v5, v[2:3]
	s_delay_alu instid0(VALU_DEP_1) | instskip(NEXT) | instid1(VALU_DEP_1)
	v_min_u32_e32 v2, 1, v2
	v_dual_sub_nc_u32 v3, 32, v5 :: v_dual_bitop2_b32 v2, v3, v2 bitop3:0x54
	s_delay_alu instid0(VALU_DEP_1) | instskip(NEXT) | instid1(VALU_DEP_1)
	v_cvt_f32_u32_e32 v2, v2
	v_ldexp_f32 v2, v2, v3
	s_delay_alu instid0(VALU_DEP_1) | instskip(NEXT) | instid1(VALU_DEP_1)
	v_bfe_u32 v3, v2, 16, 1
	v_add3_u32 v2, v2, v3, 0x7fff
	s_delay_alu instid0(VALU_DEP_1)
	v_lshrrev_b32_e32 v3, 16, v2
	s_branch .LBB34_816
.LBB34_814:
	s_mov_b32 s21, -1
                                        ; implicit-def: $vgpr3
.LBB34_815:
	s_mov_b32 s24, 0
.LBB34_816:
	s_delay_alu instid0(SALU_CYCLE_1)
	s_and_b32 vcc_lo, exec_lo, s24
	s_cbranch_vccz .LBB34_834
; %bb.817:
	s_cmp_lt_i32 s20, 27
	s_cbranch_scc1 .LBB34_820
; %bb.818:
	s_cmp_gt_i32 s20, 27
	s_cbranch_scc0 .LBB34_821
; %bb.819:
	s_wait_loadcnt 0x0
	global_load_b32 v2, v[0:1], off
	s_mov_b32 s23, 0
	s_wait_loadcnt 0x0
	v_cvt_f32_u32_e32 v2, v2
	s_delay_alu instid0(VALU_DEP_1) | instskip(NEXT) | instid1(VALU_DEP_1)
	v_bfe_u32 v3, v2, 16, 1
	v_add3_u32 v2, v2, v3, 0x7fff
	s_delay_alu instid0(VALU_DEP_1)
	v_lshrrev_b32_e32 v3, 16, v2
	s_branch .LBB34_822
.LBB34_820:
	s_mov_b32 s23, -1
                                        ; implicit-def: $vgpr3
	s_branch .LBB34_825
.LBB34_821:
	s_mov_b32 s23, -1
                                        ; implicit-def: $vgpr3
.LBB34_822:
	s_delay_alu instid0(SALU_CYCLE_1)
	s_and_not1_b32 vcc_lo, exec_lo, s23
	s_cbranch_vccnz .LBB34_824
; %bb.823:
	s_wait_loadcnt 0x0
	global_load_u16 v2, v[0:1], off
	s_wait_loadcnt 0x0
	v_cvt_f32_u32_e32 v2, v2
	s_delay_alu instid0(VALU_DEP_1) | instskip(NEXT) | instid1(VALU_DEP_1)
	v_bfe_u32 v3, v2, 16, 1
	v_add3_u32 v2, v2, v3, 0x7fff
	s_delay_alu instid0(VALU_DEP_1)
	v_lshrrev_b32_e32 v3, 16, v2
.LBB34_824:
	s_mov_b32 s23, 0
.LBB34_825:
	s_delay_alu instid0(SALU_CYCLE_1)
	s_and_not1_b32 vcc_lo, exec_lo, s23
	s_cbranch_vccnz .LBB34_833
; %bb.826:
	s_wait_loadcnt 0x0
	global_load_u8 v2, v[0:1], off
	s_mov_b32 s23, 0
	s_mov_b32 s24, exec_lo
	s_wait_loadcnt 0x0
	v_cmpx_lt_i16_e32 0x7f, v2
	s_xor_b32 s24, exec_lo, s24
	s_cbranch_execz .LBB34_847
; %bb.827:
	s_mov_b32 s23, -1
	s_mov_b32 s25, exec_lo
	v_cmpx_eq_u16_e32 0x80, v2
; %bb.828:
	s_xor_b32 s23, exec_lo, -1
; %bb.829:
	s_or_b32 exec_lo, exec_lo, s25
	s_delay_alu instid0(SALU_CYCLE_1)
	s_and_b32 s23, s23, exec_lo
	s_or_saveexec_b32 s24, s24
	v_mov_b32_e32 v3, 0x7f800001
	s_xor_b32 exec_lo, exec_lo, s24
	s_cbranch_execnz .LBB34_848
.LBB34_830:
	s_or_b32 exec_lo, exec_lo, s24
	s_and_saveexec_b32 s24, s23
	s_cbranch_execz .LBB34_832
.LBB34_831:
	v_and_b32_e32 v3, 0xffff, v2
	s_delay_alu instid0(VALU_DEP_1) | instskip(SKIP_1) | instid1(VALU_DEP_2)
	v_and_b32_e32 v5, 7, v3
	v_bfe_u32 v8, v3, 3, 4
	v_clz_i32_u32_e32 v6, v5
	s_delay_alu instid0(VALU_DEP_2) | instskip(NEXT) | instid1(VALU_DEP_2)
	v_cmp_eq_u32_e32 vcc_lo, 0, v8
	v_min_u32_e32 v6, 32, v6
	s_delay_alu instid0(VALU_DEP_1) | instskip(NEXT) | instid1(VALU_DEP_1)
	v_subrev_nc_u32_e32 v7, 28, v6
	v_dual_lshlrev_b32 v3, v7, v3 :: v_dual_sub_nc_u32 v6, 29, v6
	s_delay_alu instid0(VALU_DEP_1) | instskip(NEXT) | instid1(VALU_DEP_1)
	v_dual_lshlrev_b32 v2, 24, v2 :: v_dual_bitop2_b32 v3, 7, v3 bitop3:0x40
	v_dual_cndmask_b32 v3, v5, v3 :: v_dual_cndmask_b32 v6, v8, v6
	s_delay_alu instid0(VALU_DEP_2) | instskip(NEXT) | instid1(VALU_DEP_2)
	v_and_b32_e32 v2, 0x80000000, v2
	v_lshlrev_b32_e32 v3, 20, v3
	s_delay_alu instid0(VALU_DEP_3) | instskip(NEXT) | instid1(VALU_DEP_1)
	v_lshl_add_u32 v5, v6, 23, 0x3b800000
	v_or3_b32 v3, v2, v5, v3
.LBB34_832:
	s_or_b32 exec_lo, exec_lo, s24
	s_delay_alu instid0(VALU_DEP_1) | instskip(SKIP_1) | instid1(VALU_DEP_2)
	v_bfe_u32 v2, v3, 16, 1
	v_cmp_o_f32_e32 vcc_lo, v3, v3
	v_add3_u32 v2, v3, v2, 0x7fff
	s_delay_alu instid0(VALU_DEP_1) | instskip(NEXT) | instid1(VALU_DEP_1)
	v_lshrrev_b32_e32 v2, 16, v2
	v_cndmask_b32_e32 v3, 0x7fc0, v2, vcc_lo
.LBB34_833:
	s_mov_b32 s23, -1
.LBB34_834:
	s_mov_b32 s24, 0
.LBB34_835:
	s_delay_alu instid0(SALU_CYCLE_1)
	s_and_b32 vcc_lo, exec_lo, s24
	s_cbranch_vccz .LBB34_868
; %bb.836:
	s_cmp_gt_i32 s20, 22
	s_cbranch_scc0 .LBB34_846
; %bb.837:
	s_cmp_lt_i32 s20, 24
	s_cbranch_scc1 .LBB34_849
; %bb.838:
	s_cmp_gt_i32 s20, 24
	s_cbranch_scc0 .LBB34_850
; %bb.839:
	s_wait_loadcnt 0x0
	global_load_u8 v2, v[0:1], off
	s_mov_b32 s23, exec_lo
	s_wait_loadcnt 0x0
	v_cmpx_lt_i16_e32 0x7f, v2
	s_xor_b32 s23, exec_lo, s23
	s_cbranch_execz .LBB34_862
; %bb.840:
	s_mov_b32 s22, -1
	s_mov_b32 s24, exec_lo
	v_cmpx_eq_u16_e32 0x80, v2
; %bb.841:
	s_xor_b32 s22, exec_lo, -1
; %bb.842:
	s_or_b32 exec_lo, exec_lo, s24
	s_delay_alu instid0(SALU_CYCLE_1)
	s_and_b32 s22, s22, exec_lo
	s_or_saveexec_b32 s23, s23
	v_mov_b32_e32 v3, 0x7f800001
	s_xor_b32 exec_lo, exec_lo, s23
	s_cbranch_execnz .LBB34_863
.LBB34_843:
	s_or_b32 exec_lo, exec_lo, s23
	s_and_saveexec_b32 s23, s22
	s_cbranch_execz .LBB34_845
.LBB34_844:
	v_and_b32_e32 v3, 0xffff, v2
	s_delay_alu instid0(VALU_DEP_1) | instskip(SKIP_1) | instid1(VALU_DEP_2)
	v_and_b32_e32 v5, 3, v3
	v_bfe_u32 v8, v3, 2, 5
	v_clz_i32_u32_e32 v6, v5
	s_delay_alu instid0(VALU_DEP_2) | instskip(NEXT) | instid1(VALU_DEP_2)
	v_cmp_eq_u32_e32 vcc_lo, 0, v8
	v_min_u32_e32 v6, 32, v6
	s_delay_alu instid0(VALU_DEP_1) | instskip(NEXT) | instid1(VALU_DEP_1)
	v_subrev_nc_u32_e32 v7, 29, v6
	v_dual_lshlrev_b32 v3, v7, v3 :: v_dual_sub_nc_u32 v6, 30, v6
	s_delay_alu instid0(VALU_DEP_1) | instskip(NEXT) | instid1(VALU_DEP_1)
	v_dual_lshlrev_b32 v2, 24, v2 :: v_dual_bitop2_b32 v3, 3, v3 bitop3:0x40
	v_dual_cndmask_b32 v3, v5, v3 :: v_dual_cndmask_b32 v6, v8, v6
	s_delay_alu instid0(VALU_DEP_2) | instskip(NEXT) | instid1(VALU_DEP_2)
	v_and_b32_e32 v2, 0x80000000, v2
	v_lshlrev_b32_e32 v3, 21, v3
	s_delay_alu instid0(VALU_DEP_3) | instskip(NEXT) | instid1(VALU_DEP_1)
	v_lshl_add_u32 v5, v6, 23, 0x37800000
	v_or3_b32 v3, v2, v5, v3
.LBB34_845:
	s_or_b32 exec_lo, exec_lo, s23
	s_delay_alu instid0(VALU_DEP_1) | instskip(SKIP_2) | instid1(VALU_DEP_2)
	v_bfe_u32 v2, v3, 16, 1
	v_cmp_o_f32_e32 vcc_lo, v3, v3
	s_mov_b32 s22, 0
	v_add3_u32 v2, v3, v2, 0x7fff
	s_delay_alu instid0(VALU_DEP_1) | instskip(NEXT) | instid1(VALU_DEP_1)
	v_lshrrev_b32_e32 v2, 16, v2
	v_cndmask_b32_e32 v3, 0x7fc0, v2, vcc_lo
	s_branch .LBB34_851
.LBB34_846:
	s_mov_b32 s22, -1
                                        ; implicit-def: $vgpr3
	s_branch .LBB34_857
.LBB34_847:
	s_or_saveexec_b32 s24, s24
	v_mov_b32_e32 v3, 0x7f800001
	s_xor_b32 exec_lo, exec_lo, s24
	s_cbranch_execz .LBB34_830
.LBB34_848:
	v_cmp_ne_u16_e32 vcc_lo, 0, v2
	v_mov_b32_e32 v3, 0
	s_and_not1_b32 s23, s23, exec_lo
	s_and_b32 s25, vcc_lo, exec_lo
	s_delay_alu instid0(SALU_CYCLE_1)
	s_or_b32 s23, s23, s25
	s_or_b32 exec_lo, exec_lo, s24
	s_and_saveexec_b32 s24, s23
	s_cbranch_execnz .LBB34_831
	s_branch .LBB34_832
.LBB34_849:
	s_mov_b32 s22, -1
                                        ; implicit-def: $vgpr3
	s_branch .LBB34_854
.LBB34_850:
	s_mov_b32 s22, -1
                                        ; implicit-def: $vgpr3
.LBB34_851:
	s_delay_alu instid0(SALU_CYCLE_1)
	s_and_b32 vcc_lo, exec_lo, s22
	s_cbranch_vccz .LBB34_853
; %bb.852:
	s_wait_loadcnt 0x0
	global_load_u8 v2, v[0:1], off
	s_wait_loadcnt 0x0
	v_lshlrev_b32_e32 v2, 24, v2
	s_delay_alu instid0(VALU_DEP_1) | instskip(NEXT) | instid1(VALU_DEP_1)
	v_and_b32_e32 v3, 0x7f000000, v2
	v_clz_i32_u32_e32 v5, v3
	v_add_nc_u32_e32 v7, 0x1000000, v3
	v_cmp_ne_u32_e32 vcc_lo, 0, v3
	s_delay_alu instid0(VALU_DEP_3) | instskip(NEXT) | instid1(VALU_DEP_1)
	v_min_u32_e32 v5, 32, v5
	v_sub_nc_u32_e64 v5, v5, 4 clamp
	s_delay_alu instid0(VALU_DEP_1) | instskip(NEXT) | instid1(VALU_DEP_1)
	v_dual_lshlrev_b32 v6, v5, v3 :: v_dual_lshlrev_b32 v5, 23, v5
	v_lshrrev_b32_e32 v6, 4, v6
	s_delay_alu instid0(VALU_DEP_1) | instskip(NEXT) | instid1(VALU_DEP_1)
	v_dual_sub_nc_u32 v5, v6, v5 :: v_dual_ashrrev_i32 v6, 8, v7
	v_add_nc_u32_e32 v5, 0x3c000000, v5
	s_delay_alu instid0(VALU_DEP_1) | instskip(NEXT) | instid1(VALU_DEP_1)
	v_and_or_b32 v5, 0x7f800000, v6, v5
	v_cndmask_b32_e32 v3, 0, v5, vcc_lo
	s_delay_alu instid0(VALU_DEP_1) | instskip(SKIP_1) | instid1(VALU_DEP_2)
	v_and_or_b32 v2, 0x80000000, v2, v3
	v_bfe_u32 v3, v3, 16, 1
	v_cmp_o_f32_e32 vcc_lo, v2, v2
	s_delay_alu instid0(VALU_DEP_2) | instskip(NEXT) | instid1(VALU_DEP_1)
	v_add3_u32 v3, v2, v3, 0x7fff
	v_lshrrev_b32_e32 v3, 16, v3
	s_delay_alu instid0(VALU_DEP_1)
	v_cndmask_b32_e32 v3, 0x7fc0, v3, vcc_lo
.LBB34_853:
	s_mov_b32 s22, 0
.LBB34_854:
	s_delay_alu instid0(SALU_CYCLE_1)
	s_and_not1_b32 vcc_lo, exec_lo, s22
	s_cbranch_vccnz .LBB34_856
; %bb.855:
	s_wait_loadcnt 0x0
	global_load_u8 v2, v[0:1], off
	s_wait_loadcnt 0x0
	v_lshlrev_b32_e32 v3, 25, v2
	v_lshlrev_b16 v2, 8, v2
	s_delay_alu instid0(VALU_DEP_2) | instskip(NEXT) | instid1(VALU_DEP_2)
	v_cmp_gt_u32_e32 vcc_lo, 0x8000000, v3
	v_and_or_b32 v6, 0x7f00, v2, 0.5
	v_lshrrev_b32_e32 v5, 4, v3
	v_bfe_i32 v2, v2, 0, 16
	s_delay_alu instid0(VALU_DEP_3) | instskip(NEXT) | instid1(VALU_DEP_3)
	v_add_f32_e32 v6, -0.5, v6
	v_or_b32_e32 v5, 0x70000000, v5
	s_delay_alu instid0(VALU_DEP_1) | instskip(NEXT) | instid1(VALU_DEP_1)
	v_mul_f32_e32 v5, 0x7800000, v5
	v_cndmask_b32_e32 v3, v5, v6, vcc_lo
	s_delay_alu instid0(VALU_DEP_1) | instskip(SKIP_1) | instid1(VALU_DEP_2)
	v_and_or_b32 v2, 0x80000000, v2, v3
	v_bfe_u32 v3, v3, 16, 1
	v_cmp_o_f32_e32 vcc_lo, v2, v2
	s_delay_alu instid0(VALU_DEP_2) | instskip(NEXT) | instid1(VALU_DEP_1)
	v_add3_u32 v3, v2, v3, 0x7fff
	v_lshrrev_b32_e32 v3, 16, v3
	s_delay_alu instid0(VALU_DEP_1)
	v_cndmask_b32_e32 v3, 0x7fc0, v3, vcc_lo
.LBB34_856:
	s_mov_b32 s22, 0
	s_mov_b32 s23, -1
.LBB34_857:
	s_and_not1_b32 vcc_lo, exec_lo, s22
	s_mov_b32 s22, 0
	s_cbranch_vccnz .LBB34_868
; %bb.858:
	s_cmp_gt_i32 s20, 14
	s_cbranch_scc0 .LBB34_861
; %bb.859:
	s_cmp_eq_u32 s20, 15
	s_cbranch_scc0 .LBB34_864
; %bb.860:
	s_wait_loadcnt 0x0
	global_load_u16 v3, v[0:1], off
	s_mov_b32 s21, 0
	s_mov_b32 s23, -1
	s_branch .LBB34_866
.LBB34_861:
	s_mov_b32 s22, -1
	s_branch .LBB34_865
.LBB34_862:
	s_or_saveexec_b32 s23, s23
	v_mov_b32_e32 v3, 0x7f800001
	s_xor_b32 exec_lo, exec_lo, s23
	s_cbranch_execz .LBB34_843
.LBB34_863:
	v_cmp_ne_u16_e32 vcc_lo, 0, v2
	v_mov_b32_e32 v3, 0
	s_and_not1_b32 s22, s22, exec_lo
	s_and_b32 s24, vcc_lo, exec_lo
	s_delay_alu instid0(SALU_CYCLE_1)
	s_or_b32 s22, s22, s24
	s_or_b32 exec_lo, exec_lo, s23
	s_and_saveexec_b32 s23, s22
	s_cbranch_execnz .LBB34_844
	s_branch .LBB34_845
.LBB34_864:
	s_mov_b32 s21, -1
.LBB34_865:
                                        ; implicit-def: $vgpr3
.LBB34_866:
	s_and_b32 vcc_lo, exec_lo, s22
	s_mov_b32 s22, 0
	s_cbranch_vccz .LBB34_868
; %bb.867:
	s_cmp_lg_u32 s20, 11
	s_mov_b32 s22, -1
	s_cselect_b32 s20, -1, 0
	s_and_not1_b32 s21, s21, exec_lo
	s_and_b32 s20, s20, exec_lo
	s_delay_alu instid0(SALU_CYCLE_1)
	s_or_b32 s21, s21, s20
.LBB34_868:
	s_mov_b32 s20, 0
.LBB34_869:
	s_and_not1_b32 s25, s0, exec_lo
	s_and_b32 s21, s21, exec_lo
	s_and_b32 s23, s23, exec_lo
	;; [unrolled: 1-line block ×4, first 2 shown]
	s_or_b32 s21, s25, s21
.LBB34_870:
	s_wait_xcnt 0x0
	s_or_b32 exec_lo, exec_lo, s13
	s_delay_alu instid0(SALU_CYCLE_1)
	s_and_not1_b32 s0, s0, exec_lo
	s_and_b32 s13, s21, exec_lo
	s_and_b32 s23, s23, exec_lo
	;; [unrolled: 1-line block ×4, first 2 shown]
	s_or_b32 s0, s0, s13
.LBB34_871:
	s_or_b32 exec_lo, exec_lo, s19
	s_delay_alu instid0(SALU_CYCLE_1)
	s_and_not1_b32 s13, s17, exec_lo
	s_and_b32 s1, s1, exec_lo
	s_and_b32 s0, s0, exec_lo
	s_or_b32 s17, s13, s1
	s_and_not1_b32 s13, s16, exec_lo
	s_and_b32 s20, s23, exec_lo
	s_and_b32 s19, s22, exec_lo
	;; [unrolled: 1-line block ×3, first 2 shown]
	s_or_b32 s16, s13, s0
.LBB34_872:
	s_or_b32 exec_lo, exec_lo, s18
	s_delay_alu instid0(SALU_CYCLE_1)
	s_and_not1_b32 s0, s12, exec_lo
	s_and_b32 s12, s17, exec_lo
	s_and_not1_b32 s13, s14, exec_lo
	s_and_b32 s14, s16, exec_lo
	s_or_b32 s12, s0, s12
	s_and_b32 s0, s20, exec_lo
	s_and_b32 s17, s19, exec_lo
	;; [unrolled: 1-line block ×3, first 2 shown]
	s_or_b32 s14, s13, s14
	s_or_b32 exec_lo, exec_lo, s15
	s_mov_b32 s13, 0
	s_and_saveexec_b32 s1, s14
	s_cbranch_execz .LBB34_266
.LBB34_873:
	s_mov_b32 s13, exec_lo
	s_and_not1_b32 s16, s16, exec_lo
	s_trap 2
	s_or_b32 exec_lo, exec_lo, s1
	s_and_saveexec_b32 s1, s16
	s_delay_alu instid0(SALU_CYCLE_1)
	s_xor_b32 s1, exec_lo, s1
	s_cbranch_execnz .LBB34_267
.LBB34_874:
	s_or_b32 exec_lo, exec_lo, s1
	s_and_saveexec_b32 s1, s17
	s_cbranch_execz .LBB34_920
.LBB34_875:
	s_sext_i32_i16 s14, s10
	s_delay_alu instid0(SALU_CYCLE_1)
	s_cmp_lt_i32 s14, 5
	s_cbranch_scc1 .LBB34_880
; %bb.876:
	s_cmp_lt_i32 s14, 8
	s_cbranch_scc1 .LBB34_881
; %bb.877:
	;; [unrolled: 3-line block ×3, first 2 shown]
	s_cmp_gt_i32 s14, 9
	s_cbranch_scc0 .LBB34_883
; %bb.879:
	s_wait_loadcnt 0x0
	global_load_b64 v[2:3], v[0:1], off
	s_mov_b32 s14, 0
	s_wait_loadcnt 0x0
	v_cvt_f32_f64_e32 v2, v[2:3]
	s_delay_alu instid0(VALU_DEP_1) | instskip(SKIP_1) | instid1(VALU_DEP_2)
	v_bfe_u32 v3, v2, 16, 1
	v_cmp_o_f32_e32 vcc_lo, v2, v2
	v_add3_u32 v3, v2, v3, 0x7fff
	s_delay_alu instid0(VALU_DEP_1) | instskip(NEXT) | instid1(VALU_DEP_1)
	v_lshrrev_b32_e32 v3, 16, v3
	v_cndmask_b32_e32 v3, 0x7fc0, v3, vcc_lo
	s_branch .LBB34_884
.LBB34_880:
                                        ; implicit-def: $vgpr3
	s_branch .LBB34_901
.LBB34_881:
                                        ; implicit-def: $vgpr3
	s_branch .LBB34_890
.LBB34_882:
	s_mov_b32 s14, -1
                                        ; implicit-def: $vgpr3
	s_branch .LBB34_887
.LBB34_883:
	s_mov_b32 s14, -1
                                        ; implicit-def: $vgpr3
.LBB34_884:
	s_delay_alu instid0(SALU_CYCLE_1)
	s_and_not1_b32 vcc_lo, exec_lo, s14
	s_cbranch_vccnz .LBB34_886
; %bb.885:
	s_wait_loadcnt 0x0
	global_load_b32 v2, v[0:1], off
	s_wait_loadcnt 0x0
	v_bfe_u32 v3, v2, 16, 1
	v_cmp_o_f32_e32 vcc_lo, v2, v2
	s_delay_alu instid0(VALU_DEP_2) | instskip(NEXT) | instid1(VALU_DEP_1)
	v_add3_u32 v3, v2, v3, 0x7fff
	v_lshrrev_b32_e32 v3, 16, v3
	s_delay_alu instid0(VALU_DEP_1)
	v_cndmask_b32_e32 v3, 0x7fc0, v3, vcc_lo
.LBB34_886:
	s_mov_b32 s14, 0
.LBB34_887:
	s_delay_alu instid0(SALU_CYCLE_1)
	s_and_not1_b32 vcc_lo, exec_lo, s14
	s_cbranch_vccnz .LBB34_889
; %bb.888:
	s_wait_loadcnt 0x0
	global_load_b32 v2, v[0:1], off
	s_wait_loadcnt 0x0
	v_cvt_f32_f16_e32 v3, v2
	v_cmp_o_f16_e32 vcc_lo, v2, v2
	s_delay_alu instid0(VALU_DEP_2) | instskip(NEXT) | instid1(VALU_DEP_1)
	v_bfe_u32 v5, v3, 16, 1
	v_add3_u32 v3, v3, v5, 0x7fff
	s_delay_alu instid0(VALU_DEP_1) | instskip(NEXT) | instid1(VALU_DEP_1)
	v_lshrrev_b32_e32 v3, 16, v3
	v_cndmask_b32_e32 v3, 0x7fc0, v3, vcc_lo
.LBB34_889:
	s_cbranch_execnz .LBB34_900
.LBB34_890:
	s_sext_i32_i16 s14, s10
	s_delay_alu instid0(SALU_CYCLE_1)
	s_cmp_lt_i32 s14, 6
	s_cbranch_scc1 .LBB34_893
; %bb.891:
	s_cmp_gt_i32 s14, 6
	s_cbranch_scc0 .LBB34_894
; %bb.892:
	s_wait_loadcnt 0x0
	global_load_b64 v[2:3], v[0:1], off
	s_mov_b32 s14, 0
	s_wait_loadcnt 0x0
	v_cvt_f32_f64_e32 v2, v[2:3]
	s_delay_alu instid0(VALU_DEP_1) | instskip(SKIP_1) | instid1(VALU_DEP_2)
	v_bfe_u32 v3, v2, 16, 1
	v_cmp_o_f32_e32 vcc_lo, v2, v2
	v_add3_u32 v3, v2, v3, 0x7fff
	s_delay_alu instid0(VALU_DEP_1) | instskip(NEXT) | instid1(VALU_DEP_1)
	v_lshrrev_b32_e32 v3, 16, v3
	v_cndmask_b32_e32 v3, 0x7fc0, v3, vcc_lo
	s_branch .LBB34_895
.LBB34_893:
	s_mov_b32 s14, -1
                                        ; implicit-def: $vgpr3
	s_branch .LBB34_898
.LBB34_894:
	s_mov_b32 s14, -1
                                        ; implicit-def: $vgpr3
.LBB34_895:
	s_delay_alu instid0(SALU_CYCLE_1)
	s_and_not1_b32 vcc_lo, exec_lo, s14
	s_cbranch_vccnz .LBB34_897
; %bb.896:
	s_wait_loadcnt 0x0
	global_load_b32 v2, v[0:1], off
	s_wait_loadcnt 0x0
	v_bfe_u32 v3, v2, 16, 1
	v_cmp_o_f32_e32 vcc_lo, v2, v2
	s_delay_alu instid0(VALU_DEP_2) | instskip(NEXT) | instid1(VALU_DEP_1)
	v_add3_u32 v3, v2, v3, 0x7fff
	v_lshrrev_b32_e32 v3, 16, v3
	s_delay_alu instid0(VALU_DEP_1)
	v_cndmask_b32_e32 v3, 0x7fc0, v3, vcc_lo
.LBB34_897:
	s_mov_b32 s14, 0
.LBB34_898:
	s_delay_alu instid0(SALU_CYCLE_1)
	s_and_not1_b32 vcc_lo, exec_lo, s14
	s_cbranch_vccnz .LBB34_900
; %bb.899:
	s_wait_loadcnt 0x0
	global_load_u16 v2, v[0:1], off
	s_wait_loadcnt 0x0
	v_cvt_f32_f16_e32 v3, v2
	v_cmp_o_f16_e32 vcc_lo, v2, v2
	s_delay_alu instid0(VALU_DEP_2) | instskip(NEXT) | instid1(VALU_DEP_1)
	v_bfe_u32 v5, v3, 16, 1
	v_add3_u32 v3, v3, v5, 0x7fff
	s_delay_alu instid0(VALU_DEP_1) | instskip(NEXT) | instid1(VALU_DEP_1)
	v_lshrrev_b32_e32 v3, 16, v3
	v_cndmask_b32_e32 v3, 0x7fc0, v3, vcc_lo
.LBB34_900:
	s_cbranch_execnz .LBB34_919
.LBB34_901:
	s_sext_i32_i16 s14, s10
	s_delay_alu instid0(SALU_CYCLE_1)
	s_cmp_lt_i32 s14, 2
	s_cbranch_scc1 .LBB34_905
; %bb.902:
	s_cmp_lt_i32 s14, 3
	s_cbranch_scc1 .LBB34_906
; %bb.903:
	s_cmp_gt_i32 s14, 3
	s_cbranch_scc0 .LBB34_907
; %bb.904:
	s_wait_loadcnt 0x0
	global_load_b64 v[2:3], v[0:1], off
	s_mov_b32 s14, 0
	s_wait_loadcnt 0x0
	v_xor_b32_e32 v5, v2, v3
	v_cls_i32_e32 v6, v3
	s_delay_alu instid0(VALU_DEP_2) | instskip(NEXT) | instid1(VALU_DEP_1)
	v_ashrrev_i32_e32 v5, 31, v5
	v_add_nc_u32_e32 v5, 32, v5
	s_delay_alu instid0(VALU_DEP_1) | instskip(NEXT) | instid1(VALU_DEP_1)
	v_add_min_u32_e64 v5, v6, -1, v5
	v_lshlrev_b64_e32 v[2:3], v5, v[2:3]
	s_delay_alu instid0(VALU_DEP_1) | instskip(NEXT) | instid1(VALU_DEP_1)
	v_min_u32_e32 v2, 1, v2
	v_dual_sub_nc_u32 v3, 32, v5 :: v_dual_bitop2_b32 v2, v3, v2 bitop3:0x54
	s_delay_alu instid0(VALU_DEP_1) | instskip(NEXT) | instid1(VALU_DEP_1)
	v_cvt_f32_i32_e32 v2, v2
	v_ldexp_f32 v2, v2, v3
	s_delay_alu instid0(VALU_DEP_1) | instskip(NEXT) | instid1(VALU_DEP_1)
	v_bfe_u32 v3, v2, 16, 1
	v_add3_u32 v2, v2, v3, 0x7fff
	s_delay_alu instid0(VALU_DEP_1)
	v_lshrrev_b32_e32 v3, 16, v2
	s_branch .LBB34_908
.LBB34_905:
                                        ; implicit-def: $vgpr3
	s_branch .LBB34_914
.LBB34_906:
	s_mov_b32 s14, -1
                                        ; implicit-def: $vgpr3
	s_branch .LBB34_911
.LBB34_907:
	s_mov_b32 s14, -1
                                        ; implicit-def: $vgpr3
.LBB34_908:
	s_delay_alu instid0(SALU_CYCLE_1)
	s_and_not1_b32 vcc_lo, exec_lo, s14
	s_cbranch_vccnz .LBB34_910
; %bb.909:
	s_wait_loadcnt 0x0
	global_load_b32 v2, v[0:1], off
	s_wait_loadcnt 0x0
	v_cvt_f32_i32_e32 v2, v2
	s_delay_alu instid0(VALU_DEP_1) | instskip(NEXT) | instid1(VALU_DEP_1)
	v_bfe_u32 v3, v2, 16, 1
	v_add3_u32 v2, v2, v3, 0x7fff
	s_delay_alu instid0(VALU_DEP_1)
	v_lshrrev_b32_e32 v3, 16, v2
.LBB34_910:
	s_mov_b32 s14, 0
.LBB34_911:
	s_delay_alu instid0(SALU_CYCLE_1)
	s_and_not1_b32 vcc_lo, exec_lo, s14
	s_cbranch_vccnz .LBB34_913
; %bb.912:
	s_wait_loadcnt 0x0
	global_load_i16 v2, v[0:1], off
	s_wait_loadcnt 0x0
	v_cvt_f32_i32_e32 v2, v2
	s_delay_alu instid0(VALU_DEP_1) | instskip(NEXT) | instid1(VALU_DEP_1)
	v_bfe_u32 v3, v2, 16, 1
	v_add3_u32 v2, v2, v3, 0x7fff
	s_delay_alu instid0(VALU_DEP_1)
	v_lshrrev_b32_e32 v3, 16, v2
.LBB34_913:
	s_cbranch_execnz .LBB34_919
.LBB34_914:
	s_sext_i32_i16 s14, s10
	s_delay_alu instid0(SALU_CYCLE_1)
	s_cmp_gt_i32 s14, 0
	s_mov_b32 s14, 0
	s_cbranch_scc0 .LBB34_916
; %bb.915:
	s_wait_loadcnt 0x0
	global_load_i8 v2, v[0:1], off
	s_wait_loadcnt 0x0
	v_cvt_f32_i32_e32 v2, v2
	s_delay_alu instid0(VALU_DEP_1) | instskip(NEXT) | instid1(VALU_DEP_1)
	v_bfe_u32 v3, v2, 16, 1
	v_add3_u32 v2, v2, v3, 0x7fff
	s_delay_alu instid0(VALU_DEP_1)
	v_lshrrev_b32_e32 v3, 16, v2
	s_branch .LBB34_917
.LBB34_916:
	s_mov_b32 s14, -1
                                        ; implicit-def: $vgpr3
.LBB34_917:
	s_delay_alu instid0(SALU_CYCLE_1)
	s_and_not1_b32 vcc_lo, exec_lo, s14
	s_cbranch_vccnz .LBB34_919
; %bb.918:
	global_load_u8 v0, v[0:1], off
	s_wait_loadcnt 0x0
	v_cvt_f32_ubyte0_e32 v0, v0
	s_delay_alu instid0(VALU_DEP_1) | instskip(NEXT) | instid1(VALU_DEP_1)
	v_bfe_u32 v1, v0, 16, 1
	v_add3_u32 v0, v0, v1, 0x7fff
	s_delay_alu instid0(VALU_DEP_1)
	v_lshrrev_b32_e32 v3, 16, v0
.LBB34_919:
	s_or_b32 s0, s0, exec_lo
.LBB34_920:
	s_wait_xcnt 0x0
	s_or_b32 exec_lo, exec_lo, s1
	s_mov_b32 s16, 0
	s_mov_b32 s15, 0
                                        ; implicit-def: $sgpr1
                                        ; implicit-def: $vgpr0_vgpr1
                                        ; implicit-def: $vgpr2
	s_and_saveexec_b32 s14, s0
	s_cbranch_execz .LBB34_999
; %bb.921:
	s_wait_loadcnt 0x0
	v_lshlrev_b32_e32 v0, 16, v3
                                        ; implicit-def: $vgpr3
                                        ; implicit-def: $vgpr2
	s_mov_b32 s1, exec_lo
	s_delay_alu instid0(VALU_DEP_1)
	v_and_b32_e32 v1, 0x7fffffff, v0
	v_cmpx_ngt_f32_e64 0x48000000, |v0|
	s_xor_b32 s15, exec_lo, s1
	s_cbranch_execz .LBB34_923
; %bb.922:
	s_mov_b32 s0, 0x7fffff
	v_mov_b32_e32 v3, 0
	v_and_or_b32 v2, v1, s0, 0x800000
	s_mov_b64 s[0:1], 0xfe5163ab
	v_lshrrev_b32_e32 v5, 23, v1
	s_delay_alu instid0(VALU_DEP_2) | instskip(NEXT) | instid1(VALU_DEP_1)
	v_mul_u64_e32 v[6:7], s[0:1], v[2:3]
	v_dual_mov_b32 v8, v7 :: v_dual_mov_b32 v9, v3
	v_dual_mov_b32 v11, v3 :: v_dual_mov_b32 v13, v3
	v_mov_b32_e32 v15, v3
	s_delay_alu instid0(VALU_DEP_3) | instskip(NEXT) | instid1(VALU_DEP_1)
	v_mad_nc_u64_u32 v[8:9], 0x3c439041, v2, v[8:9]
	v_mov_b32_e32 v10, v9
	s_delay_alu instid0(VALU_DEP_1) | instskip(NEXT) | instid1(VALU_DEP_1)
	v_mad_nc_u64_u32 v[10:11], 0xdb629599, v2, v[10:11]
	v_mov_b32_e32 v12, v11
	s_delay_alu instid0(VALU_DEP_1) | instskip(NEXT) | instid1(VALU_DEP_1)
	;; [unrolled: 3-line block ×3, first 2 shown]
	v_mad_nc_u64_u32 v[14:15], 0xfc2757d1, v2, v[14:15]
	v_dual_mov_b32 v17, v3 :: v_dual_mov_b32 v16, v15
	s_delay_alu instid0(VALU_DEP_1) | instskip(NEXT) | instid1(VALU_DEP_1)
	v_mad_nc_u64_u32 v[16:17], 0x4e441529, v2, v[16:17]
	v_dual_mov_b32 v18, v17 :: v_dual_add_nc_u32 v5, 0xffffff88, v5
	s_delay_alu instid0(VALU_DEP_1) | instskip(SKIP_2) | instid1(VALU_DEP_2)
	v_cmp_lt_u32_e32 vcc_lo, 63, v5
	v_mov_b32_e32 v19, v3
	v_cndmask_b32_e64 v7, 0, 0xffffffc0, vcc_lo
	v_mad_nc_u64_u32 v[2:3], 0xa2f9836e, v2, v[18:19]
	v_dual_cndmask_b32 v9, v16, v12, vcc_lo :: v_dual_cndmask_b32 v11, v14, v10, vcc_lo
	s_delay_alu instid0(VALU_DEP_3) | instskip(NEXT) | instid1(VALU_DEP_1)
	v_dual_cndmask_b32 v6, v10, v6 :: v_dual_add_nc_u32 v5, v7, v5
	v_cmp_lt_u32_e64 s0, 31, v5
	s_delay_alu instid0(VALU_DEP_4) | instskip(NEXT) | instid1(VALU_DEP_2)
	v_dual_cndmask_b32 v2, v2, v14 :: v_dual_cndmask_b32 v3, v3, v16
	v_cndmask_b32_e64 v7, 0, 0xffffffe0, s0
	s_delay_alu instid0(VALU_DEP_1) | instskip(NEXT) | instid1(VALU_DEP_1)
	v_add_nc_u32_e32 v5, v7, v5
	v_cmp_lt_u32_e64 s1, 31, v5
	s_delay_alu instid0(VALU_DEP_1) | instskip(NEXT) | instid1(VALU_DEP_1)
	v_cndmask_b32_e64 v7, 0, 0xffffffe0, s1
	v_dual_add_nc_u32 v5, v7, v5 :: v_dual_cndmask_b32 v7, v12, v8, vcc_lo
	v_dual_cndmask_b32 v8, v2, v9, s0 :: v_dual_cndmask_b32 v2, v3, v2, s0
	s_delay_alu instid0(VALU_DEP_2) | instskip(NEXT) | instid1(VALU_DEP_3)
	v_dual_cndmask_b32 v3, v9, v11, s0 :: v_dual_sub_nc_u32 v9, 32, v5
	v_cndmask_b32_e64 v11, v11, v7, s0
	v_cmp_eq_u32_e32 vcc_lo, 0, v5
	s_delay_alu instid0(VALU_DEP_3) | instskip(SKIP_1) | instid1(VALU_DEP_4)
	v_dual_cndmask_b32 v2, v2, v8, s1 :: v_dual_cndmask_b32 v8, v8, v3, s1
	v_cndmask_b32_e64 v5, v7, v6, s0
	v_cndmask_b32_e64 v3, v3, v11, s1
	s_delay_alu instid0(VALU_DEP_3) | instskip(NEXT) | instid1(VALU_DEP_2)
	v_alignbit_b32 v12, v2, v8, v9
	v_alignbit_b32 v10, v8, v3, v9
	s_delay_alu instid0(VALU_DEP_1) | instskip(NEXT) | instid1(VALU_DEP_1)
	v_dual_cndmask_b32 v2, v12, v2, vcc_lo :: v_dual_cndmask_b32 v6, v10, v8, vcc_lo
	v_bfe_u32 v7, v2, 29, 1
	s_delay_alu instid0(VALU_DEP_2) | instskip(NEXT) | instid1(VALU_DEP_2)
	v_alignbit_b32 v8, v2, v6, 30
	v_dual_sub_nc_u32 v10, 0, v7 :: v_dual_cndmask_b32 v5, v11, v5, s1
	s_delay_alu instid0(VALU_DEP_1) | instskip(NEXT) | instid1(VALU_DEP_2)
	v_xor_b32_e32 v8, v8, v10
	v_alignbit_b32 v9, v3, v5, v9
	s_delay_alu instid0(VALU_DEP_1) | instskip(NEXT) | instid1(VALU_DEP_3)
	v_cndmask_b32_e32 v3, v9, v3, vcc_lo
	v_clz_i32_u32_e32 v9, v8
	s_delay_alu instid0(VALU_DEP_2) | instskip(NEXT) | instid1(VALU_DEP_2)
	v_alignbit_b32 v6, v6, v3, 30
	v_min_u32_e32 v9, 32, v9
	v_alignbit_b32 v3, v3, v5, 30
	s_delay_alu instid0(VALU_DEP_2) | instskip(NEXT) | instid1(VALU_DEP_2)
	v_dual_sub_nc_u32 v6, 31, v9 :: v_dual_bitop2_b32 v5, v6, v10 bitop3:0x14
	v_xor_b32_e32 v3, v3, v10
	v_dual_lshrrev_b32 v10, 29, v2 :: v_dual_lshlrev_b32 v11, 23, v9
	s_delay_alu instid0(VALU_DEP_3) | instskip(NEXT) | instid1(VALU_DEP_3)
	v_alignbit_b32 v8, v8, v5, v6
	v_alignbit_b32 v3, v5, v3, v6
	s_delay_alu instid0(VALU_DEP_3) | instskip(NEXT) | instid1(VALU_DEP_2)
	v_lshlrev_b32_e32 v5, 31, v10
	v_alignbit_b32 v6, v8, v3, 9
	s_delay_alu instid0(VALU_DEP_2) | instskip(NEXT) | instid1(VALU_DEP_2)
	v_dual_lshrrev_b32 v8, 9, v8 :: v_dual_bitop2_b32 v10, 0.5, v5 bitop3:0x54
	v_clz_i32_u32_e32 v12, v6
	s_delay_alu instid0(VALU_DEP_2) | instskip(SKIP_1) | instid1(VALU_DEP_3)
	v_sub_nc_u32_e32 v10, v10, v11
	v_or_b32_e32 v5, 0x33000000, v5
	v_min_u32_e32 v11, 32, v12
	s_delay_alu instid0(VALU_DEP_1) | instskip(NEXT) | instid1(VALU_DEP_4)
	v_add_lshl_u32 v9, v11, v9, 23
	v_or_b32_e32 v8, v8, v10
	v_not_b32_e32 v10, v11
	s_delay_alu instid0(VALU_DEP_3) | instskip(NEXT) | instid1(VALU_DEP_2)
	v_sub_nc_u32_e32 v5, v5, v9
	v_alignbit_b32 v3, v6, v3, v10
	s_delay_alu instid0(VALU_DEP_1) | instskip(NEXT) | instid1(VALU_DEP_1)
	v_dual_mul_f32 v12, 0x3fc90fda, v8 :: v_dual_lshrrev_b32 v3, 9, v3
	v_fma_f32 v6, 0x3fc90fda, v8, -v12
	s_delay_alu instid0(VALU_DEP_2) | instskip(NEXT) | instid1(VALU_DEP_2)
	v_or_b32_e32 v3, v5, v3
	v_fmamk_f32 v6, v8, 0x33a22168, v6
	s_delay_alu instid0(VALU_DEP_1) | instskip(NEXT) | instid1(VALU_DEP_1)
	v_dual_fmac_f32 v6, 0x3fc90fda, v3 :: v_dual_lshrrev_b32 v3, 30, v2
	v_dual_add_f32 v2, v12, v6 :: v_dual_add_nc_u32 v3, v7, v3
.LBB34_923:
	s_and_not1_saveexec_b32 s0, s15
; %bb.924:
	v_mul_f32_e64 v2, 0x3f22f983, |v0|
	s_delay_alu instid0(VALU_DEP_1) | instskip(NEXT) | instid1(VALU_DEP_1)
	v_rndne_f32_e32 v3, v2
	v_fma_f32 v2, 0xbfc90fda, v3, |v0|
	s_delay_alu instid0(VALU_DEP_1) | instskip(NEXT) | instid1(VALU_DEP_1)
	v_fmamk_f32 v2, v3, 0xb3a22168, v2
	v_fmamk_f32 v2, v3, 0xa7c234c4, v2
	v_cvt_i32_f32_e32 v3, v3
; %bb.925:
	s_or_b32 exec_lo, exec_lo, s0
	s_delay_alu instid0(VALU_DEP_1) | instskip(SKIP_3) | instid1(VALU_DEP_1)
	v_dual_mul_f32 v5, v2, v2 :: v_dual_bitop2_b32 v8, 1, v3 bitop3:0x40
	s_mov_b32 s0, 0xb94c1982
	s_mov_b32 s1, 0x37d75334
	;; [unrolled: 1-line block ×3, first 2 shown]
	v_dual_fmaak_f32 v6, s0, v5, 0x3c0881c4 :: v_dual_lshlrev_b32 v3, 30, v3
	v_cmp_eq_u32_e32 vcc_lo, 0, v8
	s_mov_b32 s16, -1
	s_mov_b32 s0, s12
	s_delay_alu instid0(VALU_DEP_2) | instskip(SKIP_3) | instid1(SALU_CYCLE_1)
	v_fmaak_f32 v6, v5, v6, 0xbe2aaa9d
	v_fmaak_f32 v7, s1, v5, 0xbab64f3b
	v_bitop3_b32 v1, v1, v3, 0x80000000 bitop3:0x78
	s_and_b32 s1, s8, 0xff
	s_cmp_lt_i32 s1, 11
	s_delay_alu instid0(VALU_DEP_2) | instskip(NEXT) | instid1(VALU_DEP_1)
	v_dual_mul_f32 v6, v5, v6 :: v_dual_fmaak_f32 v7, v5, v7, 0x3d2aabf7
	v_dual_fmac_f32 v2, v2, v6 :: v_dual_fmaak_f32 v7, v5, v7, 0xbf000004
	s_delay_alu instid0(VALU_DEP_1) | instskip(NEXT) | instid1(VALU_DEP_1)
	v_fma_f32 v5, v5, v7, 1.0
	v_cndmask_b32_e32 v2, v5, v2, vcc_lo
	v_cmp_class_f32_e64 vcc_lo, v0, 0x1f8
	s_delay_alu instid0(VALU_DEP_2) | instskip(SKIP_1) | instid1(VALU_DEP_2)
	v_xor3_b32 v1, v1, v2, v0
	v_mul_lo_u32 v0, v4, s2
	v_cndmask_b32_e32 v2, 0x7fc00000, v1, vcc_lo
	s_delay_alu instid0(VALU_DEP_1) | instskip(NEXT) | instid1(VALU_DEP_1)
	v_bfe_u32 v1, v2, 16, 1
	v_add3_u32 v3, v2, v1, 0x7fff
	s_delay_alu instid0(VALU_DEP_1) | instskip(SKIP_1) | instid1(VALU_DEP_2)
	v_dual_ashrrev_i32 v1, 31, v0 :: v_dual_lshrrev_b32 v3, 16, v3
	v_cmp_o_f32_e32 vcc_lo, v2, v2
	v_add_nc_u64_e32 v[0:1], s[4:5], v[0:1]
	s_delay_alu instid0(VALU_DEP_3)
	v_cndmask_b32_e32 v2, 0x7fc0, v3, vcc_lo
	s_cbranch_scc1 .LBB34_1003
; %bb.926:
	s_and_b32 s15, 0xffff, s1
	s_mov_b32 s0, s12
	s_cmp_gt_i32 s15, 25
	s_cbranch_scc0 .LBB34_959
; %bb.927:
	s_cmp_gt_i32 s15, 28
	s_mov_b32 s0, s12
	s_cbranch_scc0 .LBB34_943
; %bb.928:
	s_cmp_gt_i32 s15, 43
	s_mov_b32 s0, s12
	;; [unrolled: 4-line block ×3, first 2 shown]
	s_cbranch_scc0 .LBB34_933
; %bb.930:
	s_cmp_eq_u32 s15, 46
	s_mov_b32 s0, -1
	s_cbranch_scc0 .LBB34_932
; %bb.931:
	v_and_b32_e32 v3, 0xffff, v2
	s_mov_b32 s0, 0
	global_store_b32 v[0:1], v3, off
.LBB34_932:
	s_mov_b32 s16, 0
.LBB34_933:
	s_delay_alu instid0(SALU_CYCLE_1)
	s_and_b32 vcc_lo, exec_lo, s16
	s_cbranch_vccz .LBB34_938
; %bb.934:
	s_cmp_eq_u32 s15, 44
	s_mov_b32 s0, -1
	s_cbranch_scc0 .LBB34_938
; %bb.935:
	s_wait_xcnt 0x0
	v_and_b32_e32 v3, 0xffff, v2
	v_mov_b32_e32 v4, 0xff
	s_mov_b32 s16, exec_lo
	s_delay_alu instid0(VALU_DEP_2) | instskip(NEXT) | instid1(VALU_DEP_1)
	v_bfe_u32 v5, v3, 7, 8
	v_cmpx_ne_u32_e32 0xff, v5
	s_cbranch_execz .LBB34_937
; %bb.936:
	v_dual_lshlrev_b32 v4, 16, v3 :: v_dual_bitop2_b32 v6, 64, v3 bitop3:0x40
	v_lshrrev_b32_e32 v3, 7, v3
	s_delay_alu instid0(VALU_DEP_2) | instskip(NEXT) | instid1(VALU_DEP_3)
	v_and_or_b32 v4, 0x3f0000, v4, v5
	v_cmp_ne_u32_e32 vcc_lo, 0, v6
	s_delay_alu instid0(VALU_DEP_2) | instskip(SKIP_1) | instid1(SALU_CYCLE_1)
	v_cmp_ne_u32_e64 s0, 0, v4
	s_and_b32 s0, vcc_lo, s0
	v_cndmask_b32_e64 v4, 0, 1, s0
	s_delay_alu instid0(VALU_DEP_1)
	v_add_nc_u32_e32 v4, v3, v4
.LBB34_937:
	s_or_b32 exec_lo, exec_lo, s16
	s_mov_b32 s0, 0
	global_store_b8 v[0:1], v4, off
.LBB34_938:
	s_mov_b32 s16, 0
.LBB34_939:
	s_delay_alu instid0(SALU_CYCLE_1)
	s_and_b32 vcc_lo, exec_lo, s16
	s_cbranch_vccz .LBB34_942
; %bb.940:
	s_cmp_eq_u32 s15, 29
	s_mov_b32 s0, -1
	s_cbranch_scc0 .LBB34_942
; %bb.941:
	s_wait_xcnt 0x0
	v_lshlrev_b32_e32 v3, 16, v2
	s_mov_b32 s0, 0
	s_delay_alu instid0(VALU_DEP_1) | instskip(NEXT) | instid1(VALU_DEP_1)
	v_trunc_f32_e32 v3, v3
	v_mul_f32_e32 v4, 0x2f800000, v3
	s_delay_alu instid0(VALU_DEP_1) | instskip(NEXT) | instid1(VALU_DEP_1)
	v_floor_f32_e32 v4, v4
	v_fmamk_f32 v3, v4, 0xcf800000, v3
	v_cvt_u32_f32_e32 v5, v4
	s_delay_alu instid0(VALU_DEP_2)
	v_cvt_u32_f32_e32 v4, v3
	global_store_b64 v[0:1], v[4:5], off
.LBB34_942:
	s_mov_b32 s16, 0
.LBB34_943:
	s_delay_alu instid0(SALU_CYCLE_1)
	s_and_b32 vcc_lo, exec_lo, s16
	s_cbranch_vccz .LBB34_958
; %bb.944:
	s_cmp_lt_i32 s15, 27
	s_mov_b32 s16, -1
	s_cbranch_scc1 .LBB34_950
; %bb.945:
	s_cmp_gt_i32 s15, 27
	s_cbranch_scc0 .LBB34_947
; %bb.946:
	s_wait_xcnt 0x0
	v_lshlrev_b32_e32 v3, 16, v2
	s_mov_b32 s16, 0
	s_delay_alu instid0(VALU_DEP_1)
	v_cvt_u32_f32_e32 v3, v3
	global_store_b32 v[0:1], v3, off
.LBB34_947:
	s_and_not1_b32 vcc_lo, exec_lo, s16
	s_cbranch_vccnz .LBB34_949
; %bb.948:
	s_wait_xcnt 0x0
	v_lshlrev_b32_e32 v3, 16, v2
	s_delay_alu instid0(VALU_DEP_1)
	v_cvt_u32_f32_e32 v3, v3
	global_store_b16 v[0:1], v3, off
.LBB34_949:
	s_mov_b32 s16, 0
.LBB34_950:
	s_delay_alu instid0(SALU_CYCLE_1)
	s_and_not1_b32 vcc_lo, exec_lo, s16
	s_cbranch_vccnz .LBB34_958
; %bb.951:
	s_wait_xcnt 0x0
	v_dual_mov_b32 v6, 0x80 :: v_dual_lshlrev_b32 v5, 16, v2
	s_mov_b32 s16, exec_lo
	s_delay_alu instid0(VALU_DEP_1) | instskip(NEXT) | instid1(VALU_DEP_1)
	v_and_b32_e32 v4, 0x7fffffff, v5
	v_cmpx_gt_u32_e32 0x43800000, v4
	s_cbranch_execz .LBB34_957
; %bb.952:
	v_and_b32_e32 v3, 0xffff, v2
	v_cmp_lt_u32_e32 vcc_lo, 0x3bffffff, v4
                                        ; implicit-def: $vgpr4
	s_and_saveexec_b32 s18, vcc_lo
	s_delay_alu instid0(SALU_CYCLE_1)
	s_xor_b32 s18, exec_lo, s18
	s_cbranch_execz .LBB34_1058
; %bb.953:
	v_bfe_u32 v4, v3, 4, 1
	s_mov_b32 s17, exec_lo
	s_delay_alu instid0(VALU_DEP_1) | instskip(NEXT) | instid1(VALU_DEP_1)
	v_add3_u32 v4, v5, v4, 0x487ffff
                                        ; implicit-def: $vgpr5
	v_lshrrev_b32_e32 v4, 20, v4
	s_and_not1_saveexec_b32 s18, s18
	s_cbranch_execnz .LBB34_1059
.LBB34_954:
	s_or_b32 exec_lo, exec_lo, s18
	v_mov_b32_e32 v6, 0
	s_and_saveexec_b32 s18, s17
.LBB34_955:
	v_lshrrev_b32_e32 v3, 8, v3
	s_delay_alu instid0(VALU_DEP_1)
	v_and_or_b32 v6, 0x80, v3, v4
.LBB34_956:
	s_or_b32 exec_lo, exec_lo, s18
.LBB34_957:
	s_delay_alu instid0(SALU_CYCLE_1)
	s_or_b32 exec_lo, exec_lo, s16
	global_store_b8 v[0:1], v6, off
.LBB34_958:
	s_mov_b32 s16, 0
.LBB34_959:
	s_delay_alu instid0(SALU_CYCLE_1)
	s_and_b32 vcc_lo, exec_lo, s16
	s_mov_b32 s16, 0
	s_cbranch_vccz .LBB34_1002
; %bb.960:
	s_cmp_gt_i32 s15, 22
	s_mov_b32 s17, -1
	s_cbranch_scc0 .LBB34_992
; %bb.961:
	s_cmp_lt_i32 s15, 24
	s_cbranch_scc1 .LBB34_981
; %bb.962:
	s_cmp_gt_i32 s15, 24
	s_cbranch_scc0 .LBB34_970
; %bb.963:
	s_wait_xcnt 0x0
	v_dual_mov_b32 v6, 0x80 :: v_dual_lshlrev_b32 v5, 16, v2
	s_mov_b32 s17, exec_lo
	s_delay_alu instid0(VALU_DEP_1) | instskip(NEXT) | instid1(VALU_DEP_1)
	v_and_b32_e32 v4, 0x7fffffff, v5
	v_cmpx_gt_u32_e32 0x47800000, v4
	s_cbranch_execz .LBB34_969
; %bb.964:
	v_and_b32_e32 v3, 0xffff, v2
	v_cmp_lt_u32_e32 vcc_lo, 0x37ffffff, v4
	s_mov_b32 s18, 0
                                        ; implicit-def: $vgpr4
	s_and_saveexec_b32 s19, vcc_lo
	s_delay_alu instid0(SALU_CYCLE_1)
	s_xor_b32 s19, exec_lo, s19
	s_cbranch_execz .LBB34_1188
; %bb.965:
	v_bfe_u32 v4, v3, 5, 1
	s_mov_b32 s18, exec_lo
	s_delay_alu instid0(VALU_DEP_1) | instskip(NEXT) | instid1(VALU_DEP_1)
	v_add3_u32 v4, v5, v4, 0x88fffff
                                        ; implicit-def: $vgpr5
	v_lshrrev_b32_e32 v4, 21, v4
	s_and_not1_saveexec_b32 s19, s19
	s_cbranch_execnz .LBB34_1189
.LBB34_966:
	s_or_b32 exec_lo, exec_lo, s19
	v_mov_b32_e32 v6, 0
	s_and_saveexec_b32 s19, s18
.LBB34_967:
	v_lshrrev_b32_e32 v3, 8, v3
	s_delay_alu instid0(VALU_DEP_1)
	v_and_or_b32 v6, 0x80, v3, v4
.LBB34_968:
	s_or_b32 exec_lo, exec_lo, s19
.LBB34_969:
	s_delay_alu instid0(SALU_CYCLE_1)
	s_or_b32 exec_lo, exec_lo, s17
	s_mov_b32 s17, 0
	global_store_b8 v[0:1], v6, off
.LBB34_970:
	s_and_b32 vcc_lo, exec_lo, s17
	s_cbranch_vccz .LBB34_980
; %bb.971:
	s_wait_xcnt 0x0
	v_lshlrev_b32_e32 v5, 16, v2
	v_and_b32_e32 v3, 0xffff, v2
	s_mov_b32 s17, exec_lo
                                        ; implicit-def: $vgpr4
	s_delay_alu instid0(VALU_DEP_2) | instskip(NEXT) | instid1(VALU_DEP_1)
	v_and_b32_e32 v6, 0x7fffffff, v5
	v_cmpx_gt_u32_e32 0x43f00000, v6
	s_xor_b32 s17, exec_lo, s17
	s_cbranch_execz .LBB34_977
; %bb.972:
	s_mov_b32 s18, exec_lo
                                        ; implicit-def: $vgpr4
	v_cmpx_lt_u32_e32 0x3c7fffff, v6
	s_xor_b32 s18, exec_lo, s18
; %bb.973:
	v_bfe_u32 v4, v3, 4, 1
	s_delay_alu instid0(VALU_DEP_1) | instskip(NEXT) | instid1(VALU_DEP_1)
	v_add3_u32 v4, v5, v4, 0x407ffff
	v_and_b32_e32 v5, 0xff00000, v4
	v_lshrrev_b32_e32 v4, 20, v4
	s_delay_alu instid0(VALU_DEP_2) | instskip(NEXT) | instid1(VALU_DEP_2)
	v_cmp_ne_u32_e32 vcc_lo, 0x7f00000, v5
                                        ; implicit-def: $vgpr5
	v_cndmask_b32_e32 v4, 0x7e, v4, vcc_lo
; %bb.974:
	s_and_not1_saveexec_b32 s18, s18
; %bb.975:
	v_add_f32_e64 v4, 0x46800000, |v5|
; %bb.976:
	s_or_b32 exec_lo, exec_lo, s18
                                        ; implicit-def: $vgpr6
.LBB34_977:
	s_and_not1_saveexec_b32 s17, s17
; %bb.978:
	v_mov_b32_e32 v4, 0x7f
	v_cmp_lt_u32_e32 vcc_lo, 0x7f800000, v6
	s_delay_alu instid0(VALU_DEP_2)
	v_cndmask_b32_e32 v4, 0x7e, v4, vcc_lo
; %bb.979:
	s_or_b32 exec_lo, exec_lo, s17
	v_lshrrev_b32_e32 v3, 8, v3
	s_delay_alu instid0(VALU_DEP_1)
	v_and_or_b32 v3, 0x80, v3, v4
	global_store_b8 v[0:1], v3, off
.LBB34_980:
	s_mov_b32 s17, 0
.LBB34_981:
	s_delay_alu instid0(SALU_CYCLE_1)
	s_and_not1_b32 vcc_lo, exec_lo, s17
	s_cbranch_vccnz .LBB34_991
; %bb.982:
	s_wait_xcnt 0x0
	v_lshlrev_b32_e32 v5, 16, v2
	v_and_b32_e32 v3, 0xffff, v2
	s_mov_b32 s17, exec_lo
                                        ; implicit-def: $vgpr4
	s_delay_alu instid0(VALU_DEP_2) | instskip(NEXT) | instid1(VALU_DEP_1)
	v_and_b32_e32 v6, 0x7fffffff, v5
	v_cmpx_gt_u32_e32 0x47800000, v6
	s_xor_b32 s17, exec_lo, s17
	s_cbranch_execz .LBB34_988
; %bb.983:
	s_mov_b32 s18, exec_lo
                                        ; implicit-def: $vgpr4
	v_cmpx_lt_u32_e32 0x387fffff, v6
	s_xor_b32 s18, exec_lo, s18
; %bb.984:
	v_bfe_u32 v4, v3, 5, 1
	s_delay_alu instid0(VALU_DEP_1) | instskip(NEXT) | instid1(VALU_DEP_1)
	v_add3_u32 v4, v5, v4, 0x80fffff
                                        ; implicit-def: $vgpr5
	v_lshrrev_b32_e32 v4, 21, v4
; %bb.985:
	s_and_not1_saveexec_b32 s18, s18
; %bb.986:
	v_add_f32_e64 v4, 0x43000000, |v5|
; %bb.987:
	s_or_b32 exec_lo, exec_lo, s18
                                        ; implicit-def: $vgpr6
.LBB34_988:
	s_and_not1_saveexec_b32 s17, s17
; %bb.989:
	v_mov_b32_e32 v4, 0x7f
	v_cmp_lt_u32_e32 vcc_lo, 0x7f800000, v6
	s_delay_alu instid0(VALU_DEP_2)
	v_cndmask_b32_e32 v4, 0x7c, v4, vcc_lo
; %bb.990:
	s_or_b32 exec_lo, exec_lo, s17
	v_lshrrev_b32_e32 v3, 8, v3
	s_delay_alu instid0(VALU_DEP_1)
	v_and_or_b32 v3, 0x80, v3, v4
	global_store_b8 v[0:1], v3, off
.LBB34_991:
	s_mov_b32 s17, 0
.LBB34_992:
	s_delay_alu instid0(SALU_CYCLE_1)
	s_and_not1_b32 vcc_lo, exec_lo, s17
	s_mov_b32 s17, 0
	s_cbranch_vccnz .LBB34_1003
; %bb.993:
	s_cmp_gt_i32 s15, 14
	s_mov_b32 s17, -1
	s_cbranch_scc0 .LBB34_997
; %bb.994:
	s_cmp_eq_u32 s15, 15
	s_mov_b32 s0, -1
	s_cbranch_scc0 .LBB34_996
; %bb.995:
	s_mov_b32 s0, 0
	global_store_b16 v[0:1], v2, off
.LBB34_996:
	s_mov_b32 s17, 0
.LBB34_997:
	s_delay_alu instid0(SALU_CYCLE_1)
	s_and_b32 vcc_lo, exec_lo, s17
	s_mov_b32 s17, 0
	s_cbranch_vccz .LBB34_1003
; %bb.998:
	s_cmp_lg_u32 s15, 11
	s_mov_b32 s17, -1
	s_cselect_b32 s15, -1, 0
	s_and_not1_b32 s0, s0, exec_lo
	s_and_b32 s15, s15, exec_lo
	s_delay_alu instid0(SALU_CYCLE_1)
	s_or_b32 s0, s0, s15
	s_branch .LBB34_1003
.LBB34_999:
	s_or_b32 exec_lo, exec_lo, s14
	s_and_saveexec_b32 s0, s12
	s_cbranch_execnz .LBB34_1004
.LBB34_1000:
	s_or_b32 exec_lo, exec_lo, s0
	s_and_saveexec_b32 s0, s16
	s_delay_alu instid0(SALU_CYCLE_1)
	s_xor_b32 s0, exec_lo, s0
	s_cbranch_execz .LBB34_1005
.LBB34_1001:
	s_wait_loadcnt 0x0
	v_and_b32_e32 v3, 0x7fff, v2
	s_delay_alu instid0(VALU_DEP_1)
	v_cmp_ne_u16_e32 vcc_lo, 0, v3
	v_cndmask_b32_e64 v3, 0, 1, vcc_lo
	global_store_b8 v[0:1], v3, off
	s_wait_xcnt 0x0
	s_or_b32 exec_lo, exec_lo, s0
	s_and_saveexec_b32 s0, s15
	s_delay_alu instid0(SALU_CYCLE_1)
	s_xor_b32 s0, exec_lo, s0
	s_cbranch_execz .LBB34_1043
	s_branch .LBB34_1006
.LBB34_1002:
	s_mov_b32 s17, 0
.LBB34_1003:
	s_and_not1_b32 s12, s12, exec_lo
	s_and_b32 s0, s0, exec_lo
	s_and_b32 s15, s16, exec_lo
	;; [unrolled: 1-line block ×3, first 2 shown]
	s_or_b32 s12, s12, s0
	s_wait_xcnt 0x0
	s_or_b32 exec_lo, exec_lo, s14
	s_and_saveexec_b32 s0, s12
	s_cbranch_execz .LBB34_1000
.LBB34_1004:
	s_or_b32 s13, s13, exec_lo
	s_and_not1_b32 s16, s16, exec_lo
	s_trap 2
	s_or_b32 exec_lo, exec_lo, s0
	s_and_saveexec_b32 s0, s16
	s_delay_alu instid0(SALU_CYCLE_1)
	s_xor_b32 s0, exec_lo, s0
	s_cbranch_execnz .LBB34_1001
.LBB34_1005:
	s_or_b32 exec_lo, exec_lo, s0
	s_and_saveexec_b32 s0, s15
	s_delay_alu instid0(SALU_CYCLE_1)
	s_xor_b32 s0, exec_lo, s0
	s_cbranch_execz .LBB34_1043
.LBB34_1006:
	s_sext_i32_i16 s14, s1
	s_mov_b32 s12, -1
	s_cmp_lt_i32 s14, 5
	s_cbranch_scc1 .LBB34_1027
; %bb.1007:
	s_cmp_lt_i32 s14, 8
	s_cbranch_scc1 .LBB34_1017
; %bb.1008:
	;; [unrolled: 3-line block ×3, first 2 shown]
	s_cmp_gt_i32 s14, 9
	s_cbranch_scc0 .LBB34_1011
; %bb.1010:
	s_wait_loadcnt 0x0
	v_dual_mov_b32 v6, 0 :: v_dual_lshlrev_b32 v3, 16, v2
	s_mov_b32 s12, 0
	s_delay_alu instid0(VALU_DEP_1) | instskip(NEXT) | instid1(VALU_DEP_2)
	v_cvt_f64_f32_e32 v[4:5], v3
	v_mov_b32_e32 v7, v6
	global_store_b128 v[0:1], v[4:7], off
.LBB34_1011:
	s_and_not1_b32 vcc_lo, exec_lo, s12
	s_cbranch_vccnz .LBB34_1013
; %bb.1012:
	s_wait_loadcnt 0x0
	v_dual_mov_b32 v5, 0 :: v_dual_lshlrev_b32 v4, 16, v2
	global_store_b64 v[0:1], v[4:5], off
.LBB34_1013:
	s_mov_b32 s12, 0
.LBB34_1014:
	s_delay_alu instid0(SALU_CYCLE_1)
	s_and_not1_b32 vcc_lo, exec_lo, s12
	s_cbranch_vccnz .LBB34_1016
; %bb.1015:
	s_wait_loadcnt 0x0
	v_lshlrev_b32_e32 v3, 16, v2
	s_delay_alu instid0(VALU_DEP_1) | instskip(NEXT) | instid1(VALU_DEP_1)
	v_cvt_f16_f32_e32 v3, v3
	v_and_b32_e32 v3, 0xffff, v3
	global_store_b32 v[0:1], v3, off
.LBB34_1016:
	s_mov_b32 s12, 0
.LBB34_1017:
	s_delay_alu instid0(SALU_CYCLE_1)
	s_and_not1_b32 vcc_lo, exec_lo, s12
	s_cbranch_vccnz .LBB34_1026
; %bb.1018:
	s_sext_i32_i16 s14, s1
	s_mov_b32 s12, -1
	s_cmp_lt_i32 s14, 6
	s_cbranch_scc1 .LBB34_1024
; %bb.1019:
	s_cmp_gt_i32 s14, 6
	s_cbranch_scc0 .LBB34_1021
; %bb.1020:
	s_wait_loadcnt 0x0
	v_lshlrev_b32_e32 v3, 16, v2
	s_mov_b32 s12, 0
	s_delay_alu instid0(VALU_DEP_1)
	v_cvt_f64_f32_e32 v[4:5], v3
	global_store_b64 v[0:1], v[4:5], off
.LBB34_1021:
	s_and_not1_b32 vcc_lo, exec_lo, s12
	s_cbranch_vccnz .LBB34_1023
; %bb.1022:
	s_wait_loadcnt 0x0
	v_lshlrev_b32_e32 v3, 16, v2
	global_store_b32 v[0:1], v3, off
.LBB34_1023:
	s_mov_b32 s12, 0
.LBB34_1024:
	s_delay_alu instid0(SALU_CYCLE_1)
	s_and_not1_b32 vcc_lo, exec_lo, s12
	s_cbranch_vccnz .LBB34_1026
; %bb.1025:
	s_wait_loadcnt 0x0
	v_lshlrev_b32_e32 v3, 16, v2
	s_delay_alu instid0(VALU_DEP_1)
	v_cvt_f16_f32_e32 v3, v3
	global_store_b16 v[0:1], v3, off
.LBB34_1026:
	s_mov_b32 s12, 0
.LBB34_1027:
	s_delay_alu instid0(SALU_CYCLE_1)
	s_and_not1_b32 vcc_lo, exec_lo, s12
	s_cbranch_vccnz .LBB34_1043
; %bb.1028:
	s_sext_i32_i16 s14, s1
	s_mov_b32 s12, -1
	s_cmp_lt_i32 s14, 2
	s_cbranch_scc1 .LBB34_1038
; %bb.1029:
	s_cmp_lt_i32 s14, 3
	s_cbranch_scc1 .LBB34_1035
; %bb.1030:
	s_cmp_gt_i32 s14, 3
	s_cbranch_scc0 .LBB34_1032
; %bb.1031:
	s_wait_loadcnt 0x0
	v_lshlrev_b32_e32 v3, 16, v2
	s_mov_b32 s12, 0
	s_delay_alu instid0(VALU_DEP_1) | instskip(NEXT) | instid1(VALU_DEP_1)
	v_trunc_f32_e32 v3, v3
	v_mul_f32_e64 v4, 0x2f800000, |v3|
	s_delay_alu instid0(VALU_DEP_1) | instskip(SKIP_1) | instid1(VALU_DEP_2)
	v_floor_f32_e32 v5, v4
	v_ashrrev_i32_e32 v4, 31, v3
	v_fma_f32 v6, 0xcf800000, v5, |v3|
	v_cvt_u32_f32_e32 v3, v5
	s_delay_alu instid0(VALU_DEP_3) | instskip(NEXT) | instid1(VALU_DEP_3)
	v_mov_b32_e32 v5, v4
	v_cvt_u32_f32_e32 v6, v6
	s_delay_alu instid0(VALU_DEP_3) | instskip(NEXT) | instid1(VALU_DEP_2)
	v_xor_b32_e32 v7, v3, v4
	v_xor_b32_e32 v6, v6, v4
	s_delay_alu instid0(VALU_DEP_1)
	v_sub_nc_u64_e32 v[4:5], v[6:7], v[4:5]
	global_store_b64 v[0:1], v[4:5], off
.LBB34_1032:
	s_and_not1_b32 vcc_lo, exec_lo, s12
	s_cbranch_vccnz .LBB34_1034
; %bb.1033:
	s_wait_loadcnt 0x0
	v_lshlrev_b32_e32 v3, 16, v2
	s_delay_alu instid0(VALU_DEP_1)
	v_cvt_i32_f32_e32 v3, v3
	global_store_b32 v[0:1], v3, off
.LBB34_1034:
	s_mov_b32 s12, 0
.LBB34_1035:
	s_delay_alu instid0(SALU_CYCLE_1)
	s_and_not1_b32 vcc_lo, exec_lo, s12
	s_cbranch_vccnz .LBB34_1037
; %bb.1036:
	s_wait_loadcnt 0x0
	v_lshlrev_b32_e32 v3, 16, v2
	s_delay_alu instid0(VALU_DEP_1)
	v_cvt_i32_f32_e32 v3, v3
	global_store_b16 v[0:1], v3, off
.LBB34_1037:
	s_mov_b32 s12, 0
.LBB34_1038:
	s_delay_alu instid0(SALU_CYCLE_1)
	s_and_not1_b32 vcc_lo, exec_lo, s12
	s_cbranch_vccnz .LBB34_1043
; %bb.1039:
	s_wait_loadcnt 0x0
	v_lshlrev_b32_e32 v2, 16, v2
	s_sext_i32_i16 s1, s1
	s_delay_alu instid0(SALU_CYCLE_1)
	s_cmp_gt_i32 s1, 0
	s_mov_b32 s1, -1
	s_cbranch_scc0 .LBB34_1041
; %bb.1040:
	s_wait_xcnt 0x0
	v_cvt_i32_f32_e32 v3, v2
	s_mov_b32 s1, 0
	global_store_b8 v[0:1], v3, off
.LBB34_1041:
	s_and_not1_b32 vcc_lo, exec_lo, s1
	s_cbranch_vccnz .LBB34_1043
; %bb.1042:
	v_trunc_f32_e32 v2, v2
	s_wait_xcnt 0x0
	s_delay_alu instid0(VALU_DEP_1) | instskip(NEXT) | instid1(VALU_DEP_1)
	v_mul_f32_e64 v3, 0x2f800000, |v2|
	v_floor_f32_e32 v3, v3
	s_delay_alu instid0(VALU_DEP_1) | instskip(SKIP_1) | instid1(VALU_DEP_2)
	v_fma_f32 v3, 0xcf800000, v3, |v2|
	v_ashrrev_i32_e32 v2, 31, v2
	v_cvt_u32_f32_e32 v3, v3
	s_delay_alu instid0(VALU_DEP_1) | instskip(NEXT) | instid1(VALU_DEP_1)
	v_xor_b32_e32 v3, v3, v2
	v_sub_nc_u32_e32 v2, v3, v2
	global_store_b8 v[0:1], v2, off
.LBB34_1043:
	s_wait_xcnt 0x0
	s_or_b32 exec_lo, exec_lo, s0
	s_delay_alu instid0(SALU_CYCLE_1)
	s_and_b32 s12, s13, exec_lo
                                        ; implicit-def: $vgpr4
.LBB34_1044:
	s_or_saveexec_b32 s11, s11
	s_mov_b32 s0, 0
                                        ; implicit-def: $sgpr1
                                        ; implicit-def: $vgpr0_vgpr1
                                        ; implicit-def: $vgpr2
	s_xor_b32 exec_lo, exec_lo, s11
	s_cbranch_execz .LBB34_2009
; %bb.1045:
	v_mul_lo_u32 v0, s3, v4
	s_and_b32 s10, 0xffff, s10
	s_delay_alu instid0(SALU_CYCLE_1) | instskip(NEXT) | instid1(VALU_DEP_1)
	s_cmp_lt_i32 s10, 11
	v_ashrrev_i32_e32 v1, 31, v0
	s_wait_loadcnt 0x0
	s_delay_alu instid0(VALU_DEP_1)
	v_add_nc_u64_e32 v[2:3], s[6:7], v[0:1]
	s_cbranch_scc1 .LBB34_1052
; %bb.1046:
	s_cmp_gt_i32 s10, 25
	s_mov_b32 s1, 0
	s_cbranch_scc0 .LBB34_1054
; %bb.1047:
	s_cmp_gt_i32 s10, 28
	s_cbranch_scc0 .LBB34_1055
; %bb.1048:
	s_cmp_gt_i32 s10, 43
	;; [unrolled: 3-line block ×3, first 2 shown]
	s_cbranch_scc0 .LBB34_1057
; %bb.1050:
	s_cmp_eq_u32 s10, 46
	s_cbranch_scc0 .LBB34_1060
; %bb.1051:
	global_load_b32 v1, v[2:3], off
	s_mov_b32 s13, -1
	s_branch .LBB34_1062
.LBB34_1052:
	s_mov_b32 s13, 0
	s_mov_b32 s9, s12
                                        ; implicit-def: $vgpr1
	s_cbranch_execnz .LBB34_1125
.LBB34_1053:
	s_and_not1_b32 vcc_lo, exec_lo, s13
	s_cbranch_vccz .LBB34_1170
	s_branch .LBB34_2007
.LBB34_1054:
	s_mov_b32 s13, 0
                                        ; implicit-def: $vgpr1
	s_cbranch_execnz .LBB34_1090
	s_branch .LBB34_1121
.LBB34_1055:
	s_mov_b32 s9, -1
	s_mov_b32 s13, 0
                                        ; implicit-def: $vgpr1
	s_branch .LBB34_1071
.LBB34_1056:
	s_mov_b32 s13, 0
                                        ; implicit-def: $vgpr1
	s_cbranch_execnz .LBB34_1067
	s_branch .LBB34_1070
.LBB34_1057:
	s_mov_b32 s9, -1
	s_branch .LBB34_1061
.LBB34_1058:
	s_and_not1_saveexec_b32 s18, s18
	s_cbranch_execz .LBB34_954
.LBB34_1059:
	v_add_f32_e64 v4, 0x46000000, |v5|
	s_and_not1_b32 s17, s17, exec_lo
	s_delay_alu instid0(VALU_DEP_1) | instskip(NEXT) | instid1(VALU_DEP_1)
	v_and_b32_e32 v4, 0xff, v4
	v_cmp_ne_u32_e32 vcc_lo, 0, v4
	s_and_b32 s19, vcc_lo, exec_lo
	s_delay_alu instid0(SALU_CYCLE_1)
	s_or_b32 s17, s17, s19
	s_or_b32 exec_lo, exec_lo, s18
	v_mov_b32_e32 v6, 0
	s_and_saveexec_b32 s18, s17
	s_cbranch_execnz .LBB34_955
	s_branch .LBB34_956
.LBB34_1060:
	s_mov_b32 s0, -1
.LBB34_1061:
	s_mov_b32 s13, 0
                                        ; implicit-def: $vgpr1
.LBB34_1062:
	s_and_b32 vcc_lo, exec_lo, s9
	s_cbranch_vccz .LBB34_1065
; %bb.1063:
	s_cmp_eq_u32 s10, 44
	s_cbranch_scc0 .LBB34_1066
; %bb.1064:
	s_wait_loadcnt 0x0
	global_load_u8 v1, v[2:3], off
	s_mov_b32 s0, 0
	s_mov_b32 s13, -1
	s_wait_loadcnt 0x0
	v_lshlrev_b32_e32 v5, 23, v1
	v_cmp_ne_u32_e32 vcc_lo, 0xff, v1
	s_delay_alu instid0(VALU_DEP_2) | instskip(SKIP_1) | instid1(VALU_DEP_2)
	v_cndmask_b32_e32 v5, 0x7f800001, v5, vcc_lo
	v_cmp_ne_u32_e32 vcc_lo, 0, v1
	v_cndmask_b32_e32 v1, 0x400000, v5, vcc_lo
	s_delay_alu instid0(VALU_DEP_1) | instskip(SKIP_1) | instid1(VALU_DEP_2)
	v_add_nc_u32_e32 v5, 0x7fff, v1
	v_cmp_o_f32_e32 vcc_lo, v1, v1
	v_lshrrev_b32_e32 v5, 16, v5
	s_delay_alu instid0(VALU_DEP_1)
	v_cndmask_b32_e32 v1, 0x7fc0, v5, vcc_lo
.LBB34_1065:
	s_branch .LBB34_1070
.LBB34_1066:
	s_mov_b32 s0, -1
                                        ; implicit-def: $vgpr1
	s_branch .LBB34_1070
.LBB34_1067:
	s_cmp_eq_u32 s10, 29
	s_cbranch_scc0 .LBB34_1069
; %bb.1068:
	global_load_b64 v[6:7], v[2:3], off
	s_mov_b32 s0, 0
	s_mov_b32 s13, -1
	s_mov_b32 s9, 0
	s_wait_loadcnt 0x0
	v_clz_i32_u32_e32 v1, v7
	s_delay_alu instid0(VALU_DEP_1) | instskip(NEXT) | instid1(VALU_DEP_1)
	v_min_u32_e32 v1, 32, v1
	v_lshlrev_b64_e32 v[6:7], v1, v[6:7]
	v_sub_nc_u32_e32 v1, 32, v1
	s_delay_alu instid0(VALU_DEP_2) | instskip(NEXT) | instid1(VALU_DEP_1)
	v_min_u32_e32 v5, 1, v6
	v_or_b32_e32 v5, v7, v5
	s_delay_alu instid0(VALU_DEP_1) | instskip(NEXT) | instid1(VALU_DEP_1)
	v_cvt_f32_u32_e32 v5, v5
	v_ldexp_f32 v1, v5, v1
	s_delay_alu instid0(VALU_DEP_1) | instskip(NEXT) | instid1(VALU_DEP_1)
	v_bfe_u32 v5, v1, 16, 1
	v_add3_u32 v1, v1, v5, 0x7fff
	s_delay_alu instid0(VALU_DEP_1)
	v_lshrrev_b32_e32 v1, 16, v1
	s_branch .LBB34_1071
.LBB34_1069:
	s_mov_b32 s0, -1
                                        ; implicit-def: $vgpr1
.LBB34_1070:
	s_mov_b32 s9, 0
.LBB34_1071:
	s_delay_alu instid0(SALU_CYCLE_1)
	s_and_b32 vcc_lo, exec_lo, s9
	s_cbranch_vccz .LBB34_1089
; %bb.1072:
	s_cmp_lt_i32 s10, 27
	s_cbranch_scc1 .LBB34_1075
; %bb.1073:
	s_cmp_gt_i32 s10, 27
	s_cbranch_scc0 .LBB34_1076
; %bb.1074:
	s_wait_loadcnt 0x0
	global_load_b32 v1, v[2:3], off
	s_mov_b32 s9, 0
	s_wait_loadcnt 0x0
	v_cvt_f32_u32_e32 v1, v1
	s_delay_alu instid0(VALU_DEP_1) | instskip(NEXT) | instid1(VALU_DEP_1)
	v_bfe_u32 v5, v1, 16, 1
	v_add3_u32 v1, v1, v5, 0x7fff
	s_delay_alu instid0(VALU_DEP_1)
	v_lshrrev_b32_e32 v1, 16, v1
	s_branch .LBB34_1077
.LBB34_1075:
	s_mov_b32 s9, -1
                                        ; implicit-def: $vgpr1
	s_branch .LBB34_1080
.LBB34_1076:
	s_mov_b32 s9, -1
                                        ; implicit-def: $vgpr1
.LBB34_1077:
	s_delay_alu instid0(SALU_CYCLE_1)
	s_and_not1_b32 vcc_lo, exec_lo, s9
	s_cbranch_vccnz .LBB34_1079
; %bb.1078:
	s_wait_loadcnt 0x0
	global_load_u16 v1, v[2:3], off
	s_wait_loadcnt 0x0
	v_cvt_f32_u32_e32 v1, v1
	s_delay_alu instid0(VALU_DEP_1) | instskip(NEXT) | instid1(VALU_DEP_1)
	v_bfe_u32 v5, v1, 16, 1
	v_add3_u32 v1, v1, v5, 0x7fff
	s_delay_alu instid0(VALU_DEP_1)
	v_lshrrev_b32_e32 v1, 16, v1
.LBB34_1079:
	s_mov_b32 s9, 0
.LBB34_1080:
	s_delay_alu instid0(SALU_CYCLE_1)
	s_and_not1_b32 vcc_lo, exec_lo, s9
	s_cbranch_vccnz .LBB34_1088
; %bb.1081:
	s_wait_loadcnt 0x0
	global_load_u8 v1, v[2:3], off
	s_mov_b32 s9, 0
	s_mov_b32 s13, exec_lo
	s_wait_loadcnt 0x0
	v_cmpx_lt_i16_e32 0x7f, v1
	s_xor_b32 s13, exec_lo, s13
	s_cbranch_execz .LBB34_1101
; %bb.1082:
	s_mov_b32 s9, -1
	s_mov_b32 s14, exec_lo
	v_cmpx_eq_u16_e32 0x80, v1
; %bb.1083:
	s_xor_b32 s9, exec_lo, -1
; %bb.1084:
	s_or_b32 exec_lo, exec_lo, s14
	s_delay_alu instid0(SALU_CYCLE_1)
	s_and_b32 s9, s9, exec_lo
	s_or_saveexec_b32 s13, s13
	v_mov_b32_e32 v5, 0x7f800001
	s_xor_b32 exec_lo, exec_lo, s13
	s_cbranch_execnz .LBB34_1102
.LBB34_1085:
	s_or_b32 exec_lo, exec_lo, s13
	s_and_saveexec_b32 s13, s9
	s_cbranch_execz .LBB34_1087
.LBB34_1086:
	v_and_b32_e32 v5, 0xffff, v1
	s_delay_alu instid0(VALU_DEP_1) | instskip(SKIP_1) | instid1(VALU_DEP_2)
	v_and_b32_e32 v6, 7, v5
	v_bfe_u32 v9, v5, 3, 4
	v_clz_i32_u32_e32 v7, v6
	s_delay_alu instid0(VALU_DEP_2) | instskip(NEXT) | instid1(VALU_DEP_2)
	v_cmp_eq_u32_e32 vcc_lo, 0, v9
	v_min_u32_e32 v7, 32, v7
	s_delay_alu instid0(VALU_DEP_1) | instskip(NEXT) | instid1(VALU_DEP_1)
	v_subrev_nc_u32_e32 v8, 28, v7
	v_dual_lshlrev_b32 v5, v8, v5 :: v_dual_sub_nc_u32 v7, 29, v7
	s_delay_alu instid0(VALU_DEP_1) | instskip(NEXT) | instid1(VALU_DEP_2)
	v_and_b32_e32 v5, 7, v5
	v_dual_lshlrev_b32 v1, 24, v1 :: v_dual_cndmask_b32 v7, v9, v7, vcc_lo
	s_delay_alu instid0(VALU_DEP_2) | instskip(NEXT) | instid1(VALU_DEP_2)
	v_cndmask_b32_e32 v5, v6, v5, vcc_lo
	v_and_b32_e32 v1, 0x80000000, v1
	s_delay_alu instid0(VALU_DEP_3) | instskip(NEXT) | instid1(VALU_DEP_3)
	v_lshl_add_u32 v6, v7, 23, 0x3b800000
	v_lshlrev_b32_e32 v5, 20, v5
	s_delay_alu instid0(VALU_DEP_1)
	v_or3_b32 v5, v1, v6, v5
.LBB34_1087:
	s_or_b32 exec_lo, exec_lo, s13
	s_delay_alu instid0(VALU_DEP_1) | instskip(SKIP_1) | instid1(VALU_DEP_2)
	v_bfe_u32 v1, v5, 16, 1
	v_cmp_o_f32_e32 vcc_lo, v5, v5
	v_add3_u32 v1, v5, v1, 0x7fff
	s_delay_alu instid0(VALU_DEP_1) | instskip(NEXT) | instid1(VALU_DEP_1)
	v_lshrrev_b32_e32 v1, 16, v1
	v_cndmask_b32_e32 v1, 0x7fc0, v1, vcc_lo
.LBB34_1088:
	s_mov_b32 s13, -1
.LBB34_1089:
	s_branch .LBB34_1121
.LBB34_1090:
	s_cmp_gt_i32 s10, 22
	s_cbranch_scc0 .LBB34_1100
; %bb.1091:
	s_cmp_lt_i32 s10, 24
	s_cbranch_scc1 .LBB34_1103
; %bb.1092:
	s_cmp_gt_i32 s10, 24
	s_cbranch_scc0 .LBB34_1104
; %bb.1093:
	s_wait_loadcnt 0x0
	global_load_u8 v1, v[2:3], off
	s_mov_b32 s9, exec_lo
	s_wait_loadcnt 0x0
	v_cmpx_lt_i16_e32 0x7f, v1
	s_xor_b32 s9, exec_lo, s9
	s_cbranch_execz .LBB34_1115
; %bb.1094:
	s_mov_b32 s1, -1
	s_mov_b32 s13, exec_lo
	v_cmpx_eq_u16_e32 0x80, v1
; %bb.1095:
	s_xor_b32 s1, exec_lo, -1
; %bb.1096:
	s_or_b32 exec_lo, exec_lo, s13
	s_delay_alu instid0(SALU_CYCLE_1)
	s_and_b32 s1, s1, exec_lo
	s_or_saveexec_b32 s9, s9
	v_mov_b32_e32 v5, 0x7f800001
	s_xor_b32 exec_lo, exec_lo, s9
	s_cbranch_execnz .LBB34_1116
.LBB34_1097:
	s_or_b32 exec_lo, exec_lo, s9
	s_and_saveexec_b32 s9, s1
	s_cbranch_execz .LBB34_1099
.LBB34_1098:
	v_and_b32_e32 v5, 0xffff, v1
	s_delay_alu instid0(VALU_DEP_1) | instskip(SKIP_1) | instid1(VALU_DEP_2)
	v_and_b32_e32 v6, 3, v5
	v_bfe_u32 v9, v5, 2, 5
	v_clz_i32_u32_e32 v7, v6
	s_delay_alu instid0(VALU_DEP_2) | instskip(NEXT) | instid1(VALU_DEP_2)
	v_cmp_eq_u32_e32 vcc_lo, 0, v9
	v_min_u32_e32 v7, 32, v7
	s_delay_alu instid0(VALU_DEP_1) | instskip(NEXT) | instid1(VALU_DEP_1)
	v_subrev_nc_u32_e32 v8, 29, v7
	v_dual_lshlrev_b32 v5, v8, v5 :: v_dual_sub_nc_u32 v7, 30, v7
	s_delay_alu instid0(VALU_DEP_1) | instskip(NEXT) | instid1(VALU_DEP_2)
	v_and_b32_e32 v5, 3, v5
	v_dual_lshlrev_b32 v1, 24, v1 :: v_dual_cndmask_b32 v7, v9, v7, vcc_lo
	s_delay_alu instid0(VALU_DEP_2) | instskip(NEXT) | instid1(VALU_DEP_2)
	v_cndmask_b32_e32 v5, v6, v5, vcc_lo
	v_and_b32_e32 v1, 0x80000000, v1
	s_delay_alu instid0(VALU_DEP_3) | instskip(NEXT) | instid1(VALU_DEP_3)
	v_lshl_add_u32 v6, v7, 23, 0x37800000
	v_lshlrev_b32_e32 v5, 21, v5
	s_delay_alu instid0(VALU_DEP_1)
	v_or3_b32 v5, v1, v6, v5
.LBB34_1099:
	s_or_b32 exec_lo, exec_lo, s9
	s_delay_alu instid0(VALU_DEP_1) | instskip(SKIP_2) | instid1(VALU_DEP_2)
	v_bfe_u32 v1, v5, 16, 1
	v_cmp_o_f32_e32 vcc_lo, v5, v5
	s_mov_b32 s1, 0
	v_add3_u32 v1, v5, v1, 0x7fff
	s_delay_alu instid0(VALU_DEP_1) | instskip(NEXT) | instid1(VALU_DEP_1)
	v_lshrrev_b32_e32 v1, 16, v1
	v_cndmask_b32_e32 v1, 0x7fc0, v1, vcc_lo
	s_branch .LBB34_1105
.LBB34_1100:
                                        ; implicit-def: $vgpr1
	s_mov_b32 s1, 0
	s_branch .LBB34_1111
.LBB34_1101:
	s_or_saveexec_b32 s13, s13
	v_mov_b32_e32 v5, 0x7f800001
	s_xor_b32 exec_lo, exec_lo, s13
	s_cbranch_execz .LBB34_1085
.LBB34_1102:
	v_cmp_ne_u16_e32 vcc_lo, 0, v1
	v_mov_b32_e32 v5, 0
	s_and_not1_b32 s9, s9, exec_lo
	s_and_b32 s14, vcc_lo, exec_lo
	s_delay_alu instid0(SALU_CYCLE_1)
	s_or_b32 s9, s9, s14
	s_or_b32 exec_lo, exec_lo, s13
	s_and_saveexec_b32 s13, s9
	s_cbranch_execnz .LBB34_1086
	s_branch .LBB34_1087
.LBB34_1103:
	s_mov_b32 s1, -1
                                        ; implicit-def: $vgpr1
	s_branch .LBB34_1108
.LBB34_1104:
	s_mov_b32 s1, -1
                                        ; implicit-def: $vgpr1
.LBB34_1105:
	s_delay_alu instid0(SALU_CYCLE_1)
	s_and_b32 vcc_lo, exec_lo, s1
	s_cbranch_vccz .LBB34_1107
; %bb.1106:
	s_wait_loadcnt 0x0
	global_load_u8 v1, v[2:3], off
	s_wait_loadcnt 0x0
	v_lshlrev_b32_e32 v1, 24, v1
	s_delay_alu instid0(VALU_DEP_1) | instskip(NEXT) | instid1(VALU_DEP_1)
	v_and_b32_e32 v5, 0x7f000000, v1
	v_clz_i32_u32_e32 v6, v5
	v_cmp_ne_u32_e32 vcc_lo, 0, v5
	v_add_nc_u32_e32 v8, 0x1000000, v5
	s_delay_alu instid0(VALU_DEP_3) | instskip(NEXT) | instid1(VALU_DEP_1)
	v_min_u32_e32 v6, 32, v6
	v_sub_nc_u32_e64 v6, v6, 4 clamp
	s_delay_alu instid0(VALU_DEP_1) | instskip(NEXT) | instid1(VALU_DEP_1)
	v_dual_lshlrev_b32 v7, v6, v5 :: v_dual_lshlrev_b32 v6, 23, v6
	v_lshrrev_b32_e32 v7, 4, v7
	s_delay_alu instid0(VALU_DEP_1) | instskip(NEXT) | instid1(VALU_DEP_1)
	v_dual_sub_nc_u32 v6, v7, v6 :: v_dual_ashrrev_i32 v7, 8, v8
	v_add_nc_u32_e32 v6, 0x3c000000, v6
	s_delay_alu instid0(VALU_DEP_1) | instskip(NEXT) | instid1(VALU_DEP_1)
	v_and_or_b32 v6, 0x7f800000, v7, v6
	v_cndmask_b32_e32 v5, 0, v6, vcc_lo
	s_delay_alu instid0(VALU_DEP_1) | instskip(SKIP_1) | instid1(VALU_DEP_2)
	v_and_or_b32 v1, 0x80000000, v1, v5
	v_bfe_u32 v5, v5, 16, 1
	v_cmp_o_f32_e32 vcc_lo, v1, v1
	s_delay_alu instid0(VALU_DEP_2) | instskip(NEXT) | instid1(VALU_DEP_1)
	v_add3_u32 v5, v1, v5, 0x7fff
	v_lshrrev_b32_e32 v5, 16, v5
	s_delay_alu instid0(VALU_DEP_1)
	v_cndmask_b32_e32 v1, 0x7fc0, v5, vcc_lo
.LBB34_1107:
	s_mov_b32 s1, 0
.LBB34_1108:
	s_delay_alu instid0(SALU_CYCLE_1)
	s_and_not1_b32 vcc_lo, exec_lo, s1
	s_cbranch_vccnz .LBB34_1110
; %bb.1109:
	s_wait_loadcnt 0x0
	global_load_u8 v1, v[2:3], off
	s_wait_loadcnt 0x0
	v_lshlrev_b32_e32 v5, 25, v1
	v_lshlrev_b16 v1, 8, v1
	s_delay_alu instid0(VALU_DEP_1) | instskip(SKIP_1) | instid1(VALU_DEP_2)
	v_and_or_b32 v7, 0x7f00, v1, 0.5
	v_bfe_i32 v1, v1, 0, 16
	v_dual_add_f32 v7, -0.5, v7 :: v_dual_lshrrev_b32 v6, 4, v5
	v_cmp_gt_u32_e32 vcc_lo, 0x8000000, v5
	s_delay_alu instid0(VALU_DEP_2) | instskip(NEXT) | instid1(VALU_DEP_1)
	v_or_b32_e32 v6, 0x70000000, v6
	v_mul_f32_e32 v6, 0x7800000, v6
	s_delay_alu instid0(VALU_DEP_1) | instskip(NEXT) | instid1(VALU_DEP_1)
	v_cndmask_b32_e32 v5, v6, v7, vcc_lo
	v_and_or_b32 v1, 0x80000000, v1, v5
	v_bfe_u32 v5, v5, 16, 1
	s_delay_alu instid0(VALU_DEP_2) | instskip(NEXT) | instid1(VALU_DEP_2)
	v_cmp_o_f32_e32 vcc_lo, v1, v1
	v_add3_u32 v5, v1, v5, 0x7fff
	s_delay_alu instid0(VALU_DEP_1) | instskip(NEXT) | instid1(VALU_DEP_1)
	v_lshrrev_b32_e32 v5, 16, v5
	v_cndmask_b32_e32 v1, 0x7fc0, v5, vcc_lo
.LBB34_1110:
	s_mov_b32 s13, -1
	s_mov_b32 s1, 0
	s_cbranch_execnz .LBB34_1121
.LBB34_1111:
	s_cmp_gt_i32 s10, 14
	s_cbranch_scc0 .LBB34_1114
; %bb.1112:
	s_cmp_eq_u32 s10, 15
	s_cbranch_scc0 .LBB34_1117
; %bb.1113:
	s_wait_loadcnt 0x0
	global_load_u16 v1, v[2:3], off
	s_mov_b32 s0, 0
	s_mov_b32 s13, -1
	s_branch .LBB34_1119
.LBB34_1114:
	s_mov_b32 s1, -1
	s_branch .LBB34_1118
.LBB34_1115:
	s_or_saveexec_b32 s9, s9
	v_mov_b32_e32 v5, 0x7f800001
	s_xor_b32 exec_lo, exec_lo, s9
	s_cbranch_execz .LBB34_1097
.LBB34_1116:
	v_cmp_ne_u16_e32 vcc_lo, 0, v1
	v_mov_b32_e32 v5, 0
	s_and_not1_b32 s1, s1, exec_lo
	s_and_b32 s13, vcc_lo, exec_lo
	s_delay_alu instid0(SALU_CYCLE_1)
	s_or_b32 s1, s1, s13
	s_or_b32 exec_lo, exec_lo, s9
	s_and_saveexec_b32 s9, s1
	s_cbranch_execnz .LBB34_1098
	s_branch .LBB34_1099
.LBB34_1117:
	s_mov_b32 s0, -1
.LBB34_1118:
                                        ; implicit-def: $vgpr1
.LBB34_1119:
	s_and_b32 vcc_lo, exec_lo, s1
	s_mov_b32 s1, 0
	s_cbranch_vccz .LBB34_1121
; %bb.1120:
	s_cmp_lg_u32 s10, 11
	s_mov_b32 s1, -1
	s_cselect_b32 s0, -1, 0
.LBB34_1121:
	s_delay_alu instid0(SALU_CYCLE_1)
	s_and_b32 vcc_lo, exec_lo, s0
	s_mov_b32 s9, s12
	s_cbranch_vccnz .LBB34_1186
; %bb.1122:
	s_and_not1_b32 vcc_lo, exec_lo, s1
	s_cbranch_vccnz .LBB34_1124
.LBB34_1123:
	s_wait_loadcnt 0x0
	global_load_u8 v1, v[2:3], off
	s_mov_b32 s13, -1
	s_wait_loadcnt 0x0
	v_cmp_ne_u16_e32 vcc_lo, 0, v1
	v_cndmask_b32_e64 v1, 0, 1.0, vcc_lo
	s_delay_alu instid0(VALU_DEP_1)
	v_lshrrev_b32_e32 v1, 16, v1
.LBB34_1124:
	s_branch .LBB34_1053
.LBB34_1125:
	s_cmp_lt_i32 s10, 5
	s_cbranch_scc1 .LBB34_1130
; %bb.1126:
	s_cmp_lt_i32 s10, 8
	s_cbranch_scc1 .LBB34_1131
; %bb.1127:
	;; [unrolled: 3-line block ×3, first 2 shown]
	s_cmp_gt_i32 s10, 9
	s_cbranch_scc0 .LBB34_1133
; %bb.1129:
	global_load_b64 v[6:7], v[2:3], off
	s_mov_b32 s0, 0
	s_wait_loadcnt 0x0
	v_cvt_f32_f64_e32 v1, v[6:7]
	s_delay_alu instid0(VALU_DEP_1) | instskip(SKIP_1) | instid1(VALU_DEP_2)
	v_bfe_u32 v5, v1, 16, 1
	v_cmp_o_f32_e32 vcc_lo, v1, v1
	v_add3_u32 v5, v1, v5, 0x7fff
	s_delay_alu instid0(VALU_DEP_1) | instskip(NEXT) | instid1(VALU_DEP_1)
	v_lshrrev_b32_e32 v5, 16, v5
	v_cndmask_b32_e32 v1, 0x7fc0, v5, vcc_lo
	s_branch .LBB34_1134
.LBB34_1130:
                                        ; implicit-def: $vgpr1
	s_branch .LBB34_1151
.LBB34_1131:
                                        ; implicit-def: $vgpr1
	s_branch .LBB34_1140
.LBB34_1132:
	s_mov_b32 s0, -1
                                        ; implicit-def: $vgpr1
	s_branch .LBB34_1137
.LBB34_1133:
	s_mov_b32 s0, -1
                                        ; implicit-def: $vgpr1
.LBB34_1134:
	s_delay_alu instid0(SALU_CYCLE_1)
	s_and_not1_b32 vcc_lo, exec_lo, s0
	s_cbranch_vccnz .LBB34_1136
; %bb.1135:
	s_wait_loadcnt 0x0
	global_load_b32 v1, v[2:3], off
	s_wait_loadcnt 0x0
	v_bfe_u32 v5, v1, 16, 1
	v_cmp_o_f32_e32 vcc_lo, v1, v1
	s_delay_alu instid0(VALU_DEP_2) | instskip(NEXT) | instid1(VALU_DEP_1)
	v_add3_u32 v5, v1, v5, 0x7fff
	v_lshrrev_b32_e32 v5, 16, v5
	s_delay_alu instid0(VALU_DEP_1)
	v_cndmask_b32_e32 v1, 0x7fc0, v5, vcc_lo
.LBB34_1136:
	s_mov_b32 s0, 0
.LBB34_1137:
	s_delay_alu instid0(SALU_CYCLE_1)
	s_and_not1_b32 vcc_lo, exec_lo, s0
	s_cbranch_vccnz .LBB34_1139
; %bb.1138:
	s_wait_loadcnt 0x0
	global_load_b32 v1, v[2:3], off
	s_wait_loadcnt 0x0
	v_cvt_f32_f16_e32 v5, v1
	v_cmp_o_f16_e32 vcc_lo, v1, v1
	s_delay_alu instid0(VALU_DEP_2) | instskip(NEXT) | instid1(VALU_DEP_1)
	v_bfe_u32 v6, v5, 16, 1
	v_add3_u32 v5, v5, v6, 0x7fff
	s_delay_alu instid0(VALU_DEP_1) | instskip(NEXT) | instid1(VALU_DEP_1)
	v_lshrrev_b32_e32 v5, 16, v5
	v_cndmask_b32_e32 v1, 0x7fc0, v5, vcc_lo
.LBB34_1139:
	s_cbranch_execnz .LBB34_1150
.LBB34_1140:
	s_cmp_lt_i32 s10, 6
	s_cbranch_scc1 .LBB34_1143
; %bb.1141:
	s_cmp_gt_i32 s10, 6
	s_cbranch_scc0 .LBB34_1144
; %bb.1142:
	global_load_b64 v[6:7], v[2:3], off
	s_mov_b32 s0, 0
	s_wait_loadcnt 0x0
	v_cvt_f32_f64_e32 v1, v[6:7]
	s_delay_alu instid0(VALU_DEP_1) | instskip(SKIP_1) | instid1(VALU_DEP_2)
	v_bfe_u32 v5, v1, 16, 1
	v_cmp_o_f32_e32 vcc_lo, v1, v1
	v_add3_u32 v5, v1, v5, 0x7fff
	s_delay_alu instid0(VALU_DEP_1) | instskip(NEXT) | instid1(VALU_DEP_1)
	v_lshrrev_b32_e32 v5, 16, v5
	v_cndmask_b32_e32 v1, 0x7fc0, v5, vcc_lo
	s_branch .LBB34_1145
.LBB34_1143:
	s_mov_b32 s0, -1
                                        ; implicit-def: $vgpr1
	s_branch .LBB34_1148
.LBB34_1144:
	s_mov_b32 s0, -1
                                        ; implicit-def: $vgpr1
.LBB34_1145:
	s_delay_alu instid0(SALU_CYCLE_1)
	s_and_not1_b32 vcc_lo, exec_lo, s0
	s_cbranch_vccnz .LBB34_1147
; %bb.1146:
	s_wait_loadcnt 0x0
	global_load_b32 v1, v[2:3], off
	s_wait_loadcnt 0x0
	v_bfe_u32 v5, v1, 16, 1
	v_cmp_o_f32_e32 vcc_lo, v1, v1
	s_delay_alu instid0(VALU_DEP_2) | instskip(NEXT) | instid1(VALU_DEP_1)
	v_add3_u32 v5, v1, v5, 0x7fff
	v_lshrrev_b32_e32 v5, 16, v5
	s_delay_alu instid0(VALU_DEP_1)
	v_cndmask_b32_e32 v1, 0x7fc0, v5, vcc_lo
.LBB34_1147:
	s_mov_b32 s0, 0
.LBB34_1148:
	s_delay_alu instid0(SALU_CYCLE_1)
	s_and_not1_b32 vcc_lo, exec_lo, s0
	s_cbranch_vccnz .LBB34_1150
; %bb.1149:
	s_wait_loadcnt 0x0
	global_load_u16 v1, v[2:3], off
	s_wait_loadcnt 0x0
	v_cvt_f32_f16_e32 v5, v1
	v_cmp_o_f16_e32 vcc_lo, v1, v1
	s_delay_alu instid0(VALU_DEP_2) | instskip(NEXT) | instid1(VALU_DEP_1)
	v_bfe_u32 v6, v5, 16, 1
	v_add3_u32 v5, v5, v6, 0x7fff
	s_delay_alu instid0(VALU_DEP_1) | instskip(NEXT) | instid1(VALU_DEP_1)
	v_lshrrev_b32_e32 v5, 16, v5
	v_cndmask_b32_e32 v1, 0x7fc0, v5, vcc_lo
.LBB34_1150:
	s_cbranch_execnz .LBB34_1169
.LBB34_1151:
	s_cmp_lt_i32 s10, 2
	s_cbranch_scc1 .LBB34_1155
; %bb.1152:
	s_cmp_lt_i32 s10, 3
	s_cbranch_scc1 .LBB34_1156
; %bb.1153:
	s_cmp_gt_i32 s10, 3
	s_cbranch_scc0 .LBB34_1157
; %bb.1154:
	global_load_b64 v[6:7], v[2:3], off
	s_mov_b32 s0, 0
	s_wait_loadcnt 0x0
	v_xor_b32_e32 v1, v6, v7
	v_cls_i32_e32 v5, v7
	s_delay_alu instid0(VALU_DEP_2) | instskip(NEXT) | instid1(VALU_DEP_1)
	v_ashrrev_i32_e32 v1, 31, v1
	v_add_nc_u32_e32 v1, 32, v1
	s_delay_alu instid0(VALU_DEP_1) | instskip(NEXT) | instid1(VALU_DEP_1)
	v_add_min_u32_e64 v1, v5, -1, v1
	v_lshlrev_b64_e32 v[6:7], v1, v[6:7]
	v_sub_nc_u32_e32 v1, 32, v1
	s_delay_alu instid0(VALU_DEP_2) | instskip(NEXT) | instid1(VALU_DEP_1)
	v_min_u32_e32 v5, 1, v6
	v_or_b32_e32 v5, v7, v5
	s_delay_alu instid0(VALU_DEP_1) | instskip(NEXT) | instid1(VALU_DEP_1)
	v_cvt_f32_i32_e32 v5, v5
	v_ldexp_f32 v1, v5, v1
	s_delay_alu instid0(VALU_DEP_1) | instskip(NEXT) | instid1(VALU_DEP_1)
	v_bfe_u32 v5, v1, 16, 1
	v_add3_u32 v1, v1, v5, 0x7fff
	s_delay_alu instid0(VALU_DEP_1)
	v_lshrrev_b32_e32 v1, 16, v1
	s_branch .LBB34_1158
.LBB34_1155:
                                        ; implicit-def: $vgpr1
	s_branch .LBB34_1164
.LBB34_1156:
	s_mov_b32 s0, -1
                                        ; implicit-def: $vgpr1
	s_branch .LBB34_1161
.LBB34_1157:
	s_mov_b32 s0, -1
                                        ; implicit-def: $vgpr1
.LBB34_1158:
	s_delay_alu instid0(SALU_CYCLE_1)
	s_and_not1_b32 vcc_lo, exec_lo, s0
	s_cbranch_vccnz .LBB34_1160
; %bb.1159:
	s_wait_loadcnt 0x0
	global_load_b32 v1, v[2:3], off
	s_wait_loadcnt 0x0
	v_cvt_f32_i32_e32 v1, v1
	s_delay_alu instid0(VALU_DEP_1) | instskip(NEXT) | instid1(VALU_DEP_1)
	v_bfe_u32 v5, v1, 16, 1
	v_add3_u32 v1, v1, v5, 0x7fff
	s_delay_alu instid0(VALU_DEP_1)
	v_lshrrev_b32_e32 v1, 16, v1
.LBB34_1160:
	s_mov_b32 s0, 0
.LBB34_1161:
	s_delay_alu instid0(SALU_CYCLE_1)
	s_and_not1_b32 vcc_lo, exec_lo, s0
	s_cbranch_vccnz .LBB34_1163
; %bb.1162:
	s_wait_loadcnt 0x0
	global_load_i16 v1, v[2:3], off
	s_wait_loadcnt 0x0
	v_cvt_f32_i32_e32 v1, v1
	s_delay_alu instid0(VALU_DEP_1) | instskip(NEXT) | instid1(VALU_DEP_1)
	v_bfe_u32 v5, v1, 16, 1
	v_add3_u32 v1, v1, v5, 0x7fff
	s_delay_alu instid0(VALU_DEP_1)
	v_lshrrev_b32_e32 v1, 16, v1
.LBB34_1163:
	s_cbranch_execnz .LBB34_1169
.LBB34_1164:
	s_cmp_gt_i32 s10, 0
	s_mov_b32 s0, 0
	s_cbranch_scc0 .LBB34_1166
; %bb.1165:
	s_wait_loadcnt 0x0
	global_load_i8 v1, v[2:3], off
	s_wait_loadcnt 0x0
	v_cvt_f32_i32_e32 v1, v1
	s_delay_alu instid0(VALU_DEP_1) | instskip(NEXT) | instid1(VALU_DEP_1)
	v_bfe_u32 v5, v1, 16, 1
	v_add3_u32 v1, v1, v5, 0x7fff
	s_delay_alu instid0(VALU_DEP_1)
	v_lshrrev_b32_e32 v1, 16, v1
	s_branch .LBB34_1167
.LBB34_1166:
	s_mov_b32 s0, -1
                                        ; implicit-def: $vgpr1
.LBB34_1167:
	s_delay_alu instid0(SALU_CYCLE_1)
	s_and_not1_b32 vcc_lo, exec_lo, s0
	s_cbranch_vccnz .LBB34_1169
; %bb.1168:
	s_wait_loadcnt 0x0
	global_load_u8 v1, v[2:3], off
	s_wait_loadcnt 0x0
	v_cvt_f32_ubyte0_e32 v1, v1
	s_wait_xcnt 0x0
	s_delay_alu instid0(VALU_DEP_1) | instskip(NEXT) | instid1(VALU_DEP_1)
	v_bfe_u32 v2, v1, 16, 1
	v_add3_u32 v1, v1, v2, 0x7fff
	s_delay_alu instid0(VALU_DEP_1)
	v_lshrrev_b32_e32 v1, 16, v1
.LBB34_1169:
.LBB34_1170:
	s_wait_loadcnt 0x0
	s_delay_alu instid0(VALU_DEP_1) | instskip(SKIP_1) | instid1(VALU_DEP_1)
	v_lshlrev_b32_e32 v5, 16, v1
                                        ; implicit-def: $vgpr8
                                        ; implicit-def: $vgpr7
	s_mov_b32 s1, exec_lo
	v_and_b32_e32 v6, 0x7fffffff, v5
	s_wait_xcnt 0x0
	v_cmpx_ngt_f32_e64 0x48000000, |v5|
	s_xor_b32 s13, exec_lo, s1
	s_cbranch_execz .LBB34_1172
; %bb.1171:
	s_mov_b32 s0, 0x7fffff
	v_mov_b32_e32 v3, 0
	v_and_or_b32 v2, v6, s0, 0x800000
	s_mov_b64 s[0:1], 0xfe5163ab
	v_lshrrev_b32_e32 v1, 23, v6
	s_delay_alu instid0(VALU_DEP_2) | instskip(NEXT) | instid1(VALU_DEP_1)
	v_mul_u64_e32 v[8:9], s[0:1], v[2:3]
	v_dual_mov_b32 v10, v9 :: v_dual_mov_b32 v11, v3
	v_dual_mov_b32 v13, v3 :: v_dual_mov_b32 v15, v3
	v_mov_b32_e32 v17, v3
	s_delay_alu instid0(VALU_DEP_3) | instskip(NEXT) | instid1(VALU_DEP_1)
	v_mad_nc_u64_u32 v[10:11], 0x3c439041, v2, v[10:11]
	v_mov_b32_e32 v12, v11
	s_delay_alu instid0(VALU_DEP_1) | instskip(NEXT) | instid1(VALU_DEP_1)
	v_mad_nc_u64_u32 v[12:13], 0xdb629599, v2, v[12:13]
	v_mov_b32_e32 v14, v13
	s_delay_alu instid0(VALU_DEP_1) | instskip(NEXT) | instid1(VALU_DEP_1)
	v_mad_nc_u64_u32 v[14:15], 0xf534ddc0, v2, v[14:15]
	v_mov_b32_e32 v16, v15
	s_delay_alu instid0(VALU_DEP_1) | instskip(NEXT) | instid1(VALU_DEP_1)
	v_mad_nc_u64_u32 v[16:17], 0xfc2757d1, v2, v[16:17]
	v_dual_mov_b32 v19, v3 :: v_dual_mov_b32 v18, v17
	s_delay_alu instid0(VALU_DEP_1) | instskip(NEXT) | instid1(VALU_DEP_1)
	v_mad_nc_u64_u32 v[18:19], 0x4e441529, v2, v[18:19]
	v_dual_mov_b32 v20, v19 :: v_dual_add_nc_u32 v1, 0xffffff88, v1
	s_delay_alu instid0(VALU_DEP_1) | instskip(SKIP_2) | instid1(VALU_DEP_2)
	v_cmp_lt_u32_e32 vcc_lo, 63, v1
	v_mov_b32_e32 v21, v3
	v_cndmask_b32_e64 v7, 0, 0xffffffc0, vcc_lo
	v_mad_nc_u64_u32 v[2:3], 0xa2f9836e, v2, v[20:21]
	v_dual_cndmask_b32 v9, v18, v14, vcc_lo :: v_dual_cndmask_b32 v11, v16, v12, vcc_lo
	s_delay_alu instid0(VALU_DEP_3) | instskip(NEXT) | instid1(VALU_DEP_1)
	v_dual_cndmask_b32 v8, v12, v8 :: v_dual_add_nc_u32 v1, v7, v1
	v_cmp_lt_u32_e64 s0, 31, v1
	s_delay_alu instid0(VALU_DEP_4) | instskip(NEXT) | instid1(VALU_DEP_2)
	v_dual_cndmask_b32 v2, v2, v16 :: v_dual_cndmask_b32 v3, v3, v18
	v_cndmask_b32_e64 v7, 0, 0xffffffe0, s0
	s_delay_alu instid0(VALU_DEP_1) | instskip(NEXT) | instid1(VALU_DEP_1)
	v_add_nc_u32_e32 v1, v7, v1
	v_cmp_lt_u32_e64 s1, 31, v1
	s_delay_alu instid0(VALU_DEP_1) | instskip(NEXT) | instid1(VALU_DEP_1)
	v_cndmask_b32_e64 v7, 0, 0xffffffe0, s1
	v_dual_add_nc_u32 v1, v7, v1 :: v_dual_cndmask_b32 v7, v14, v10, vcc_lo
	v_dual_cndmask_b32 v10, v2, v9, s0 :: v_dual_cndmask_b32 v2, v3, v2, s0
	s_delay_alu instid0(VALU_DEP_2) | instskip(NEXT) | instid1(VALU_DEP_3)
	v_dual_cndmask_b32 v3, v9, v11, s0 :: v_dual_sub_nc_u32 v9, 32, v1
	v_cndmask_b32_e64 v11, v11, v7, s0
	v_cmp_eq_u32_e32 vcc_lo, 0, v1
	s_delay_alu instid0(VALU_DEP_4) | instskip(NEXT) | instid1(VALU_DEP_4)
	v_cndmask_b32_e64 v2, v2, v10, s1
	v_cndmask_b32_e64 v10, v10, v3, s1
	s_delay_alu instid0(VALU_DEP_4) | instskip(NEXT) | instid1(VALU_DEP_2)
	v_cndmask_b32_e64 v3, v3, v11, s1
	v_alignbit_b32 v13, v2, v10, v9
	s_delay_alu instid0(VALU_DEP_2) | instskip(NEXT) | instid1(VALU_DEP_2)
	v_alignbit_b32 v12, v10, v3, v9
	v_dual_cndmask_b32 v1, v13, v2, vcc_lo :: v_dual_cndmask_b32 v2, v7, v8, s0
	s_delay_alu instid0(VALU_DEP_1) | instskip(NEXT) | instid1(VALU_DEP_3)
	v_bfe_u32 v8, v1, 29, 1
	v_cndmask_b32_e32 v7, v12, v10, vcc_lo
	s_delay_alu instid0(VALU_DEP_2) | instskip(NEXT) | instid1(VALU_DEP_2)
	v_dual_cndmask_b32 v2, v11, v2, s1 :: v_dual_sub_nc_u32 v11, 0, v8
	v_alignbit_b32 v10, v1, v7, 30
	s_delay_alu instid0(VALU_DEP_1) | instskip(NEXT) | instid1(VALU_DEP_3)
	v_xor_b32_e32 v10, v10, v11
	v_alignbit_b32 v9, v3, v2, v9
	s_delay_alu instid0(VALU_DEP_1) | instskip(NEXT) | instid1(VALU_DEP_3)
	v_cndmask_b32_e32 v3, v9, v3, vcc_lo
	v_clz_i32_u32_e32 v9, v10
	s_delay_alu instid0(VALU_DEP_2) | instskip(NEXT) | instid1(VALU_DEP_2)
	v_alignbit_b32 v7, v7, v3, 30
	v_min_u32_e32 v9, 32, v9
	v_alignbit_b32 v2, v3, v2, 30
	s_delay_alu instid0(VALU_DEP_2) | instskip(NEXT) | instid1(VALU_DEP_2)
	v_dual_sub_nc_u32 v7, 31, v9 :: v_dual_bitop2_b32 v3, v7, v11 bitop3:0x14
	v_dual_lshrrev_b32 v11, 29, v1 :: v_dual_bitop2_b32 v2, v2, v11 bitop3:0x14
	v_lshlrev_b32_e32 v12, 23, v9
	v_lshrrev_b32_e32 v1, 30, v1
	s_delay_alu instid0(VALU_DEP_4) | instskip(NEXT) | instid1(VALU_DEP_4)
	v_alignbit_b32 v10, v10, v3, v7
	v_alignbit_b32 v2, v3, v2, v7
	s_delay_alu instid0(VALU_DEP_3) | instskip(NEXT) | instid1(VALU_DEP_2)
	v_dual_lshlrev_b32 v3, 31, v11 :: v_dual_add_nc_u32 v8, v8, v1
	v_alignbit_b32 v7, v10, v2, 9
	s_delay_alu instid0(VALU_DEP_2) | instskip(SKIP_1) | instid1(VALU_DEP_3)
	v_dual_lshrrev_b32 v10, 9, v10 :: v_dual_bitop2_b32 v11, 0.5, v3 bitop3:0x54
	v_or_b32_e32 v3, 0x33000000, v3
	v_clz_i32_u32_e32 v13, v7
	s_delay_alu instid0(VALU_DEP_3) | instskip(NEXT) | instid1(VALU_DEP_2)
	v_sub_nc_u32_e32 v11, v11, v12
	v_min_u32_e32 v12, 32, v13
	s_delay_alu instid0(VALU_DEP_1) | instskip(NEXT) | instid1(VALU_DEP_3)
	v_add_lshl_u32 v9, v12, v9, 23
	v_or_b32_e32 v10, v10, v11
	v_not_b32_e32 v11, v12
	s_delay_alu instid0(VALU_DEP_3) | instskip(NEXT) | instid1(VALU_DEP_3)
	v_sub_nc_u32_e32 v3, v3, v9
	v_mul_f32_e32 v13, 0x3fc90fda, v10
	s_delay_alu instid0(VALU_DEP_3) | instskip(NEXT) | instid1(VALU_DEP_2)
	v_alignbit_b32 v2, v7, v2, v11
	v_fma_f32 v7, 0x3fc90fda, v10, -v13
	s_delay_alu instid0(VALU_DEP_1) | instskip(NEXT) | instid1(VALU_DEP_1)
	v_dual_fmamk_f32 v7, v10, 0x33a22168, v7 :: v_dual_lshrrev_b32 v2, 9, v2
	v_or_b32_e32 v2, v3, v2
	s_delay_alu instid0(VALU_DEP_1) | instskip(NEXT) | instid1(VALU_DEP_1)
	v_fmac_f32_e32 v7, 0x3fc90fda, v2
	v_add_f32_e32 v7, v13, v7
.LBB34_1172:
	s_and_not1_saveexec_b32 s0, s13
; %bb.1173:
	v_mul_f32_e64 v1, 0x3f22f983, |v5|
	s_delay_alu instid0(VALU_DEP_1) | instskip(NEXT) | instid1(VALU_DEP_1)
	v_rndne_f32_e32 v1, v1
	v_fma_f32 v2, 0xbfc90fda, v1, |v5|
	v_cvt_i32_f32_e32 v8, v1
	s_delay_alu instid0(VALU_DEP_2) | instskip(NEXT) | instid1(VALU_DEP_1)
	v_fmamk_f32 v2, v1, 0xb3a22168, v2
	v_fmamk_f32 v7, v1, 0xa7c234c4, v2
; %bb.1174:
	s_or_b32 exec_lo, exec_lo, s0
	s_lshl_b32 s3, s3, 7
	s_cmp_lt_i32 s10, 11
	v_add_nc_u32_e32 v0, s3, v0
	s_delay_alu instid0(VALU_DEP_1) | instskip(NEXT) | instid1(VALU_DEP_1)
	v_ashrrev_i32_e32 v1, 31, v0
	v_add_nc_u64_e32 v[2:3], s[6:7], v[0:1]
	s_cbranch_scc1 .LBB34_1181
; %bb.1175:
	s_cmp_gt_i32 s10, 25
	s_mov_b32 s1, 0
	s_cbranch_scc0 .LBB34_1183
; %bb.1176:
	s_cmp_gt_i32 s10, 28
	s_cbranch_scc0 .LBB34_1184
; %bb.1177:
	s_cmp_gt_i32 s10, 43
	s_cbranch_scc0 .LBB34_1185
; %bb.1178:
	s_cmp_gt_i32 s10, 45
	s_cbranch_scc0 .LBB34_1187
; %bb.1179:
	s_cmp_eq_u32 s10, 46
	s_mov_b32 s14, 0
	s_cbranch_scc0 .LBB34_1190
; %bb.1180:
	global_load_b32 v1, v[2:3], off
	s_mov_b32 s0, 0
	s_mov_b32 s13, -1
	s_branch .LBB34_1192
.LBB34_1181:
	s_mov_b32 s13, 0
                                        ; implicit-def: $vgpr1
	s_cbranch_execnz .LBB34_1257
.LBB34_1182:
	s_and_not1_b32 vcc_lo, exec_lo, s13
	s_cbranch_vccz .LBB34_1304
	s_branch .LBB34_2007
.LBB34_1183:
	s_mov_b32 s13, 0
	s_mov_b32 s0, 0
                                        ; implicit-def: $vgpr1
	s_cbranch_execnz .LBB34_1221
	s_branch .LBB34_1253
.LBB34_1184:
	s_mov_b32 s14, -1
	s_mov_b32 s13, 0
	s_mov_b32 s0, 0
                                        ; implicit-def: $vgpr1
	s_branch .LBB34_1202
.LBB34_1185:
	s_mov_b32 s14, -1
	s_mov_b32 s13, 0
	s_mov_b32 s0, 0
                                        ; implicit-def: $vgpr1
	s_branch .LBB34_1197
.LBB34_1186:
	s_or_b32 s9, s12, exec_lo
	s_trap 2
	s_cbranch_execz .LBB34_1123
	s_branch .LBB34_1124
.LBB34_1187:
	s_mov_b32 s14, -1
	s_mov_b32 s13, 0
	s_mov_b32 s0, 0
	s_branch .LBB34_1191
.LBB34_1188:
	s_and_not1_saveexec_b32 s19, s19
	s_cbranch_execz .LBB34_966
.LBB34_1189:
	v_add_f32_e64 v4, 0x42800000, |v5|
	s_and_not1_b32 s18, s18, exec_lo
	s_delay_alu instid0(VALU_DEP_1) | instskip(NEXT) | instid1(VALU_DEP_1)
	v_and_b32_e32 v4, 0xff, v4
	v_cmp_ne_u32_e32 vcc_lo, 0, v4
	s_and_b32 s20, vcc_lo, exec_lo
	s_delay_alu instid0(SALU_CYCLE_1)
	s_or_b32 s18, s18, s20
	s_or_b32 exec_lo, exec_lo, s19
	v_mov_b32_e32 v6, 0
	s_and_saveexec_b32 s19, s18
	s_cbranch_execnz .LBB34_967
	s_branch .LBB34_968
.LBB34_1190:
	s_mov_b32 s0, -1
	s_mov_b32 s13, 0
.LBB34_1191:
                                        ; implicit-def: $vgpr1
.LBB34_1192:
	s_and_b32 vcc_lo, exec_lo, s14
	s_cbranch_vccz .LBB34_1196
; %bb.1193:
	s_cmp_eq_u32 s10, 44
	s_cbranch_scc0 .LBB34_1195
; %bb.1194:
	s_wait_loadcnt 0x0
	global_load_u8 v1, v[2:3], off
	s_mov_b32 s0, 0
	s_mov_b32 s13, -1
	s_wait_loadcnt 0x0
	v_lshlrev_b32_e32 v9, 23, v1
	v_cmp_ne_u32_e32 vcc_lo, 0xff, v1
	s_delay_alu instid0(VALU_DEP_2) | instskip(SKIP_1) | instid1(VALU_DEP_2)
	v_cndmask_b32_e32 v9, 0x7f800001, v9, vcc_lo
	v_cmp_ne_u32_e32 vcc_lo, 0, v1
	v_cndmask_b32_e32 v1, 0x400000, v9, vcc_lo
	s_delay_alu instid0(VALU_DEP_1) | instskip(SKIP_1) | instid1(VALU_DEP_2)
	v_add_nc_u32_e32 v9, 0x7fff, v1
	v_cmp_o_f32_e32 vcc_lo, v1, v1
	v_lshrrev_b32_e32 v9, 16, v9
	s_delay_alu instid0(VALU_DEP_1)
	v_cndmask_b32_e32 v1, 0x7fc0, v9, vcc_lo
	s_branch .LBB34_1196
.LBB34_1195:
	s_mov_b32 s0, -1
                                        ; implicit-def: $vgpr1
.LBB34_1196:
	s_mov_b32 s14, 0
.LBB34_1197:
	s_delay_alu instid0(SALU_CYCLE_1)
	s_and_b32 vcc_lo, exec_lo, s14
	s_cbranch_vccz .LBB34_1201
; %bb.1198:
	s_cmp_eq_u32 s10, 29
	s_cbranch_scc0 .LBB34_1200
; %bb.1199:
	global_load_b64 v[10:11], v[2:3], off
	s_mov_b32 s0, 0
	s_mov_b32 s13, -1
	s_mov_b32 s14, 0
	s_wait_loadcnt 0x0
	v_clz_i32_u32_e32 v1, v11
	s_delay_alu instid0(VALU_DEP_1) | instskip(NEXT) | instid1(VALU_DEP_1)
	v_min_u32_e32 v1, 32, v1
	v_lshlrev_b64_e32 v[10:11], v1, v[10:11]
	v_sub_nc_u32_e32 v1, 32, v1
	s_delay_alu instid0(VALU_DEP_2) | instskip(NEXT) | instid1(VALU_DEP_1)
	v_min_u32_e32 v9, 1, v10
	v_or_b32_e32 v9, v11, v9
	s_delay_alu instid0(VALU_DEP_1) | instskip(NEXT) | instid1(VALU_DEP_1)
	v_cvt_f32_u32_e32 v9, v9
	v_ldexp_f32 v1, v9, v1
	s_delay_alu instid0(VALU_DEP_1) | instskip(NEXT) | instid1(VALU_DEP_1)
	v_bfe_u32 v9, v1, 16, 1
	v_add3_u32 v1, v1, v9, 0x7fff
	s_delay_alu instid0(VALU_DEP_1)
	v_lshrrev_b32_e32 v1, 16, v1
	s_branch .LBB34_1202
.LBB34_1200:
	s_mov_b32 s0, -1
                                        ; implicit-def: $vgpr1
.LBB34_1201:
	s_mov_b32 s14, 0
.LBB34_1202:
	s_delay_alu instid0(SALU_CYCLE_1)
	s_and_b32 vcc_lo, exec_lo, s14
	s_cbranch_vccz .LBB34_1220
; %bb.1203:
	s_cmp_lt_i32 s10, 27
	s_cbranch_scc1 .LBB34_1206
; %bb.1204:
	s_cmp_gt_i32 s10, 27
	s_cbranch_scc0 .LBB34_1207
; %bb.1205:
	s_wait_loadcnt 0x0
	global_load_b32 v1, v[2:3], off
	s_mov_b32 s13, 0
	s_wait_loadcnt 0x0
	v_cvt_f32_u32_e32 v1, v1
	s_delay_alu instid0(VALU_DEP_1) | instskip(NEXT) | instid1(VALU_DEP_1)
	v_bfe_u32 v9, v1, 16, 1
	v_add3_u32 v1, v1, v9, 0x7fff
	s_delay_alu instid0(VALU_DEP_1)
	v_lshrrev_b32_e32 v1, 16, v1
	s_branch .LBB34_1208
.LBB34_1206:
	s_mov_b32 s13, -1
                                        ; implicit-def: $vgpr1
	s_branch .LBB34_1211
.LBB34_1207:
	s_mov_b32 s13, -1
                                        ; implicit-def: $vgpr1
.LBB34_1208:
	s_delay_alu instid0(SALU_CYCLE_1)
	s_and_not1_b32 vcc_lo, exec_lo, s13
	s_cbranch_vccnz .LBB34_1210
; %bb.1209:
	s_wait_loadcnt 0x0
	global_load_u16 v1, v[2:3], off
	s_wait_loadcnt 0x0
	v_cvt_f32_u32_e32 v1, v1
	s_delay_alu instid0(VALU_DEP_1) | instskip(NEXT) | instid1(VALU_DEP_1)
	v_bfe_u32 v9, v1, 16, 1
	v_add3_u32 v1, v1, v9, 0x7fff
	s_delay_alu instid0(VALU_DEP_1)
	v_lshrrev_b32_e32 v1, 16, v1
.LBB34_1210:
	s_mov_b32 s13, 0
.LBB34_1211:
	s_delay_alu instid0(SALU_CYCLE_1)
	s_and_not1_b32 vcc_lo, exec_lo, s13
	s_cbranch_vccnz .LBB34_1219
; %bb.1212:
	s_wait_loadcnt 0x0
	global_load_u8 v1, v[2:3], off
	s_mov_b32 s13, 0
	s_mov_b32 s14, exec_lo
	s_wait_loadcnt 0x0
	v_cmpx_lt_i16_e32 0x7f, v1
	s_xor_b32 s14, exec_lo, s14
	s_cbranch_execz .LBB34_1232
; %bb.1213:
	s_mov_b32 s13, -1
	s_mov_b32 s15, exec_lo
	v_cmpx_eq_u16_e32 0x80, v1
; %bb.1214:
	s_xor_b32 s13, exec_lo, -1
; %bb.1215:
	s_or_b32 exec_lo, exec_lo, s15
	s_delay_alu instid0(SALU_CYCLE_1)
	s_and_b32 s13, s13, exec_lo
	s_or_saveexec_b32 s14, s14
	v_mov_b32_e32 v9, 0x7f800001
	s_xor_b32 exec_lo, exec_lo, s14
	s_cbranch_execnz .LBB34_1233
.LBB34_1216:
	s_or_b32 exec_lo, exec_lo, s14
	s_and_saveexec_b32 s14, s13
	s_cbranch_execz .LBB34_1218
.LBB34_1217:
	v_and_b32_e32 v9, 0xffff, v1
	s_delay_alu instid0(VALU_DEP_1) | instskip(SKIP_1) | instid1(VALU_DEP_2)
	v_and_b32_e32 v10, 7, v9
	v_bfe_u32 v13, v9, 3, 4
	v_clz_i32_u32_e32 v11, v10
	s_delay_alu instid0(VALU_DEP_2) | instskip(NEXT) | instid1(VALU_DEP_2)
	v_cmp_eq_u32_e32 vcc_lo, 0, v13
	v_min_u32_e32 v11, 32, v11
	s_delay_alu instid0(VALU_DEP_1) | instskip(NEXT) | instid1(VALU_DEP_1)
	v_subrev_nc_u32_e32 v12, 28, v11
	v_dual_lshlrev_b32 v9, v12, v9 :: v_dual_sub_nc_u32 v11, 29, v11
	s_delay_alu instid0(VALU_DEP_1) | instskip(NEXT) | instid1(VALU_DEP_2)
	v_and_b32_e32 v9, 7, v9
	v_dual_lshlrev_b32 v1, 24, v1 :: v_dual_cndmask_b32 v11, v13, v11, vcc_lo
	s_delay_alu instid0(VALU_DEP_2) | instskip(NEXT) | instid1(VALU_DEP_2)
	v_cndmask_b32_e32 v9, v10, v9, vcc_lo
	v_and_b32_e32 v1, 0x80000000, v1
	s_delay_alu instid0(VALU_DEP_3) | instskip(NEXT) | instid1(VALU_DEP_3)
	v_lshl_add_u32 v10, v11, 23, 0x3b800000
	v_lshlrev_b32_e32 v9, 20, v9
	s_delay_alu instid0(VALU_DEP_1)
	v_or3_b32 v9, v1, v10, v9
.LBB34_1218:
	s_or_b32 exec_lo, exec_lo, s14
	s_delay_alu instid0(VALU_DEP_1) | instskip(SKIP_1) | instid1(VALU_DEP_2)
	v_bfe_u32 v1, v9, 16, 1
	v_cmp_o_f32_e32 vcc_lo, v9, v9
	v_add3_u32 v1, v9, v1, 0x7fff
	s_delay_alu instid0(VALU_DEP_1) | instskip(NEXT) | instid1(VALU_DEP_1)
	v_lshrrev_b32_e32 v1, 16, v1
	v_cndmask_b32_e32 v1, 0x7fc0, v1, vcc_lo
.LBB34_1219:
	s_mov_b32 s13, -1
.LBB34_1220:
	s_branch .LBB34_1253
.LBB34_1221:
	s_cmp_gt_i32 s10, 22
	s_cbranch_scc0 .LBB34_1231
; %bb.1222:
	s_cmp_lt_i32 s10, 24
	s_cbranch_scc1 .LBB34_1234
; %bb.1223:
	s_cmp_gt_i32 s10, 24
	s_cbranch_scc0 .LBB34_1235
; %bb.1224:
	s_wait_loadcnt 0x0
	global_load_u8 v1, v[2:3], off
	s_mov_b32 s13, exec_lo
	s_wait_loadcnt 0x0
	v_cmpx_lt_i16_e32 0x7f, v1
	s_xor_b32 s13, exec_lo, s13
	s_cbranch_execz .LBB34_1247
; %bb.1225:
	s_mov_b32 s1, -1
	s_mov_b32 s14, exec_lo
	v_cmpx_eq_u16_e32 0x80, v1
; %bb.1226:
	s_xor_b32 s1, exec_lo, -1
; %bb.1227:
	s_or_b32 exec_lo, exec_lo, s14
	s_delay_alu instid0(SALU_CYCLE_1)
	s_and_b32 s1, s1, exec_lo
	s_or_saveexec_b32 s13, s13
	v_mov_b32_e32 v9, 0x7f800001
	s_xor_b32 exec_lo, exec_lo, s13
	s_cbranch_execnz .LBB34_1248
.LBB34_1228:
	s_or_b32 exec_lo, exec_lo, s13
	s_and_saveexec_b32 s13, s1
	s_cbranch_execz .LBB34_1230
.LBB34_1229:
	v_and_b32_e32 v9, 0xffff, v1
	s_delay_alu instid0(VALU_DEP_1) | instskip(SKIP_1) | instid1(VALU_DEP_2)
	v_and_b32_e32 v10, 3, v9
	v_bfe_u32 v13, v9, 2, 5
	v_clz_i32_u32_e32 v11, v10
	s_delay_alu instid0(VALU_DEP_2) | instskip(NEXT) | instid1(VALU_DEP_2)
	v_cmp_eq_u32_e32 vcc_lo, 0, v13
	v_min_u32_e32 v11, 32, v11
	s_delay_alu instid0(VALU_DEP_1) | instskip(NEXT) | instid1(VALU_DEP_1)
	v_subrev_nc_u32_e32 v12, 29, v11
	v_dual_lshlrev_b32 v9, v12, v9 :: v_dual_sub_nc_u32 v11, 30, v11
	s_delay_alu instid0(VALU_DEP_1) | instskip(NEXT) | instid1(VALU_DEP_2)
	v_and_b32_e32 v9, 3, v9
	v_dual_lshlrev_b32 v1, 24, v1 :: v_dual_cndmask_b32 v11, v13, v11, vcc_lo
	s_delay_alu instid0(VALU_DEP_2) | instskip(NEXT) | instid1(VALU_DEP_2)
	v_cndmask_b32_e32 v9, v10, v9, vcc_lo
	v_and_b32_e32 v1, 0x80000000, v1
	s_delay_alu instid0(VALU_DEP_3) | instskip(NEXT) | instid1(VALU_DEP_3)
	v_lshl_add_u32 v10, v11, 23, 0x37800000
	v_lshlrev_b32_e32 v9, 21, v9
	s_delay_alu instid0(VALU_DEP_1)
	v_or3_b32 v9, v1, v10, v9
.LBB34_1230:
	s_or_b32 exec_lo, exec_lo, s13
	s_delay_alu instid0(VALU_DEP_1) | instskip(SKIP_2) | instid1(VALU_DEP_2)
	v_bfe_u32 v1, v9, 16, 1
	v_cmp_o_f32_e32 vcc_lo, v9, v9
	s_mov_b32 s1, 0
	v_add3_u32 v1, v9, v1, 0x7fff
	s_delay_alu instid0(VALU_DEP_1) | instskip(NEXT) | instid1(VALU_DEP_1)
	v_lshrrev_b32_e32 v1, 16, v1
	v_cndmask_b32_e32 v1, 0x7fc0, v1, vcc_lo
	s_branch .LBB34_1236
.LBB34_1231:
	s_mov_b32 s1, -1
                                        ; implicit-def: $vgpr1
	s_branch .LBB34_1242
.LBB34_1232:
	s_or_saveexec_b32 s14, s14
	v_mov_b32_e32 v9, 0x7f800001
	s_xor_b32 exec_lo, exec_lo, s14
	s_cbranch_execz .LBB34_1216
.LBB34_1233:
	v_cmp_ne_u16_e32 vcc_lo, 0, v1
	v_mov_b32_e32 v9, 0
	s_and_not1_b32 s13, s13, exec_lo
	s_and_b32 s15, vcc_lo, exec_lo
	s_delay_alu instid0(SALU_CYCLE_1)
	s_or_b32 s13, s13, s15
	s_or_b32 exec_lo, exec_lo, s14
	s_and_saveexec_b32 s14, s13
	s_cbranch_execnz .LBB34_1217
	s_branch .LBB34_1218
.LBB34_1234:
	s_mov_b32 s1, -1
                                        ; implicit-def: $vgpr1
	s_branch .LBB34_1239
.LBB34_1235:
	s_mov_b32 s1, -1
                                        ; implicit-def: $vgpr1
.LBB34_1236:
	s_delay_alu instid0(SALU_CYCLE_1)
	s_and_b32 vcc_lo, exec_lo, s1
	s_cbranch_vccz .LBB34_1238
; %bb.1237:
	s_wait_loadcnt 0x0
	global_load_u8 v1, v[2:3], off
	s_wait_loadcnt 0x0
	v_lshlrev_b32_e32 v1, 24, v1
	s_delay_alu instid0(VALU_DEP_1) | instskip(NEXT) | instid1(VALU_DEP_1)
	v_and_b32_e32 v9, 0x7f000000, v1
	v_clz_i32_u32_e32 v10, v9
	v_cmp_ne_u32_e32 vcc_lo, 0, v9
	v_add_nc_u32_e32 v12, 0x1000000, v9
	s_delay_alu instid0(VALU_DEP_3) | instskip(NEXT) | instid1(VALU_DEP_1)
	v_min_u32_e32 v10, 32, v10
	v_sub_nc_u32_e64 v10, v10, 4 clamp
	s_delay_alu instid0(VALU_DEP_1) | instskip(NEXT) | instid1(VALU_DEP_1)
	v_dual_lshlrev_b32 v11, v10, v9 :: v_dual_lshlrev_b32 v10, 23, v10
	v_lshrrev_b32_e32 v11, 4, v11
	s_delay_alu instid0(VALU_DEP_1) | instskip(NEXT) | instid1(VALU_DEP_1)
	v_dual_sub_nc_u32 v10, v11, v10 :: v_dual_ashrrev_i32 v11, 8, v12
	v_add_nc_u32_e32 v10, 0x3c000000, v10
	s_delay_alu instid0(VALU_DEP_1) | instskip(NEXT) | instid1(VALU_DEP_1)
	v_and_or_b32 v10, 0x7f800000, v11, v10
	v_cndmask_b32_e32 v9, 0, v10, vcc_lo
	s_delay_alu instid0(VALU_DEP_1) | instskip(SKIP_1) | instid1(VALU_DEP_2)
	v_and_or_b32 v1, 0x80000000, v1, v9
	v_bfe_u32 v9, v9, 16, 1
	v_cmp_o_f32_e32 vcc_lo, v1, v1
	s_delay_alu instid0(VALU_DEP_2) | instskip(NEXT) | instid1(VALU_DEP_1)
	v_add3_u32 v9, v1, v9, 0x7fff
	v_lshrrev_b32_e32 v9, 16, v9
	s_delay_alu instid0(VALU_DEP_1)
	v_cndmask_b32_e32 v1, 0x7fc0, v9, vcc_lo
.LBB34_1238:
	s_mov_b32 s1, 0
.LBB34_1239:
	s_delay_alu instid0(SALU_CYCLE_1)
	s_and_not1_b32 vcc_lo, exec_lo, s1
	s_cbranch_vccnz .LBB34_1241
; %bb.1240:
	s_wait_loadcnt 0x0
	global_load_u8 v1, v[2:3], off
	s_wait_loadcnt 0x0
	v_lshlrev_b32_e32 v9, 25, v1
	v_lshlrev_b16 v1, 8, v1
	s_delay_alu instid0(VALU_DEP_1) | instskip(SKIP_1) | instid1(VALU_DEP_2)
	v_and_or_b32 v11, 0x7f00, v1, 0.5
	v_bfe_i32 v1, v1, 0, 16
	v_dual_add_f32 v11, -0.5, v11 :: v_dual_lshrrev_b32 v10, 4, v9
	v_cmp_gt_u32_e32 vcc_lo, 0x8000000, v9
	s_delay_alu instid0(VALU_DEP_2) | instskip(NEXT) | instid1(VALU_DEP_1)
	v_or_b32_e32 v10, 0x70000000, v10
	v_mul_f32_e32 v10, 0x7800000, v10
	s_delay_alu instid0(VALU_DEP_1) | instskip(NEXT) | instid1(VALU_DEP_1)
	v_cndmask_b32_e32 v9, v10, v11, vcc_lo
	v_and_or_b32 v1, 0x80000000, v1, v9
	v_bfe_u32 v9, v9, 16, 1
	s_delay_alu instid0(VALU_DEP_2) | instskip(NEXT) | instid1(VALU_DEP_2)
	v_cmp_o_f32_e32 vcc_lo, v1, v1
	v_add3_u32 v9, v1, v9, 0x7fff
	s_delay_alu instid0(VALU_DEP_1) | instskip(NEXT) | instid1(VALU_DEP_1)
	v_lshrrev_b32_e32 v9, 16, v9
	v_cndmask_b32_e32 v1, 0x7fc0, v9, vcc_lo
.LBB34_1241:
	s_mov_b32 s1, 0
	s_mov_b32 s13, -1
.LBB34_1242:
	s_and_not1_b32 vcc_lo, exec_lo, s1
	s_mov_b32 s1, 0
	s_cbranch_vccnz .LBB34_1253
; %bb.1243:
	s_cmp_gt_i32 s10, 14
	s_cbranch_scc0 .LBB34_1246
; %bb.1244:
	s_cmp_eq_u32 s10, 15
	s_cbranch_scc0 .LBB34_1249
; %bb.1245:
	s_wait_loadcnt 0x0
	global_load_u16 v1, v[2:3], off
	s_mov_b32 s0, 0
	s_mov_b32 s13, -1
	s_branch .LBB34_1251
.LBB34_1246:
	s_mov_b32 s1, -1
	s_branch .LBB34_1250
.LBB34_1247:
	s_or_saveexec_b32 s13, s13
	v_mov_b32_e32 v9, 0x7f800001
	s_xor_b32 exec_lo, exec_lo, s13
	s_cbranch_execz .LBB34_1228
.LBB34_1248:
	v_cmp_ne_u16_e32 vcc_lo, 0, v1
	v_mov_b32_e32 v9, 0
	s_and_not1_b32 s1, s1, exec_lo
	s_and_b32 s14, vcc_lo, exec_lo
	s_delay_alu instid0(SALU_CYCLE_1)
	s_or_b32 s1, s1, s14
	s_or_b32 exec_lo, exec_lo, s13
	s_and_saveexec_b32 s13, s1
	s_cbranch_execnz .LBB34_1229
	s_branch .LBB34_1230
.LBB34_1249:
	s_mov_b32 s0, -1
.LBB34_1250:
                                        ; implicit-def: $vgpr1
.LBB34_1251:
	s_and_b32 vcc_lo, exec_lo, s1
	s_mov_b32 s1, 0
	s_cbranch_vccz .LBB34_1253
; %bb.1252:
	s_cmp_lg_u32 s10, 11
	s_mov_b32 s1, -1
	s_cselect_b32 s0, -1, 0
.LBB34_1253:
	s_delay_alu instid0(SALU_CYCLE_1)
	s_and_b32 vcc_lo, exec_lo, s0
	s_cbranch_vccnz .LBB34_1320
; %bb.1254:
	s_and_not1_b32 vcc_lo, exec_lo, s1
	s_cbranch_vccnz .LBB34_1256
.LBB34_1255:
	s_wait_loadcnt 0x0
	global_load_u8 v1, v[2:3], off
	s_mov_b32 s13, -1
	s_wait_loadcnt 0x0
	v_cmp_ne_u16_e32 vcc_lo, 0, v1
	v_cndmask_b32_e64 v1, 0, 1.0, vcc_lo
	s_delay_alu instid0(VALU_DEP_1)
	v_lshrrev_b32_e32 v1, 16, v1
.LBB34_1256:
	s_branch .LBB34_1182
.LBB34_1257:
	s_cmp_lt_i32 s10, 5
	s_cbranch_scc1 .LBB34_1262
; %bb.1258:
	s_cmp_lt_i32 s10, 8
	s_cbranch_scc1 .LBB34_1263
; %bb.1259:
	;; [unrolled: 3-line block ×3, first 2 shown]
	s_cmp_gt_i32 s10, 9
	s_cbranch_scc0 .LBB34_1265
; %bb.1261:
	global_load_b64 v[10:11], v[2:3], off
	s_mov_b32 s0, 0
	s_wait_loadcnt 0x0
	v_cvt_f32_f64_e32 v1, v[10:11]
	s_delay_alu instid0(VALU_DEP_1) | instskip(SKIP_1) | instid1(VALU_DEP_2)
	v_bfe_u32 v9, v1, 16, 1
	v_cmp_o_f32_e32 vcc_lo, v1, v1
	v_add3_u32 v9, v1, v9, 0x7fff
	s_delay_alu instid0(VALU_DEP_1) | instskip(NEXT) | instid1(VALU_DEP_1)
	v_lshrrev_b32_e32 v9, 16, v9
	v_cndmask_b32_e32 v1, 0x7fc0, v9, vcc_lo
	s_branch .LBB34_1266
.LBB34_1262:
                                        ; implicit-def: $vgpr1
	s_branch .LBB34_1284
.LBB34_1263:
	s_mov_b32 s0, -1
                                        ; implicit-def: $vgpr1
	s_branch .LBB34_1272
.LBB34_1264:
	s_mov_b32 s0, -1
                                        ; implicit-def: $vgpr1
	s_branch .LBB34_1269
.LBB34_1265:
	s_mov_b32 s0, -1
                                        ; implicit-def: $vgpr1
.LBB34_1266:
	s_delay_alu instid0(SALU_CYCLE_1)
	s_and_not1_b32 vcc_lo, exec_lo, s0
	s_cbranch_vccnz .LBB34_1268
; %bb.1267:
	s_wait_loadcnt 0x0
	global_load_b32 v1, v[2:3], off
	s_wait_loadcnt 0x0
	v_bfe_u32 v9, v1, 16, 1
	v_cmp_o_f32_e32 vcc_lo, v1, v1
	s_delay_alu instid0(VALU_DEP_2) | instskip(NEXT) | instid1(VALU_DEP_1)
	v_add3_u32 v9, v1, v9, 0x7fff
	v_lshrrev_b32_e32 v9, 16, v9
	s_delay_alu instid0(VALU_DEP_1)
	v_cndmask_b32_e32 v1, 0x7fc0, v9, vcc_lo
.LBB34_1268:
	s_mov_b32 s0, 0
.LBB34_1269:
	s_delay_alu instid0(SALU_CYCLE_1)
	s_and_not1_b32 vcc_lo, exec_lo, s0
	s_cbranch_vccnz .LBB34_1271
; %bb.1270:
	s_wait_loadcnt 0x0
	global_load_b32 v1, v[2:3], off
	s_wait_loadcnt 0x0
	v_cvt_f32_f16_e32 v9, v1
	v_cmp_o_f16_e32 vcc_lo, v1, v1
	s_delay_alu instid0(VALU_DEP_2) | instskip(NEXT) | instid1(VALU_DEP_1)
	v_bfe_u32 v10, v9, 16, 1
	v_add3_u32 v9, v9, v10, 0x7fff
	s_delay_alu instid0(VALU_DEP_1) | instskip(NEXT) | instid1(VALU_DEP_1)
	v_lshrrev_b32_e32 v9, 16, v9
	v_cndmask_b32_e32 v1, 0x7fc0, v9, vcc_lo
.LBB34_1271:
	s_mov_b32 s0, 0
.LBB34_1272:
	s_delay_alu instid0(SALU_CYCLE_1)
	s_and_not1_b32 vcc_lo, exec_lo, s0
	s_cbranch_vccnz .LBB34_1283
; %bb.1273:
	s_cmp_lt_i32 s10, 6
	s_cbranch_scc1 .LBB34_1276
; %bb.1274:
	s_cmp_gt_i32 s10, 6
	s_cbranch_scc0 .LBB34_1277
; %bb.1275:
	global_load_b64 v[10:11], v[2:3], off
	s_mov_b32 s0, 0
	s_wait_loadcnt 0x0
	v_cvt_f32_f64_e32 v1, v[10:11]
	s_delay_alu instid0(VALU_DEP_1) | instskip(SKIP_1) | instid1(VALU_DEP_2)
	v_bfe_u32 v9, v1, 16, 1
	v_cmp_o_f32_e32 vcc_lo, v1, v1
	v_add3_u32 v9, v1, v9, 0x7fff
	s_delay_alu instid0(VALU_DEP_1) | instskip(NEXT) | instid1(VALU_DEP_1)
	v_lshrrev_b32_e32 v9, 16, v9
	v_cndmask_b32_e32 v1, 0x7fc0, v9, vcc_lo
	s_branch .LBB34_1278
.LBB34_1276:
	s_mov_b32 s0, -1
                                        ; implicit-def: $vgpr1
	s_branch .LBB34_1281
.LBB34_1277:
	s_mov_b32 s0, -1
                                        ; implicit-def: $vgpr1
.LBB34_1278:
	s_delay_alu instid0(SALU_CYCLE_1)
	s_and_not1_b32 vcc_lo, exec_lo, s0
	s_cbranch_vccnz .LBB34_1280
; %bb.1279:
	s_wait_loadcnt 0x0
	global_load_b32 v1, v[2:3], off
	s_wait_loadcnt 0x0
	v_bfe_u32 v9, v1, 16, 1
	v_cmp_o_f32_e32 vcc_lo, v1, v1
	s_delay_alu instid0(VALU_DEP_2) | instskip(NEXT) | instid1(VALU_DEP_1)
	v_add3_u32 v9, v1, v9, 0x7fff
	v_lshrrev_b32_e32 v9, 16, v9
	s_delay_alu instid0(VALU_DEP_1)
	v_cndmask_b32_e32 v1, 0x7fc0, v9, vcc_lo
.LBB34_1280:
	s_mov_b32 s0, 0
.LBB34_1281:
	s_delay_alu instid0(SALU_CYCLE_1)
	s_and_not1_b32 vcc_lo, exec_lo, s0
	s_cbranch_vccnz .LBB34_1283
; %bb.1282:
	s_wait_loadcnt 0x0
	global_load_u16 v1, v[2:3], off
	s_wait_loadcnt 0x0
	v_cvt_f32_f16_e32 v9, v1
	v_cmp_o_f16_e32 vcc_lo, v1, v1
	s_delay_alu instid0(VALU_DEP_2) | instskip(NEXT) | instid1(VALU_DEP_1)
	v_bfe_u32 v10, v9, 16, 1
	v_add3_u32 v9, v9, v10, 0x7fff
	s_delay_alu instid0(VALU_DEP_1) | instskip(NEXT) | instid1(VALU_DEP_1)
	v_lshrrev_b32_e32 v9, 16, v9
	v_cndmask_b32_e32 v1, 0x7fc0, v9, vcc_lo
.LBB34_1283:
	s_cbranch_execnz .LBB34_1303
.LBB34_1284:
	s_cmp_lt_i32 s10, 2
	s_cbranch_scc1 .LBB34_1288
; %bb.1285:
	s_cmp_lt_i32 s10, 3
	s_cbranch_scc1 .LBB34_1289
; %bb.1286:
	s_cmp_gt_i32 s10, 3
	s_cbranch_scc0 .LBB34_1290
; %bb.1287:
	global_load_b64 v[10:11], v[2:3], off
	s_mov_b32 s0, 0
	s_wait_loadcnt 0x0
	v_xor_b32_e32 v1, v10, v11
	v_cls_i32_e32 v9, v11
	s_delay_alu instid0(VALU_DEP_2) | instskip(NEXT) | instid1(VALU_DEP_1)
	v_ashrrev_i32_e32 v1, 31, v1
	v_add_nc_u32_e32 v1, 32, v1
	s_delay_alu instid0(VALU_DEP_1) | instskip(NEXT) | instid1(VALU_DEP_1)
	v_add_min_u32_e64 v1, v9, -1, v1
	v_lshlrev_b64_e32 v[10:11], v1, v[10:11]
	v_sub_nc_u32_e32 v1, 32, v1
	s_delay_alu instid0(VALU_DEP_2) | instskip(NEXT) | instid1(VALU_DEP_1)
	v_min_u32_e32 v9, 1, v10
	v_or_b32_e32 v9, v11, v9
	s_delay_alu instid0(VALU_DEP_1) | instskip(NEXT) | instid1(VALU_DEP_1)
	v_cvt_f32_i32_e32 v9, v9
	v_ldexp_f32 v1, v9, v1
	s_delay_alu instid0(VALU_DEP_1) | instskip(NEXT) | instid1(VALU_DEP_1)
	v_bfe_u32 v9, v1, 16, 1
	v_add3_u32 v1, v1, v9, 0x7fff
	s_delay_alu instid0(VALU_DEP_1)
	v_lshrrev_b32_e32 v1, 16, v1
	s_branch .LBB34_1291
.LBB34_1288:
	s_mov_b32 s0, -1
                                        ; implicit-def: $vgpr1
	s_branch .LBB34_1297
.LBB34_1289:
	s_mov_b32 s0, -1
                                        ; implicit-def: $vgpr1
	s_branch .LBB34_1294
.LBB34_1290:
	s_mov_b32 s0, -1
                                        ; implicit-def: $vgpr1
.LBB34_1291:
	s_delay_alu instid0(SALU_CYCLE_1)
	s_and_not1_b32 vcc_lo, exec_lo, s0
	s_cbranch_vccnz .LBB34_1293
; %bb.1292:
	s_wait_loadcnt 0x0
	global_load_b32 v1, v[2:3], off
	s_wait_loadcnt 0x0
	v_cvt_f32_i32_e32 v1, v1
	s_delay_alu instid0(VALU_DEP_1) | instskip(NEXT) | instid1(VALU_DEP_1)
	v_bfe_u32 v9, v1, 16, 1
	v_add3_u32 v1, v1, v9, 0x7fff
	s_delay_alu instid0(VALU_DEP_1)
	v_lshrrev_b32_e32 v1, 16, v1
.LBB34_1293:
	s_mov_b32 s0, 0
.LBB34_1294:
	s_delay_alu instid0(SALU_CYCLE_1)
	s_and_not1_b32 vcc_lo, exec_lo, s0
	s_cbranch_vccnz .LBB34_1296
; %bb.1295:
	s_wait_loadcnt 0x0
	global_load_i16 v1, v[2:3], off
	s_wait_loadcnt 0x0
	v_cvt_f32_i32_e32 v1, v1
	s_delay_alu instid0(VALU_DEP_1) | instskip(NEXT) | instid1(VALU_DEP_1)
	v_bfe_u32 v9, v1, 16, 1
	v_add3_u32 v1, v1, v9, 0x7fff
	s_delay_alu instid0(VALU_DEP_1)
	v_lshrrev_b32_e32 v1, 16, v1
.LBB34_1296:
	s_mov_b32 s0, 0
.LBB34_1297:
	s_delay_alu instid0(SALU_CYCLE_1)
	s_and_not1_b32 vcc_lo, exec_lo, s0
	s_cbranch_vccnz .LBB34_1303
; %bb.1298:
	s_cmp_gt_i32 s10, 0
	s_mov_b32 s0, 0
	s_cbranch_scc0 .LBB34_1300
; %bb.1299:
	s_wait_loadcnt 0x0
	global_load_i8 v1, v[2:3], off
	s_wait_loadcnt 0x0
	v_cvt_f32_i32_e32 v1, v1
	s_delay_alu instid0(VALU_DEP_1) | instskip(NEXT) | instid1(VALU_DEP_1)
	v_bfe_u32 v9, v1, 16, 1
	v_add3_u32 v1, v1, v9, 0x7fff
	s_delay_alu instid0(VALU_DEP_1)
	v_lshrrev_b32_e32 v1, 16, v1
	s_branch .LBB34_1301
.LBB34_1300:
	s_mov_b32 s0, -1
                                        ; implicit-def: $vgpr1
.LBB34_1301:
	s_delay_alu instid0(SALU_CYCLE_1)
	s_and_not1_b32 vcc_lo, exec_lo, s0
	s_cbranch_vccnz .LBB34_1303
; %bb.1302:
	s_wait_loadcnt 0x0
	global_load_u8 v1, v[2:3], off
	s_wait_loadcnt 0x0
	v_cvt_f32_ubyte0_e32 v1, v1
	s_wait_xcnt 0x0
	s_delay_alu instid0(VALU_DEP_1) | instskip(NEXT) | instid1(VALU_DEP_1)
	v_bfe_u32 v2, v1, 16, 1
	v_add3_u32 v1, v1, v2, 0x7fff
	s_delay_alu instid0(VALU_DEP_1)
	v_lshrrev_b32_e32 v1, 16, v1
.LBB34_1303:
.LBB34_1304:
	s_wait_loadcnt 0x0
	s_delay_alu instid0(VALU_DEP_1) | instskip(SKIP_1) | instid1(VALU_DEP_1)
	v_lshlrev_b32_e32 v9, 16, v1
                                        ; implicit-def: $vgpr12
                                        ; implicit-def: $vgpr11
	s_mov_b32 s1, exec_lo
	v_and_b32_e32 v10, 0x7fffffff, v9
	s_wait_xcnt 0x0
	v_cmpx_ngt_f32_e64 0x48000000, |v9|
	s_xor_b32 s13, exec_lo, s1
	s_cbranch_execz .LBB34_1306
; %bb.1305:
	s_mov_b32 s0, 0x7fffff
	v_mov_b32_e32 v3, 0
	v_and_or_b32 v2, v10, s0, 0x800000
	s_mov_b64 s[0:1], 0xfe5163ab
	v_lshrrev_b32_e32 v1, 23, v10
	s_delay_alu instid0(VALU_DEP_2) | instskip(NEXT) | instid1(VALU_DEP_1)
	v_mul_u64_e32 v[12:13], s[0:1], v[2:3]
	v_dual_mov_b32 v14, v13 :: v_dual_mov_b32 v15, v3
	v_dual_mov_b32 v17, v3 :: v_dual_mov_b32 v19, v3
	v_mov_b32_e32 v21, v3
	s_delay_alu instid0(VALU_DEP_3) | instskip(NEXT) | instid1(VALU_DEP_1)
	v_mad_nc_u64_u32 v[14:15], 0x3c439041, v2, v[14:15]
	v_mov_b32_e32 v16, v15
	s_delay_alu instid0(VALU_DEP_1) | instskip(NEXT) | instid1(VALU_DEP_1)
	v_mad_nc_u64_u32 v[16:17], 0xdb629599, v2, v[16:17]
	v_mov_b32_e32 v18, v17
	s_delay_alu instid0(VALU_DEP_1) | instskip(NEXT) | instid1(VALU_DEP_1)
	;; [unrolled: 3-line block ×3, first 2 shown]
	v_mad_nc_u64_u32 v[20:21], 0xfc2757d1, v2, v[20:21]
	v_dual_mov_b32 v23, v3 :: v_dual_mov_b32 v22, v21
	s_delay_alu instid0(VALU_DEP_1) | instskip(NEXT) | instid1(VALU_DEP_1)
	v_mad_nc_u64_u32 v[22:23], 0x4e441529, v2, v[22:23]
	v_dual_mov_b32 v24, v23 :: v_dual_add_nc_u32 v1, 0xffffff88, v1
	s_delay_alu instid0(VALU_DEP_1) | instskip(SKIP_2) | instid1(VALU_DEP_2)
	v_cmp_lt_u32_e32 vcc_lo, 63, v1
	v_mov_b32_e32 v25, v3
	v_cndmask_b32_e64 v11, 0, 0xffffffc0, vcc_lo
	v_mad_nc_u64_u32 v[2:3], 0xa2f9836e, v2, v[24:25]
	v_dual_cndmask_b32 v13, v22, v18, vcc_lo :: v_dual_cndmask_b32 v15, v20, v16, vcc_lo
	s_delay_alu instid0(VALU_DEP_3) | instskip(NEXT) | instid1(VALU_DEP_1)
	v_dual_cndmask_b32 v12, v16, v12 :: v_dual_add_nc_u32 v1, v11, v1
	v_cmp_lt_u32_e64 s0, 31, v1
	s_delay_alu instid0(VALU_DEP_4) | instskip(NEXT) | instid1(VALU_DEP_2)
	v_dual_cndmask_b32 v2, v2, v20 :: v_dual_cndmask_b32 v3, v3, v22
	v_cndmask_b32_e64 v11, 0, 0xffffffe0, s0
	s_delay_alu instid0(VALU_DEP_1) | instskip(NEXT) | instid1(VALU_DEP_1)
	v_add_nc_u32_e32 v1, v11, v1
	v_cmp_lt_u32_e64 s1, 31, v1
	s_delay_alu instid0(VALU_DEP_1) | instskip(NEXT) | instid1(VALU_DEP_1)
	v_cndmask_b32_e64 v11, 0, 0xffffffe0, s1
	v_dual_add_nc_u32 v1, v11, v1 :: v_dual_cndmask_b32 v11, v18, v14, vcc_lo
	v_dual_cndmask_b32 v14, v2, v13, s0 :: v_dual_cndmask_b32 v2, v3, v2, s0
	s_delay_alu instid0(VALU_DEP_2) | instskip(NEXT) | instid1(VALU_DEP_3)
	v_dual_cndmask_b32 v3, v13, v15, s0 :: v_dual_sub_nc_u32 v13, 32, v1
	v_cndmask_b32_e64 v15, v15, v11, s0
	v_cmp_eq_u32_e32 vcc_lo, 0, v1
	s_delay_alu instid0(VALU_DEP_4) | instskip(NEXT) | instid1(VALU_DEP_4)
	v_cndmask_b32_e64 v2, v2, v14, s1
	v_cndmask_b32_e64 v14, v14, v3, s1
	s_delay_alu instid0(VALU_DEP_4) | instskip(NEXT) | instid1(VALU_DEP_2)
	v_cndmask_b32_e64 v3, v3, v15, s1
	v_alignbit_b32 v17, v2, v14, v13
	s_delay_alu instid0(VALU_DEP_2) | instskip(NEXT) | instid1(VALU_DEP_2)
	v_alignbit_b32 v16, v14, v3, v13
	v_dual_cndmask_b32 v1, v17, v2, vcc_lo :: v_dual_cndmask_b32 v2, v11, v12, s0
	s_delay_alu instid0(VALU_DEP_1) | instskip(NEXT) | instid1(VALU_DEP_3)
	v_bfe_u32 v12, v1, 29, 1
	v_cndmask_b32_e32 v11, v16, v14, vcc_lo
	s_delay_alu instid0(VALU_DEP_2) | instskip(NEXT) | instid1(VALU_DEP_2)
	v_dual_cndmask_b32 v2, v15, v2, s1 :: v_dual_sub_nc_u32 v15, 0, v12
	v_alignbit_b32 v14, v1, v11, 30
	s_delay_alu instid0(VALU_DEP_1) | instskip(NEXT) | instid1(VALU_DEP_3)
	v_xor_b32_e32 v14, v14, v15
	v_alignbit_b32 v13, v3, v2, v13
	s_delay_alu instid0(VALU_DEP_1) | instskip(NEXT) | instid1(VALU_DEP_3)
	v_cndmask_b32_e32 v3, v13, v3, vcc_lo
	v_clz_i32_u32_e32 v13, v14
	s_delay_alu instid0(VALU_DEP_2) | instskip(NEXT) | instid1(VALU_DEP_2)
	v_alignbit_b32 v11, v11, v3, 30
	v_min_u32_e32 v13, 32, v13
	v_alignbit_b32 v2, v3, v2, 30
	s_delay_alu instid0(VALU_DEP_2) | instskip(NEXT) | instid1(VALU_DEP_2)
	v_dual_sub_nc_u32 v11, 31, v13 :: v_dual_bitop2_b32 v3, v11, v15 bitop3:0x14
	v_dual_lshrrev_b32 v15, 29, v1 :: v_dual_bitop2_b32 v2, v2, v15 bitop3:0x14
	v_lshlrev_b32_e32 v16, 23, v13
	v_lshrrev_b32_e32 v1, 30, v1
	s_delay_alu instid0(VALU_DEP_4) | instskip(NEXT) | instid1(VALU_DEP_4)
	v_alignbit_b32 v14, v14, v3, v11
	v_alignbit_b32 v2, v3, v2, v11
	s_delay_alu instid0(VALU_DEP_3) | instskip(NEXT) | instid1(VALU_DEP_2)
	v_dual_lshlrev_b32 v3, 31, v15 :: v_dual_add_nc_u32 v12, v12, v1
	v_alignbit_b32 v11, v14, v2, 9
	s_delay_alu instid0(VALU_DEP_2) | instskip(SKIP_1) | instid1(VALU_DEP_3)
	v_dual_lshrrev_b32 v14, 9, v14 :: v_dual_bitop2_b32 v15, 0.5, v3 bitop3:0x54
	v_or_b32_e32 v3, 0x33000000, v3
	v_clz_i32_u32_e32 v17, v11
	s_delay_alu instid0(VALU_DEP_3) | instskip(NEXT) | instid1(VALU_DEP_2)
	v_sub_nc_u32_e32 v15, v15, v16
	v_min_u32_e32 v16, 32, v17
	s_delay_alu instid0(VALU_DEP_1) | instskip(NEXT) | instid1(VALU_DEP_3)
	v_add_lshl_u32 v13, v16, v13, 23
	v_or_b32_e32 v14, v14, v15
	v_not_b32_e32 v15, v16
	s_delay_alu instid0(VALU_DEP_3) | instskip(NEXT) | instid1(VALU_DEP_3)
	v_sub_nc_u32_e32 v3, v3, v13
	v_mul_f32_e32 v17, 0x3fc90fda, v14
	s_delay_alu instid0(VALU_DEP_3) | instskip(NEXT) | instid1(VALU_DEP_2)
	v_alignbit_b32 v2, v11, v2, v15
	v_fma_f32 v11, 0x3fc90fda, v14, -v17
	s_delay_alu instid0(VALU_DEP_1) | instskip(NEXT) | instid1(VALU_DEP_1)
	v_dual_fmamk_f32 v11, v14, 0x33a22168, v11 :: v_dual_lshrrev_b32 v2, 9, v2
	v_or_b32_e32 v2, v3, v2
	s_delay_alu instid0(VALU_DEP_1) | instskip(NEXT) | instid1(VALU_DEP_1)
	v_fmac_f32_e32 v11, 0x3fc90fda, v2
	v_add_f32_e32 v11, v17, v11
.LBB34_1306:
	s_and_not1_saveexec_b32 s0, s13
; %bb.1307:
	v_mul_f32_e64 v1, 0x3f22f983, |v9|
	s_delay_alu instid0(VALU_DEP_1) | instskip(NEXT) | instid1(VALU_DEP_1)
	v_rndne_f32_e32 v1, v1
	v_fma_f32 v2, 0xbfc90fda, v1, |v9|
	v_cvt_i32_f32_e32 v12, v1
	s_delay_alu instid0(VALU_DEP_2) | instskip(NEXT) | instid1(VALU_DEP_1)
	v_fmamk_f32 v2, v1, 0xb3a22168, v2
	v_fmamk_f32 v11, v1, 0xa7c234c4, v2
; %bb.1308:
	s_or_b32 exec_lo, exec_lo, s0
	v_add_nc_u32_e32 v0, s3, v0
	s_cmp_lt_i32 s10, 11
	s_delay_alu instid0(VALU_DEP_1) | instskip(NEXT) | instid1(VALU_DEP_1)
	v_ashrrev_i32_e32 v1, 31, v0
	v_add_nc_u64_e32 v[2:3], s[6:7], v[0:1]
	s_cbranch_scc1 .LBB34_1315
; %bb.1309:
	s_cmp_gt_i32 s10, 25
	s_mov_b32 s1, 0
	s_cbranch_scc0 .LBB34_1317
; %bb.1310:
	s_cmp_gt_i32 s10, 28
	s_cbranch_scc0 .LBB34_1318
; %bb.1311:
	s_cmp_gt_i32 s10, 43
	;; [unrolled: 3-line block ×3, first 2 shown]
	s_cbranch_scc0 .LBB34_1321
; %bb.1313:
	s_cmp_eq_u32 s10, 46
	s_mov_b32 s14, 0
	s_cbranch_scc0 .LBB34_1322
; %bb.1314:
	global_load_b32 v1, v[2:3], off
	s_mov_b32 s0, 0
	s_mov_b32 s13, -1
	s_branch .LBB34_1324
.LBB34_1315:
	s_mov_b32 s13, 0
                                        ; implicit-def: $vgpr1
	s_cbranch_execnz .LBB34_1390
.LBB34_1316:
	s_and_not1_b32 vcc_lo, exec_lo, s13
	s_cbranch_vccz .LBB34_1438
	s_branch .LBB34_2007
.LBB34_1317:
	s_mov_b32 s14, -1
	s_mov_b32 s13, 0
	s_mov_b32 s0, 0
                                        ; implicit-def: $vgpr1
	s_branch .LBB34_1353
.LBB34_1318:
	s_mov_b32 s14, -1
	s_mov_b32 s13, 0
	s_mov_b32 s0, 0
                                        ; implicit-def: $vgpr1
	s_branch .LBB34_1334
.LBB34_1319:
	s_mov_b32 s14, -1
	s_mov_b32 s13, 0
	s_mov_b32 s0, 0
                                        ; implicit-def: $vgpr1
	s_branch .LBB34_1329
.LBB34_1320:
	s_or_b32 s9, s9, exec_lo
	s_trap 2
	s_cbranch_execz .LBB34_1255
	s_branch .LBB34_1256
.LBB34_1321:
	s_mov_b32 s14, -1
	s_mov_b32 s13, 0
	s_mov_b32 s0, 0
	s_branch .LBB34_1323
.LBB34_1322:
	s_mov_b32 s0, -1
	s_mov_b32 s13, 0
.LBB34_1323:
                                        ; implicit-def: $vgpr1
.LBB34_1324:
	s_and_b32 vcc_lo, exec_lo, s14
	s_cbranch_vccz .LBB34_1328
; %bb.1325:
	s_cmp_eq_u32 s10, 44
	s_cbranch_scc0 .LBB34_1327
; %bb.1326:
	s_wait_loadcnt 0x0
	global_load_u8 v1, v[2:3], off
	s_mov_b32 s0, 0
	s_mov_b32 s13, -1
	s_wait_loadcnt 0x0
	v_lshlrev_b32_e32 v13, 23, v1
	v_cmp_ne_u32_e32 vcc_lo, 0xff, v1
	s_delay_alu instid0(VALU_DEP_2) | instskip(SKIP_1) | instid1(VALU_DEP_2)
	v_cndmask_b32_e32 v13, 0x7f800001, v13, vcc_lo
	v_cmp_ne_u32_e32 vcc_lo, 0, v1
	v_cndmask_b32_e32 v1, 0x400000, v13, vcc_lo
	s_delay_alu instid0(VALU_DEP_1) | instskip(SKIP_1) | instid1(VALU_DEP_2)
	v_add_nc_u32_e32 v13, 0x7fff, v1
	v_cmp_o_f32_e32 vcc_lo, v1, v1
	v_lshrrev_b32_e32 v13, 16, v13
	s_delay_alu instid0(VALU_DEP_1)
	v_cndmask_b32_e32 v1, 0x7fc0, v13, vcc_lo
	s_branch .LBB34_1328
.LBB34_1327:
	s_mov_b32 s0, -1
                                        ; implicit-def: $vgpr1
.LBB34_1328:
	s_mov_b32 s14, 0
.LBB34_1329:
	s_delay_alu instid0(SALU_CYCLE_1)
	s_and_b32 vcc_lo, exec_lo, s14
	s_cbranch_vccz .LBB34_1333
; %bb.1330:
	s_cmp_eq_u32 s10, 29
	s_cbranch_scc0 .LBB34_1332
; %bb.1331:
	global_load_b64 v[14:15], v[2:3], off
	s_mov_b32 s0, 0
	s_mov_b32 s13, -1
	s_mov_b32 s14, 0
	s_wait_loadcnt 0x0
	v_clz_i32_u32_e32 v1, v15
	s_delay_alu instid0(VALU_DEP_1) | instskip(NEXT) | instid1(VALU_DEP_1)
	v_min_u32_e32 v1, 32, v1
	v_lshlrev_b64_e32 v[14:15], v1, v[14:15]
	v_sub_nc_u32_e32 v1, 32, v1
	s_delay_alu instid0(VALU_DEP_2) | instskip(NEXT) | instid1(VALU_DEP_1)
	v_min_u32_e32 v13, 1, v14
	v_or_b32_e32 v13, v15, v13
	s_delay_alu instid0(VALU_DEP_1) | instskip(NEXT) | instid1(VALU_DEP_1)
	v_cvt_f32_u32_e32 v13, v13
	v_ldexp_f32 v1, v13, v1
	s_delay_alu instid0(VALU_DEP_1) | instskip(NEXT) | instid1(VALU_DEP_1)
	v_bfe_u32 v13, v1, 16, 1
	v_add3_u32 v1, v1, v13, 0x7fff
	s_delay_alu instid0(VALU_DEP_1)
	v_lshrrev_b32_e32 v1, 16, v1
	s_branch .LBB34_1334
.LBB34_1332:
	s_mov_b32 s0, -1
                                        ; implicit-def: $vgpr1
.LBB34_1333:
	s_mov_b32 s14, 0
.LBB34_1334:
	s_delay_alu instid0(SALU_CYCLE_1)
	s_and_b32 vcc_lo, exec_lo, s14
	s_cbranch_vccz .LBB34_1352
; %bb.1335:
	s_cmp_lt_i32 s10, 27
	s_cbranch_scc1 .LBB34_1338
; %bb.1336:
	s_cmp_gt_i32 s10, 27
	s_cbranch_scc0 .LBB34_1339
; %bb.1337:
	s_wait_loadcnt 0x0
	global_load_b32 v1, v[2:3], off
	s_mov_b32 s13, 0
	s_wait_loadcnt 0x0
	v_cvt_f32_u32_e32 v1, v1
	s_delay_alu instid0(VALU_DEP_1) | instskip(NEXT) | instid1(VALU_DEP_1)
	v_bfe_u32 v13, v1, 16, 1
	v_add3_u32 v1, v1, v13, 0x7fff
	s_delay_alu instid0(VALU_DEP_1)
	v_lshrrev_b32_e32 v1, 16, v1
	s_branch .LBB34_1340
.LBB34_1338:
	s_mov_b32 s13, -1
                                        ; implicit-def: $vgpr1
	s_branch .LBB34_1343
.LBB34_1339:
	s_mov_b32 s13, -1
                                        ; implicit-def: $vgpr1
.LBB34_1340:
	s_delay_alu instid0(SALU_CYCLE_1)
	s_and_not1_b32 vcc_lo, exec_lo, s13
	s_cbranch_vccnz .LBB34_1342
; %bb.1341:
	s_wait_loadcnt 0x0
	global_load_u16 v1, v[2:3], off
	s_wait_loadcnt 0x0
	v_cvt_f32_u32_e32 v1, v1
	s_delay_alu instid0(VALU_DEP_1) | instskip(NEXT) | instid1(VALU_DEP_1)
	v_bfe_u32 v13, v1, 16, 1
	v_add3_u32 v1, v1, v13, 0x7fff
	s_delay_alu instid0(VALU_DEP_1)
	v_lshrrev_b32_e32 v1, 16, v1
.LBB34_1342:
	s_mov_b32 s13, 0
.LBB34_1343:
	s_delay_alu instid0(SALU_CYCLE_1)
	s_and_not1_b32 vcc_lo, exec_lo, s13
	s_cbranch_vccnz .LBB34_1351
; %bb.1344:
	s_wait_loadcnt 0x0
	global_load_u8 v1, v[2:3], off
	s_mov_b32 s13, 0
	s_mov_b32 s14, exec_lo
	s_wait_loadcnt 0x0
	v_cmpx_lt_i16_e32 0x7f, v1
	s_xor_b32 s14, exec_lo, s14
	s_cbranch_execz .LBB34_1365
; %bb.1345:
	s_mov_b32 s13, -1
	s_mov_b32 s15, exec_lo
	v_cmpx_eq_u16_e32 0x80, v1
; %bb.1346:
	s_xor_b32 s13, exec_lo, -1
; %bb.1347:
	s_or_b32 exec_lo, exec_lo, s15
	s_delay_alu instid0(SALU_CYCLE_1)
	s_and_b32 s13, s13, exec_lo
	s_or_saveexec_b32 s14, s14
	v_mov_b32_e32 v13, 0x7f800001
	s_xor_b32 exec_lo, exec_lo, s14
	s_cbranch_execnz .LBB34_1366
.LBB34_1348:
	s_or_b32 exec_lo, exec_lo, s14
	s_and_saveexec_b32 s14, s13
	s_cbranch_execz .LBB34_1350
.LBB34_1349:
	v_and_b32_e32 v13, 0xffff, v1
	s_delay_alu instid0(VALU_DEP_1) | instskip(SKIP_1) | instid1(VALU_DEP_2)
	v_and_b32_e32 v14, 7, v13
	v_bfe_u32 v17, v13, 3, 4
	v_clz_i32_u32_e32 v15, v14
	s_delay_alu instid0(VALU_DEP_2) | instskip(NEXT) | instid1(VALU_DEP_2)
	v_cmp_eq_u32_e32 vcc_lo, 0, v17
	v_min_u32_e32 v15, 32, v15
	s_delay_alu instid0(VALU_DEP_1) | instskip(NEXT) | instid1(VALU_DEP_1)
	v_subrev_nc_u32_e32 v16, 28, v15
	v_dual_lshlrev_b32 v13, v16, v13 :: v_dual_sub_nc_u32 v15, 29, v15
	s_delay_alu instid0(VALU_DEP_1) | instskip(NEXT) | instid1(VALU_DEP_2)
	v_and_b32_e32 v13, 7, v13
	v_dual_lshlrev_b32 v1, 24, v1 :: v_dual_cndmask_b32 v15, v17, v15, vcc_lo
	s_delay_alu instid0(VALU_DEP_2) | instskip(NEXT) | instid1(VALU_DEP_2)
	v_cndmask_b32_e32 v13, v14, v13, vcc_lo
	v_and_b32_e32 v1, 0x80000000, v1
	s_delay_alu instid0(VALU_DEP_3) | instskip(NEXT) | instid1(VALU_DEP_3)
	v_lshl_add_u32 v14, v15, 23, 0x3b800000
	v_lshlrev_b32_e32 v13, 20, v13
	s_delay_alu instid0(VALU_DEP_1)
	v_or3_b32 v13, v1, v14, v13
.LBB34_1350:
	s_or_b32 exec_lo, exec_lo, s14
	s_delay_alu instid0(VALU_DEP_1) | instskip(SKIP_1) | instid1(VALU_DEP_2)
	v_bfe_u32 v1, v13, 16, 1
	v_cmp_o_f32_e32 vcc_lo, v13, v13
	v_add3_u32 v1, v13, v1, 0x7fff
	s_delay_alu instid0(VALU_DEP_1) | instskip(NEXT) | instid1(VALU_DEP_1)
	v_lshrrev_b32_e32 v1, 16, v1
	v_cndmask_b32_e32 v1, 0x7fc0, v1, vcc_lo
.LBB34_1351:
	s_mov_b32 s13, -1
.LBB34_1352:
	s_mov_b32 s14, 0
.LBB34_1353:
	s_delay_alu instid0(SALU_CYCLE_1)
	s_and_b32 vcc_lo, exec_lo, s14
	s_cbranch_vccz .LBB34_1386
; %bb.1354:
	s_cmp_gt_i32 s10, 22
	s_cbranch_scc0 .LBB34_1364
; %bb.1355:
	s_cmp_lt_i32 s10, 24
	s_cbranch_scc1 .LBB34_1367
; %bb.1356:
	s_cmp_gt_i32 s10, 24
	s_cbranch_scc0 .LBB34_1368
; %bb.1357:
	s_wait_loadcnt 0x0
	global_load_u8 v1, v[2:3], off
	s_mov_b32 s13, exec_lo
	s_wait_loadcnt 0x0
	v_cmpx_lt_i16_e32 0x7f, v1
	s_xor_b32 s13, exec_lo, s13
	s_cbranch_execz .LBB34_1380
; %bb.1358:
	s_mov_b32 s1, -1
	s_mov_b32 s14, exec_lo
	v_cmpx_eq_u16_e32 0x80, v1
; %bb.1359:
	s_xor_b32 s1, exec_lo, -1
; %bb.1360:
	s_or_b32 exec_lo, exec_lo, s14
	s_delay_alu instid0(SALU_CYCLE_1)
	s_and_b32 s1, s1, exec_lo
	s_or_saveexec_b32 s13, s13
	v_mov_b32_e32 v13, 0x7f800001
	s_xor_b32 exec_lo, exec_lo, s13
	s_cbranch_execnz .LBB34_1381
.LBB34_1361:
	s_or_b32 exec_lo, exec_lo, s13
	s_and_saveexec_b32 s13, s1
	s_cbranch_execz .LBB34_1363
.LBB34_1362:
	v_and_b32_e32 v13, 0xffff, v1
	s_delay_alu instid0(VALU_DEP_1) | instskip(SKIP_1) | instid1(VALU_DEP_2)
	v_and_b32_e32 v14, 3, v13
	v_bfe_u32 v17, v13, 2, 5
	v_clz_i32_u32_e32 v15, v14
	s_delay_alu instid0(VALU_DEP_2) | instskip(NEXT) | instid1(VALU_DEP_2)
	v_cmp_eq_u32_e32 vcc_lo, 0, v17
	v_min_u32_e32 v15, 32, v15
	s_delay_alu instid0(VALU_DEP_1) | instskip(NEXT) | instid1(VALU_DEP_1)
	v_subrev_nc_u32_e32 v16, 29, v15
	v_dual_lshlrev_b32 v13, v16, v13 :: v_dual_sub_nc_u32 v15, 30, v15
	s_delay_alu instid0(VALU_DEP_1) | instskip(NEXT) | instid1(VALU_DEP_2)
	v_and_b32_e32 v13, 3, v13
	v_dual_lshlrev_b32 v1, 24, v1 :: v_dual_cndmask_b32 v15, v17, v15, vcc_lo
	s_delay_alu instid0(VALU_DEP_2) | instskip(NEXT) | instid1(VALU_DEP_2)
	v_cndmask_b32_e32 v13, v14, v13, vcc_lo
	v_and_b32_e32 v1, 0x80000000, v1
	s_delay_alu instid0(VALU_DEP_3) | instskip(NEXT) | instid1(VALU_DEP_3)
	v_lshl_add_u32 v14, v15, 23, 0x37800000
	v_lshlrev_b32_e32 v13, 21, v13
	s_delay_alu instid0(VALU_DEP_1)
	v_or3_b32 v13, v1, v14, v13
.LBB34_1363:
	s_or_b32 exec_lo, exec_lo, s13
	s_delay_alu instid0(VALU_DEP_1) | instskip(SKIP_2) | instid1(VALU_DEP_2)
	v_bfe_u32 v1, v13, 16, 1
	v_cmp_o_f32_e32 vcc_lo, v13, v13
	s_mov_b32 s1, 0
	v_add3_u32 v1, v13, v1, 0x7fff
	s_delay_alu instid0(VALU_DEP_1) | instskip(NEXT) | instid1(VALU_DEP_1)
	v_lshrrev_b32_e32 v1, 16, v1
	v_cndmask_b32_e32 v1, 0x7fc0, v1, vcc_lo
	s_branch .LBB34_1369
.LBB34_1364:
	s_mov_b32 s1, -1
                                        ; implicit-def: $vgpr1
	s_branch .LBB34_1375
.LBB34_1365:
	s_or_saveexec_b32 s14, s14
	v_mov_b32_e32 v13, 0x7f800001
	s_xor_b32 exec_lo, exec_lo, s14
	s_cbranch_execz .LBB34_1348
.LBB34_1366:
	v_cmp_ne_u16_e32 vcc_lo, 0, v1
	v_mov_b32_e32 v13, 0
	s_and_not1_b32 s13, s13, exec_lo
	s_and_b32 s15, vcc_lo, exec_lo
	s_delay_alu instid0(SALU_CYCLE_1)
	s_or_b32 s13, s13, s15
	s_or_b32 exec_lo, exec_lo, s14
	s_and_saveexec_b32 s14, s13
	s_cbranch_execnz .LBB34_1349
	s_branch .LBB34_1350
.LBB34_1367:
	s_mov_b32 s1, -1
                                        ; implicit-def: $vgpr1
	s_branch .LBB34_1372
.LBB34_1368:
	s_mov_b32 s1, -1
                                        ; implicit-def: $vgpr1
.LBB34_1369:
	s_delay_alu instid0(SALU_CYCLE_1)
	s_and_b32 vcc_lo, exec_lo, s1
	s_cbranch_vccz .LBB34_1371
; %bb.1370:
	s_wait_loadcnt 0x0
	global_load_u8 v1, v[2:3], off
	s_wait_loadcnt 0x0
	v_lshlrev_b32_e32 v1, 24, v1
	s_delay_alu instid0(VALU_DEP_1) | instskip(NEXT) | instid1(VALU_DEP_1)
	v_and_b32_e32 v13, 0x7f000000, v1
	v_clz_i32_u32_e32 v14, v13
	v_cmp_ne_u32_e32 vcc_lo, 0, v13
	v_add_nc_u32_e32 v16, 0x1000000, v13
	s_delay_alu instid0(VALU_DEP_3) | instskip(NEXT) | instid1(VALU_DEP_1)
	v_min_u32_e32 v14, 32, v14
	v_sub_nc_u32_e64 v14, v14, 4 clamp
	s_delay_alu instid0(VALU_DEP_1) | instskip(NEXT) | instid1(VALU_DEP_1)
	v_dual_lshlrev_b32 v15, v14, v13 :: v_dual_lshlrev_b32 v14, 23, v14
	v_lshrrev_b32_e32 v15, 4, v15
	s_delay_alu instid0(VALU_DEP_1) | instskip(NEXT) | instid1(VALU_DEP_1)
	v_dual_sub_nc_u32 v14, v15, v14 :: v_dual_ashrrev_i32 v15, 8, v16
	v_add_nc_u32_e32 v14, 0x3c000000, v14
	s_delay_alu instid0(VALU_DEP_1) | instskip(NEXT) | instid1(VALU_DEP_1)
	v_and_or_b32 v14, 0x7f800000, v15, v14
	v_cndmask_b32_e32 v13, 0, v14, vcc_lo
	s_delay_alu instid0(VALU_DEP_1) | instskip(SKIP_1) | instid1(VALU_DEP_2)
	v_and_or_b32 v1, 0x80000000, v1, v13
	v_bfe_u32 v13, v13, 16, 1
	v_cmp_o_f32_e32 vcc_lo, v1, v1
	s_delay_alu instid0(VALU_DEP_2) | instskip(NEXT) | instid1(VALU_DEP_1)
	v_add3_u32 v13, v1, v13, 0x7fff
	v_lshrrev_b32_e32 v13, 16, v13
	s_delay_alu instid0(VALU_DEP_1)
	v_cndmask_b32_e32 v1, 0x7fc0, v13, vcc_lo
.LBB34_1371:
	s_mov_b32 s1, 0
.LBB34_1372:
	s_delay_alu instid0(SALU_CYCLE_1)
	s_and_not1_b32 vcc_lo, exec_lo, s1
	s_cbranch_vccnz .LBB34_1374
; %bb.1373:
	s_wait_loadcnt 0x0
	global_load_u8 v1, v[2:3], off
	s_wait_loadcnt 0x0
	v_lshlrev_b32_e32 v13, 25, v1
	v_lshlrev_b16 v1, 8, v1
	s_delay_alu instid0(VALU_DEP_1) | instskip(SKIP_1) | instid1(VALU_DEP_2)
	v_and_or_b32 v15, 0x7f00, v1, 0.5
	v_bfe_i32 v1, v1, 0, 16
	v_dual_add_f32 v15, -0.5, v15 :: v_dual_lshrrev_b32 v14, 4, v13
	v_cmp_gt_u32_e32 vcc_lo, 0x8000000, v13
	s_delay_alu instid0(VALU_DEP_2) | instskip(NEXT) | instid1(VALU_DEP_1)
	v_or_b32_e32 v14, 0x70000000, v14
	v_mul_f32_e32 v14, 0x7800000, v14
	s_delay_alu instid0(VALU_DEP_1) | instskip(NEXT) | instid1(VALU_DEP_1)
	v_cndmask_b32_e32 v13, v14, v15, vcc_lo
	v_and_or_b32 v1, 0x80000000, v1, v13
	v_bfe_u32 v13, v13, 16, 1
	s_delay_alu instid0(VALU_DEP_2) | instskip(NEXT) | instid1(VALU_DEP_2)
	v_cmp_o_f32_e32 vcc_lo, v1, v1
	v_add3_u32 v13, v1, v13, 0x7fff
	s_delay_alu instid0(VALU_DEP_1) | instskip(NEXT) | instid1(VALU_DEP_1)
	v_lshrrev_b32_e32 v13, 16, v13
	v_cndmask_b32_e32 v1, 0x7fc0, v13, vcc_lo
.LBB34_1374:
	s_mov_b32 s1, 0
	s_mov_b32 s13, -1
.LBB34_1375:
	s_and_not1_b32 vcc_lo, exec_lo, s1
	s_mov_b32 s1, 0
	s_cbranch_vccnz .LBB34_1386
; %bb.1376:
	s_cmp_gt_i32 s10, 14
	s_cbranch_scc0 .LBB34_1379
; %bb.1377:
	s_cmp_eq_u32 s10, 15
	s_cbranch_scc0 .LBB34_1382
; %bb.1378:
	s_wait_loadcnt 0x0
	global_load_u16 v1, v[2:3], off
	s_mov_b32 s0, 0
	s_mov_b32 s13, -1
	s_branch .LBB34_1384
.LBB34_1379:
	s_mov_b32 s1, -1
	s_branch .LBB34_1383
.LBB34_1380:
	s_or_saveexec_b32 s13, s13
	v_mov_b32_e32 v13, 0x7f800001
	s_xor_b32 exec_lo, exec_lo, s13
	s_cbranch_execz .LBB34_1361
.LBB34_1381:
	v_cmp_ne_u16_e32 vcc_lo, 0, v1
	v_mov_b32_e32 v13, 0
	s_and_not1_b32 s1, s1, exec_lo
	s_and_b32 s14, vcc_lo, exec_lo
	s_delay_alu instid0(SALU_CYCLE_1)
	s_or_b32 s1, s1, s14
	s_or_b32 exec_lo, exec_lo, s13
	s_and_saveexec_b32 s13, s1
	s_cbranch_execnz .LBB34_1362
	s_branch .LBB34_1363
.LBB34_1382:
	s_mov_b32 s0, -1
.LBB34_1383:
                                        ; implicit-def: $vgpr1
.LBB34_1384:
	s_and_b32 vcc_lo, exec_lo, s1
	s_mov_b32 s1, 0
	s_cbranch_vccz .LBB34_1386
; %bb.1385:
	s_cmp_lg_u32 s10, 11
	s_mov_b32 s1, -1
	s_cselect_b32 s0, -1, 0
.LBB34_1386:
	s_delay_alu instid0(SALU_CYCLE_1)
	s_and_b32 vcc_lo, exec_lo, s0
	s_cbranch_vccnz .LBB34_1453
; %bb.1387:
	s_and_not1_b32 vcc_lo, exec_lo, s1
	s_cbranch_vccnz .LBB34_1389
.LBB34_1388:
	s_wait_loadcnt 0x0
	global_load_u8 v1, v[2:3], off
	s_mov_b32 s13, -1
	s_wait_loadcnt 0x0
	v_cmp_ne_u16_e32 vcc_lo, 0, v1
	v_cndmask_b32_e64 v1, 0, 1.0, vcc_lo
	s_delay_alu instid0(VALU_DEP_1)
	v_lshrrev_b32_e32 v1, 16, v1
.LBB34_1389:
	s_branch .LBB34_1316
.LBB34_1390:
	s_cmp_lt_i32 s10, 5
	s_cbranch_scc1 .LBB34_1395
; %bb.1391:
	s_cmp_lt_i32 s10, 8
	s_cbranch_scc1 .LBB34_1396
; %bb.1392:
	;; [unrolled: 3-line block ×3, first 2 shown]
	s_cmp_gt_i32 s10, 9
	s_cbranch_scc0 .LBB34_1398
; %bb.1394:
	global_load_b64 v[14:15], v[2:3], off
	s_mov_b32 s0, 0
	s_wait_loadcnt 0x0
	v_cvt_f32_f64_e32 v1, v[14:15]
	s_delay_alu instid0(VALU_DEP_1) | instskip(SKIP_1) | instid1(VALU_DEP_2)
	v_bfe_u32 v13, v1, 16, 1
	v_cmp_o_f32_e32 vcc_lo, v1, v1
	v_add3_u32 v13, v1, v13, 0x7fff
	s_delay_alu instid0(VALU_DEP_1) | instskip(NEXT) | instid1(VALU_DEP_1)
	v_lshrrev_b32_e32 v13, 16, v13
	v_cndmask_b32_e32 v1, 0x7fc0, v13, vcc_lo
	s_branch .LBB34_1399
.LBB34_1395:
	s_mov_b32 s0, -1
                                        ; implicit-def: $vgpr1
	s_branch .LBB34_1417
.LBB34_1396:
	s_mov_b32 s0, -1
                                        ; implicit-def: $vgpr1
	s_branch .LBB34_1405
.LBB34_1397:
	s_mov_b32 s0, -1
                                        ; implicit-def: $vgpr1
	s_branch .LBB34_1402
.LBB34_1398:
	s_mov_b32 s0, -1
                                        ; implicit-def: $vgpr1
.LBB34_1399:
	s_delay_alu instid0(SALU_CYCLE_1)
	s_and_not1_b32 vcc_lo, exec_lo, s0
	s_cbranch_vccnz .LBB34_1401
; %bb.1400:
	s_wait_loadcnt 0x0
	global_load_b32 v1, v[2:3], off
	s_wait_loadcnt 0x0
	v_bfe_u32 v13, v1, 16, 1
	v_cmp_o_f32_e32 vcc_lo, v1, v1
	s_delay_alu instid0(VALU_DEP_2) | instskip(NEXT) | instid1(VALU_DEP_1)
	v_add3_u32 v13, v1, v13, 0x7fff
	v_lshrrev_b32_e32 v13, 16, v13
	s_delay_alu instid0(VALU_DEP_1)
	v_cndmask_b32_e32 v1, 0x7fc0, v13, vcc_lo
.LBB34_1401:
	s_mov_b32 s0, 0
.LBB34_1402:
	s_delay_alu instid0(SALU_CYCLE_1)
	s_and_not1_b32 vcc_lo, exec_lo, s0
	s_cbranch_vccnz .LBB34_1404
; %bb.1403:
	s_wait_loadcnt 0x0
	global_load_b32 v1, v[2:3], off
	s_wait_loadcnt 0x0
	v_cvt_f32_f16_e32 v13, v1
	v_cmp_o_f16_e32 vcc_lo, v1, v1
	s_delay_alu instid0(VALU_DEP_2) | instskip(NEXT) | instid1(VALU_DEP_1)
	v_bfe_u32 v14, v13, 16, 1
	v_add3_u32 v13, v13, v14, 0x7fff
	s_delay_alu instid0(VALU_DEP_1) | instskip(NEXT) | instid1(VALU_DEP_1)
	v_lshrrev_b32_e32 v13, 16, v13
	v_cndmask_b32_e32 v1, 0x7fc0, v13, vcc_lo
.LBB34_1404:
	s_mov_b32 s0, 0
.LBB34_1405:
	s_delay_alu instid0(SALU_CYCLE_1)
	s_and_not1_b32 vcc_lo, exec_lo, s0
	s_cbranch_vccnz .LBB34_1416
; %bb.1406:
	s_cmp_lt_i32 s10, 6
	s_cbranch_scc1 .LBB34_1409
; %bb.1407:
	s_cmp_gt_i32 s10, 6
	s_cbranch_scc0 .LBB34_1410
; %bb.1408:
	global_load_b64 v[14:15], v[2:3], off
	s_mov_b32 s0, 0
	s_wait_loadcnt 0x0
	v_cvt_f32_f64_e32 v1, v[14:15]
	s_delay_alu instid0(VALU_DEP_1) | instskip(SKIP_1) | instid1(VALU_DEP_2)
	v_bfe_u32 v13, v1, 16, 1
	v_cmp_o_f32_e32 vcc_lo, v1, v1
	v_add3_u32 v13, v1, v13, 0x7fff
	s_delay_alu instid0(VALU_DEP_1) | instskip(NEXT) | instid1(VALU_DEP_1)
	v_lshrrev_b32_e32 v13, 16, v13
	v_cndmask_b32_e32 v1, 0x7fc0, v13, vcc_lo
	s_branch .LBB34_1411
.LBB34_1409:
	s_mov_b32 s0, -1
                                        ; implicit-def: $vgpr1
	s_branch .LBB34_1414
.LBB34_1410:
	s_mov_b32 s0, -1
                                        ; implicit-def: $vgpr1
.LBB34_1411:
	s_delay_alu instid0(SALU_CYCLE_1)
	s_and_not1_b32 vcc_lo, exec_lo, s0
	s_cbranch_vccnz .LBB34_1413
; %bb.1412:
	s_wait_loadcnt 0x0
	global_load_b32 v1, v[2:3], off
	s_wait_loadcnt 0x0
	v_bfe_u32 v13, v1, 16, 1
	v_cmp_o_f32_e32 vcc_lo, v1, v1
	s_delay_alu instid0(VALU_DEP_2) | instskip(NEXT) | instid1(VALU_DEP_1)
	v_add3_u32 v13, v1, v13, 0x7fff
	v_lshrrev_b32_e32 v13, 16, v13
	s_delay_alu instid0(VALU_DEP_1)
	v_cndmask_b32_e32 v1, 0x7fc0, v13, vcc_lo
.LBB34_1413:
	s_mov_b32 s0, 0
.LBB34_1414:
	s_delay_alu instid0(SALU_CYCLE_1)
	s_and_not1_b32 vcc_lo, exec_lo, s0
	s_cbranch_vccnz .LBB34_1416
; %bb.1415:
	s_wait_loadcnt 0x0
	global_load_u16 v1, v[2:3], off
	s_wait_loadcnt 0x0
	v_cvt_f32_f16_e32 v13, v1
	v_cmp_o_f16_e32 vcc_lo, v1, v1
	s_delay_alu instid0(VALU_DEP_2) | instskip(NEXT) | instid1(VALU_DEP_1)
	v_bfe_u32 v14, v13, 16, 1
	v_add3_u32 v13, v13, v14, 0x7fff
	s_delay_alu instid0(VALU_DEP_1) | instskip(NEXT) | instid1(VALU_DEP_1)
	v_lshrrev_b32_e32 v13, 16, v13
	v_cndmask_b32_e32 v1, 0x7fc0, v13, vcc_lo
.LBB34_1416:
	s_mov_b32 s0, 0
.LBB34_1417:
	s_delay_alu instid0(SALU_CYCLE_1)
	s_and_not1_b32 vcc_lo, exec_lo, s0
	s_cbranch_vccnz .LBB34_1437
; %bb.1418:
	s_cmp_lt_i32 s10, 2
	s_cbranch_scc1 .LBB34_1422
; %bb.1419:
	s_cmp_lt_i32 s10, 3
	s_cbranch_scc1 .LBB34_1423
; %bb.1420:
	s_cmp_gt_i32 s10, 3
	s_cbranch_scc0 .LBB34_1424
; %bb.1421:
	global_load_b64 v[14:15], v[2:3], off
	s_mov_b32 s0, 0
	s_wait_loadcnt 0x0
	v_xor_b32_e32 v1, v14, v15
	v_cls_i32_e32 v13, v15
	s_delay_alu instid0(VALU_DEP_2) | instskip(NEXT) | instid1(VALU_DEP_1)
	v_ashrrev_i32_e32 v1, 31, v1
	v_add_nc_u32_e32 v1, 32, v1
	s_delay_alu instid0(VALU_DEP_1) | instskip(NEXT) | instid1(VALU_DEP_1)
	v_add_min_u32_e64 v1, v13, -1, v1
	v_lshlrev_b64_e32 v[14:15], v1, v[14:15]
	v_sub_nc_u32_e32 v1, 32, v1
	s_delay_alu instid0(VALU_DEP_2) | instskip(NEXT) | instid1(VALU_DEP_1)
	v_min_u32_e32 v13, 1, v14
	v_or_b32_e32 v13, v15, v13
	s_delay_alu instid0(VALU_DEP_1) | instskip(NEXT) | instid1(VALU_DEP_1)
	v_cvt_f32_i32_e32 v13, v13
	v_ldexp_f32 v1, v13, v1
	s_delay_alu instid0(VALU_DEP_1) | instskip(NEXT) | instid1(VALU_DEP_1)
	v_bfe_u32 v13, v1, 16, 1
	v_add3_u32 v1, v1, v13, 0x7fff
	s_delay_alu instid0(VALU_DEP_1)
	v_lshrrev_b32_e32 v1, 16, v1
	s_branch .LBB34_1425
.LBB34_1422:
	s_mov_b32 s0, -1
                                        ; implicit-def: $vgpr1
	s_branch .LBB34_1431
.LBB34_1423:
	s_mov_b32 s0, -1
                                        ; implicit-def: $vgpr1
	s_branch .LBB34_1428
.LBB34_1424:
	s_mov_b32 s0, -1
                                        ; implicit-def: $vgpr1
.LBB34_1425:
	s_delay_alu instid0(SALU_CYCLE_1)
	s_and_not1_b32 vcc_lo, exec_lo, s0
	s_cbranch_vccnz .LBB34_1427
; %bb.1426:
	s_wait_loadcnt 0x0
	global_load_b32 v1, v[2:3], off
	s_wait_loadcnt 0x0
	v_cvt_f32_i32_e32 v1, v1
	s_delay_alu instid0(VALU_DEP_1) | instskip(NEXT) | instid1(VALU_DEP_1)
	v_bfe_u32 v13, v1, 16, 1
	v_add3_u32 v1, v1, v13, 0x7fff
	s_delay_alu instid0(VALU_DEP_1)
	v_lshrrev_b32_e32 v1, 16, v1
.LBB34_1427:
	s_mov_b32 s0, 0
.LBB34_1428:
	s_delay_alu instid0(SALU_CYCLE_1)
	s_and_not1_b32 vcc_lo, exec_lo, s0
	s_cbranch_vccnz .LBB34_1430
; %bb.1429:
	s_wait_loadcnt 0x0
	global_load_i16 v1, v[2:3], off
	s_wait_loadcnt 0x0
	v_cvt_f32_i32_e32 v1, v1
	s_delay_alu instid0(VALU_DEP_1) | instskip(NEXT) | instid1(VALU_DEP_1)
	v_bfe_u32 v13, v1, 16, 1
	v_add3_u32 v1, v1, v13, 0x7fff
	s_delay_alu instid0(VALU_DEP_1)
	v_lshrrev_b32_e32 v1, 16, v1
.LBB34_1430:
	s_mov_b32 s0, 0
.LBB34_1431:
	s_delay_alu instid0(SALU_CYCLE_1)
	s_and_not1_b32 vcc_lo, exec_lo, s0
	s_cbranch_vccnz .LBB34_1437
; %bb.1432:
	s_cmp_gt_i32 s10, 0
	s_mov_b32 s0, 0
	s_cbranch_scc0 .LBB34_1434
; %bb.1433:
	s_wait_loadcnt 0x0
	global_load_i8 v1, v[2:3], off
	s_wait_loadcnt 0x0
	v_cvt_f32_i32_e32 v1, v1
	s_delay_alu instid0(VALU_DEP_1) | instskip(NEXT) | instid1(VALU_DEP_1)
	v_bfe_u32 v13, v1, 16, 1
	v_add3_u32 v1, v1, v13, 0x7fff
	s_delay_alu instid0(VALU_DEP_1)
	v_lshrrev_b32_e32 v1, 16, v1
	s_branch .LBB34_1435
.LBB34_1434:
	s_mov_b32 s0, -1
                                        ; implicit-def: $vgpr1
.LBB34_1435:
	s_delay_alu instid0(SALU_CYCLE_1)
	s_and_not1_b32 vcc_lo, exec_lo, s0
	s_cbranch_vccnz .LBB34_1437
; %bb.1436:
	s_wait_loadcnt 0x0
	global_load_u8 v1, v[2:3], off
	s_wait_loadcnt 0x0
	v_cvt_f32_ubyte0_e32 v1, v1
	s_wait_xcnt 0x0
	s_delay_alu instid0(VALU_DEP_1) | instskip(NEXT) | instid1(VALU_DEP_1)
	v_bfe_u32 v2, v1, 16, 1
	v_add3_u32 v1, v1, v2, 0x7fff
	s_delay_alu instid0(VALU_DEP_1)
	v_lshrrev_b32_e32 v1, 16, v1
.LBB34_1437:
.LBB34_1438:
	s_wait_loadcnt 0x0
	s_delay_alu instid0(VALU_DEP_1) | instskip(SKIP_1) | instid1(VALU_DEP_1)
	v_lshlrev_b32_e32 v13, 16, v1
                                        ; implicit-def: $vgpr16
                                        ; implicit-def: $vgpr15
	s_mov_b32 s1, exec_lo
	v_and_b32_e32 v14, 0x7fffffff, v13
	s_wait_xcnt 0x0
	v_cmpx_ngt_f32_e64 0x48000000, |v13|
	s_xor_b32 s13, exec_lo, s1
	s_cbranch_execz .LBB34_1440
; %bb.1439:
	s_mov_b32 s0, 0x7fffff
	v_mov_b32_e32 v3, 0
	v_and_or_b32 v2, v14, s0, 0x800000
	s_mov_b64 s[0:1], 0xfe5163ab
	v_lshrrev_b32_e32 v1, 23, v14
	s_delay_alu instid0(VALU_DEP_2) | instskip(NEXT) | instid1(VALU_DEP_1)
	v_mul_u64_e32 v[16:17], s[0:1], v[2:3]
	v_dual_mov_b32 v18, v17 :: v_dual_mov_b32 v19, v3
	v_dual_mov_b32 v21, v3 :: v_dual_mov_b32 v23, v3
	v_mov_b32_e32 v25, v3
	s_delay_alu instid0(VALU_DEP_3) | instskip(NEXT) | instid1(VALU_DEP_1)
	v_mad_nc_u64_u32 v[18:19], 0x3c439041, v2, v[18:19]
	v_mov_b32_e32 v20, v19
	s_delay_alu instid0(VALU_DEP_1) | instskip(NEXT) | instid1(VALU_DEP_1)
	v_mad_nc_u64_u32 v[20:21], 0xdb629599, v2, v[20:21]
	v_mov_b32_e32 v22, v21
	s_delay_alu instid0(VALU_DEP_1) | instskip(NEXT) | instid1(VALU_DEP_1)
	;; [unrolled: 3-line block ×3, first 2 shown]
	v_mad_nc_u64_u32 v[24:25], 0xfc2757d1, v2, v[24:25]
	v_dual_mov_b32 v27, v3 :: v_dual_mov_b32 v26, v25
	s_delay_alu instid0(VALU_DEP_1) | instskip(NEXT) | instid1(VALU_DEP_1)
	v_mad_nc_u64_u32 v[26:27], 0x4e441529, v2, v[26:27]
	v_dual_mov_b32 v28, v27 :: v_dual_add_nc_u32 v1, 0xffffff88, v1
	s_delay_alu instid0(VALU_DEP_1) | instskip(SKIP_2) | instid1(VALU_DEP_2)
	v_cmp_lt_u32_e32 vcc_lo, 63, v1
	v_mov_b32_e32 v29, v3
	v_cndmask_b32_e64 v15, 0, 0xffffffc0, vcc_lo
	v_mad_nc_u64_u32 v[2:3], 0xa2f9836e, v2, v[28:29]
	v_dual_cndmask_b32 v17, v26, v22, vcc_lo :: v_dual_cndmask_b32 v19, v24, v20, vcc_lo
	s_delay_alu instid0(VALU_DEP_3) | instskip(NEXT) | instid1(VALU_DEP_1)
	v_dual_cndmask_b32 v16, v20, v16 :: v_dual_add_nc_u32 v1, v15, v1
	v_cmp_lt_u32_e64 s0, 31, v1
	s_delay_alu instid0(VALU_DEP_4) | instskip(NEXT) | instid1(VALU_DEP_2)
	v_dual_cndmask_b32 v2, v2, v24 :: v_dual_cndmask_b32 v3, v3, v26
	v_cndmask_b32_e64 v15, 0, 0xffffffe0, s0
	s_delay_alu instid0(VALU_DEP_1) | instskip(NEXT) | instid1(VALU_DEP_1)
	v_add_nc_u32_e32 v1, v15, v1
	v_cmp_lt_u32_e64 s1, 31, v1
	s_delay_alu instid0(VALU_DEP_1) | instskip(NEXT) | instid1(VALU_DEP_1)
	v_cndmask_b32_e64 v15, 0, 0xffffffe0, s1
	v_dual_add_nc_u32 v1, v15, v1 :: v_dual_cndmask_b32 v15, v22, v18, vcc_lo
	v_dual_cndmask_b32 v18, v2, v17, s0 :: v_dual_cndmask_b32 v2, v3, v2, s0
	s_delay_alu instid0(VALU_DEP_2) | instskip(NEXT) | instid1(VALU_DEP_3)
	v_dual_cndmask_b32 v3, v17, v19, s0 :: v_dual_sub_nc_u32 v17, 32, v1
	v_cndmask_b32_e64 v19, v19, v15, s0
	v_cmp_eq_u32_e32 vcc_lo, 0, v1
	s_delay_alu instid0(VALU_DEP_4) | instskip(NEXT) | instid1(VALU_DEP_4)
	v_cndmask_b32_e64 v2, v2, v18, s1
	v_cndmask_b32_e64 v18, v18, v3, s1
	s_delay_alu instid0(VALU_DEP_4) | instskip(NEXT) | instid1(VALU_DEP_2)
	v_cndmask_b32_e64 v3, v3, v19, s1
	v_alignbit_b32 v21, v2, v18, v17
	s_delay_alu instid0(VALU_DEP_2) | instskip(NEXT) | instid1(VALU_DEP_2)
	v_alignbit_b32 v20, v18, v3, v17
	v_dual_cndmask_b32 v1, v21, v2, vcc_lo :: v_dual_cndmask_b32 v2, v15, v16, s0
	s_delay_alu instid0(VALU_DEP_1) | instskip(NEXT) | instid1(VALU_DEP_3)
	v_bfe_u32 v16, v1, 29, 1
	v_cndmask_b32_e32 v15, v20, v18, vcc_lo
	s_delay_alu instid0(VALU_DEP_2) | instskip(NEXT) | instid1(VALU_DEP_2)
	v_dual_cndmask_b32 v2, v19, v2, s1 :: v_dual_sub_nc_u32 v19, 0, v16
	v_alignbit_b32 v18, v1, v15, 30
	s_delay_alu instid0(VALU_DEP_1) | instskip(NEXT) | instid1(VALU_DEP_3)
	v_xor_b32_e32 v18, v18, v19
	v_alignbit_b32 v17, v3, v2, v17
	s_delay_alu instid0(VALU_DEP_1) | instskip(NEXT) | instid1(VALU_DEP_3)
	v_cndmask_b32_e32 v3, v17, v3, vcc_lo
	v_clz_i32_u32_e32 v17, v18
	s_delay_alu instid0(VALU_DEP_2) | instskip(NEXT) | instid1(VALU_DEP_2)
	v_alignbit_b32 v15, v15, v3, 30
	v_min_u32_e32 v17, 32, v17
	v_alignbit_b32 v2, v3, v2, 30
	s_delay_alu instid0(VALU_DEP_2) | instskip(NEXT) | instid1(VALU_DEP_2)
	v_dual_sub_nc_u32 v15, 31, v17 :: v_dual_bitop2_b32 v3, v15, v19 bitop3:0x14
	v_dual_lshrrev_b32 v19, 29, v1 :: v_dual_bitop2_b32 v2, v2, v19 bitop3:0x14
	v_lshlrev_b32_e32 v20, 23, v17
	v_lshrrev_b32_e32 v1, 30, v1
	s_delay_alu instid0(VALU_DEP_4) | instskip(NEXT) | instid1(VALU_DEP_4)
	v_alignbit_b32 v18, v18, v3, v15
	v_alignbit_b32 v2, v3, v2, v15
	s_delay_alu instid0(VALU_DEP_3) | instskip(NEXT) | instid1(VALU_DEP_2)
	v_dual_lshlrev_b32 v3, 31, v19 :: v_dual_add_nc_u32 v16, v16, v1
	v_alignbit_b32 v15, v18, v2, 9
	s_delay_alu instid0(VALU_DEP_2) | instskip(SKIP_1) | instid1(VALU_DEP_3)
	v_dual_lshrrev_b32 v18, 9, v18 :: v_dual_bitop2_b32 v19, 0.5, v3 bitop3:0x54
	v_or_b32_e32 v3, 0x33000000, v3
	v_clz_i32_u32_e32 v21, v15
	s_delay_alu instid0(VALU_DEP_3) | instskip(NEXT) | instid1(VALU_DEP_2)
	v_sub_nc_u32_e32 v19, v19, v20
	v_min_u32_e32 v20, 32, v21
	s_delay_alu instid0(VALU_DEP_1) | instskip(NEXT) | instid1(VALU_DEP_3)
	v_add_lshl_u32 v17, v20, v17, 23
	v_or_b32_e32 v18, v18, v19
	v_not_b32_e32 v19, v20
	s_delay_alu instid0(VALU_DEP_3) | instskip(NEXT) | instid1(VALU_DEP_3)
	v_sub_nc_u32_e32 v3, v3, v17
	v_mul_f32_e32 v21, 0x3fc90fda, v18
	s_delay_alu instid0(VALU_DEP_3) | instskip(NEXT) | instid1(VALU_DEP_2)
	v_alignbit_b32 v2, v15, v2, v19
	v_fma_f32 v15, 0x3fc90fda, v18, -v21
	s_delay_alu instid0(VALU_DEP_1) | instskip(NEXT) | instid1(VALU_DEP_1)
	v_dual_fmamk_f32 v15, v18, 0x33a22168, v15 :: v_dual_lshrrev_b32 v2, 9, v2
	v_or_b32_e32 v2, v3, v2
	s_delay_alu instid0(VALU_DEP_1) | instskip(NEXT) | instid1(VALU_DEP_1)
	v_fmac_f32_e32 v15, 0x3fc90fda, v2
	v_add_f32_e32 v15, v21, v15
.LBB34_1440:
	s_and_not1_saveexec_b32 s0, s13
; %bb.1441:
	v_mul_f32_e64 v1, 0x3f22f983, |v13|
	s_delay_alu instid0(VALU_DEP_1) | instskip(NEXT) | instid1(VALU_DEP_1)
	v_rndne_f32_e32 v1, v1
	v_fma_f32 v2, 0xbfc90fda, v1, |v13|
	v_cvt_i32_f32_e32 v16, v1
	s_delay_alu instid0(VALU_DEP_2) | instskip(NEXT) | instid1(VALU_DEP_1)
	v_fmamk_f32 v2, v1, 0xb3a22168, v2
	v_fmamk_f32 v15, v1, 0xa7c234c4, v2
; %bb.1442:
	s_or_b32 exec_lo, exec_lo, s0
	v_add_nc_u32_e32 v0, s3, v0
	s_cmp_lt_i32 s10, 11
	s_delay_alu instid0(VALU_DEP_1) | instskip(NEXT) | instid1(VALU_DEP_1)
	v_ashrrev_i32_e32 v1, 31, v0
	v_add_nc_u64_e32 v[0:1], s[6:7], v[0:1]
	s_cbranch_scc1 .LBB34_1449
; %bb.1443:
	s_cmp_gt_i32 s10, 25
	s_mov_b32 s1, 0
	s_cbranch_scc0 .LBB34_1450
; %bb.1444:
	s_cmp_gt_i32 s10, 28
	s_cbranch_scc0 .LBB34_1451
; %bb.1445:
	s_cmp_gt_i32 s10, 43
	;; [unrolled: 3-line block ×3, first 2 shown]
	s_cbranch_scc0 .LBB34_1454
; %bb.1447:
	s_cmp_eq_u32 s10, 46
	s_mov_b32 s6, 0
	s_cbranch_scc0 .LBB34_1455
; %bb.1448:
	global_load_b32 v2, v[0:1], off
	s_mov_b32 s0, 0
	s_mov_b32 s3, -1
	s_branch .LBB34_1457
.LBB34_1449:
	s_mov_b32 s0, -1
	s_mov_b32 s3, 0
                                        ; implicit-def: $vgpr2
	s_branch .LBB34_1523
.LBB34_1450:
	s_mov_b32 s6, -1
	s_mov_b32 s3, 0
	s_mov_b32 s0, 0
                                        ; implicit-def: $vgpr2
	s_branch .LBB34_1486
.LBB34_1451:
	s_mov_b32 s6, -1
	s_mov_b32 s3, 0
	s_mov_b32 s0, 0
                                        ; implicit-def: $vgpr2
	s_branch .LBB34_1467
.LBB34_1452:
	s_mov_b32 s6, -1
	s_mov_b32 s3, 0
	s_mov_b32 s0, 0
                                        ; implicit-def: $vgpr2
	s_branch .LBB34_1462
.LBB34_1453:
	s_or_b32 s9, s9, exec_lo
	s_trap 2
	s_cbranch_execz .LBB34_1388
	s_branch .LBB34_1389
.LBB34_1454:
	s_mov_b32 s6, -1
	s_mov_b32 s3, 0
	s_mov_b32 s0, 0
	s_branch .LBB34_1456
.LBB34_1455:
	s_mov_b32 s0, -1
	s_mov_b32 s3, 0
.LBB34_1456:
                                        ; implicit-def: $vgpr2
.LBB34_1457:
	s_and_b32 vcc_lo, exec_lo, s6
	s_cbranch_vccz .LBB34_1461
; %bb.1458:
	s_cmp_eq_u32 s10, 44
	s_cbranch_scc0 .LBB34_1460
; %bb.1459:
	s_wait_loadcnt 0x0
	global_load_u8 v2, v[0:1], off
	s_mov_b32 s0, 0
	s_mov_b32 s3, -1
	s_wait_loadcnt 0x0
	v_lshlrev_b32_e32 v3, 23, v2
	v_cmp_ne_u32_e32 vcc_lo, 0xff, v2
	s_delay_alu instid0(VALU_DEP_2) | instskip(SKIP_1) | instid1(VALU_DEP_2)
	v_cndmask_b32_e32 v3, 0x7f800001, v3, vcc_lo
	v_cmp_ne_u32_e32 vcc_lo, 0, v2
	v_cndmask_b32_e32 v2, 0x400000, v3, vcc_lo
	s_delay_alu instid0(VALU_DEP_1) | instskip(NEXT) | instid1(VALU_DEP_1)
	v_add_nc_u32_e32 v3, 0x7fff, v2
	v_lshrrev_b32_e32 v3, 16, v3
	v_cmp_o_f32_e32 vcc_lo, v2, v2
	s_delay_alu instid0(VALU_DEP_2)
	v_cndmask_b32_e32 v2, 0x7fc0, v3, vcc_lo
	s_branch .LBB34_1461
.LBB34_1460:
	s_mov_b32 s0, -1
                                        ; implicit-def: $vgpr2
.LBB34_1461:
	s_mov_b32 s6, 0
.LBB34_1462:
	s_delay_alu instid0(SALU_CYCLE_1)
	s_and_b32 vcc_lo, exec_lo, s6
	s_cbranch_vccz .LBB34_1466
; %bb.1463:
	s_cmp_eq_u32 s10, 29
	s_cbranch_scc0 .LBB34_1465
; %bb.1464:
	s_wait_loadcnt 0x0
	global_load_b64 v[2:3], v[0:1], off
	s_mov_b32 s0, 0
	s_mov_b32 s3, -1
	s_mov_b32 s6, 0
	s_wait_loadcnt 0x0
	v_clz_i32_u32_e32 v17, v3
	s_delay_alu instid0(VALU_DEP_1) | instskip(NEXT) | instid1(VALU_DEP_1)
	v_min_u32_e32 v17, 32, v17
	v_lshlrev_b64_e32 v[2:3], v17, v[2:3]
	s_delay_alu instid0(VALU_DEP_1) | instskip(NEXT) | instid1(VALU_DEP_1)
	v_min_u32_e32 v2, 1, v2
	v_dual_sub_nc_u32 v3, 32, v17 :: v_dual_bitop2_b32 v2, v3, v2 bitop3:0x54
	s_delay_alu instid0(VALU_DEP_1) | instskip(NEXT) | instid1(VALU_DEP_1)
	v_cvt_f32_u32_e32 v2, v2
	v_ldexp_f32 v2, v2, v3
	s_delay_alu instid0(VALU_DEP_1) | instskip(NEXT) | instid1(VALU_DEP_1)
	v_bfe_u32 v3, v2, 16, 1
	v_add3_u32 v2, v2, v3, 0x7fff
	s_delay_alu instid0(VALU_DEP_1)
	v_lshrrev_b32_e32 v2, 16, v2
	s_branch .LBB34_1467
.LBB34_1465:
	s_mov_b32 s0, -1
                                        ; implicit-def: $vgpr2
.LBB34_1466:
	s_mov_b32 s6, 0
.LBB34_1467:
	s_delay_alu instid0(SALU_CYCLE_1)
	s_and_b32 vcc_lo, exec_lo, s6
	s_cbranch_vccz .LBB34_1485
; %bb.1468:
	s_cmp_lt_i32 s10, 27
	s_cbranch_scc1 .LBB34_1471
; %bb.1469:
	s_cmp_gt_i32 s10, 27
	s_cbranch_scc0 .LBB34_1472
; %bb.1470:
	s_wait_loadcnt 0x0
	global_load_b32 v2, v[0:1], off
	s_mov_b32 s3, 0
	s_wait_loadcnt 0x0
	v_cvt_f32_u32_e32 v2, v2
	s_delay_alu instid0(VALU_DEP_1) | instskip(NEXT) | instid1(VALU_DEP_1)
	v_bfe_u32 v3, v2, 16, 1
	v_add3_u32 v2, v2, v3, 0x7fff
	s_delay_alu instid0(VALU_DEP_1)
	v_lshrrev_b32_e32 v2, 16, v2
	s_branch .LBB34_1473
.LBB34_1471:
	s_mov_b32 s3, -1
                                        ; implicit-def: $vgpr2
	s_branch .LBB34_1476
.LBB34_1472:
	s_mov_b32 s3, -1
                                        ; implicit-def: $vgpr2
.LBB34_1473:
	s_delay_alu instid0(SALU_CYCLE_1)
	s_and_not1_b32 vcc_lo, exec_lo, s3
	s_cbranch_vccnz .LBB34_1475
; %bb.1474:
	s_wait_loadcnt 0x0
	global_load_u16 v2, v[0:1], off
	s_wait_loadcnt 0x0
	v_cvt_f32_u32_e32 v2, v2
	s_delay_alu instid0(VALU_DEP_1) | instskip(NEXT) | instid1(VALU_DEP_1)
	v_bfe_u32 v3, v2, 16, 1
	v_add3_u32 v2, v2, v3, 0x7fff
	s_delay_alu instid0(VALU_DEP_1)
	v_lshrrev_b32_e32 v2, 16, v2
.LBB34_1475:
	s_mov_b32 s3, 0
.LBB34_1476:
	s_delay_alu instid0(SALU_CYCLE_1)
	s_and_not1_b32 vcc_lo, exec_lo, s3
	s_cbranch_vccnz .LBB34_1484
; %bb.1477:
	s_wait_loadcnt 0x0
	global_load_u8 v2, v[0:1], off
	s_mov_b32 s3, 0
	s_mov_b32 s6, exec_lo
	s_wait_loadcnt 0x0
	v_cmpx_lt_i16_e32 0x7f, v2
	s_xor_b32 s6, exec_lo, s6
	s_cbranch_execz .LBB34_1498
; %bb.1478:
	s_mov_b32 s3, -1
	s_mov_b32 s7, exec_lo
	v_cmpx_eq_u16_e32 0x80, v2
; %bb.1479:
	s_xor_b32 s3, exec_lo, -1
; %bb.1480:
	s_or_b32 exec_lo, exec_lo, s7
	s_delay_alu instid0(SALU_CYCLE_1)
	s_and_b32 s3, s3, exec_lo
	s_or_saveexec_b32 s6, s6
	v_mov_b32_e32 v3, 0x7f800001
	s_xor_b32 exec_lo, exec_lo, s6
	s_cbranch_execnz .LBB34_1499
.LBB34_1481:
	s_or_b32 exec_lo, exec_lo, s6
	s_and_saveexec_b32 s6, s3
	s_cbranch_execz .LBB34_1483
.LBB34_1482:
	v_and_b32_e32 v3, 0xffff, v2
	s_delay_alu instid0(VALU_DEP_1) | instskip(SKIP_1) | instid1(VALU_DEP_2)
	v_and_b32_e32 v17, 7, v3
	v_bfe_u32 v20, v3, 3, 4
	v_clz_i32_u32_e32 v18, v17
	s_delay_alu instid0(VALU_DEP_2) | instskip(NEXT) | instid1(VALU_DEP_2)
	v_cmp_eq_u32_e32 vcc_lo, 0, v20
	v_min_u32_e32 v18, 32, v18
	s_delay_alu instid0(VALU_DEP_1) | instskip(NEXT) | instid1(VALU_DEP_1)
	v_subrev_nc_u32_e32 v19, 28, v18
	v_dual_lshlrev_b32 v3, v19, v3 :: v_dual_sub_nc_u32 v18, 29, v18
	s_delay_alu instid0(VALU_DEP_1) | instskip(NEXT) | instid1(VALU_DEP_1)
	v_dual_lshlrev_b32 v2, 24, v2 :: v_dual_bitop2_b32 v3, 7, v3 bitop3:0x40
	v_dual_cndmask_b32 v3, v17, v3 :: v_dual_cndmask_b32 v18, v20, v18
	s_delay_alu instid0(VALU_DEP_2) | instskip(NEXT) | instid1(VALU_DEP_2)
	v_and_b32_e32 v2, 0x80000000, v2
	v_lshlrev_b32_e32 v3, 20, v3
	s_delay_alu instid0(VALU_DEP_3) | instskip(NEXT) | instid1(VALU_DEP_1)
	v_lshl_add_u32 v17, v18, 23, 0x3b800000
	v_or3_b32 v3, v2, v17, v3
.LBB34_1483:
	s_or_b32 exec_lo, exec_lo, s6
	s_delay_alu instid0(VALU_DEP_1) | instskip(SKIP_1) | instid1(VALU_DEP_2)
	v_bfe_u32 v2, v3, 16, 1
	v_cmp_o_f32_e32 vcc_lo, v3, v3
	v_add3_u32 v2, v3, v2, 0x7fff
	s_delay_alu instid0(VALU_DEP_1) | instskip(NEXT) | instid1(VALU_DEP_1)
	v_lshrrev_b32_e32 v2, 16, v2
	v_cndmask_b32_e32 v2, 0x7fc0, v2, vcc_lo
.LBB34_1484:
	s_mov_b32 s3, -1
.LBB34_1485:
	s_mov_b32 s6, 0
.LBB34_1486:
	s_delay_alu instid0(SALU_CYCLE_1)
	s_and_b32 vcc_lo, exec_lo, s6
	s_cbranch_vccz .LBB34_1519
; %bb.1487:
	s_cmp_gt_i32 s10, 22
	s_cbranch_scc0 .LBB34_1497
; %bb.1488:
	s_cmp_lt_i32 s10, 24
	s_cbranch_scc1 .LBB34_1500
; %bb.1489:
	s_cmp_gt_i32 s10, 24
	s_cbranch_scc0 .LBB34_1501
; %bb.1490:
	s_wait_loadcnt 0x0
	global_load_u8 v2, v[0:1], off
	s_mov_b32 s3, exec_lo
	s_wait_loadcnt 0x0
	v_cmpx_lt_i16_e32 0x7f, v2
	s_xor_b32 s3, exec_lo, s3
	s_cbranch_execz .LBB34_1513
; %bb.1491:
	s_mov_b32 s1, -1
	s_mov_b32 s6, exec_lo
	v_cmpx_eq_u16_e32 0x80, v2
; %bb.1492:
	s_xor_b32 s1, exec_lo, -1
; %bb.1493:
	s_or_b32 exec_lo, exec_lo, s6
	s_delay_alu instid0(SALU_CYCLE_1)
	s_and_b32 s1, s1, exec_lo
	s_or_saveexec_b32 s3, s3
	v_mov_b32_e32 v3, 0x7f800001
	s_xor_b32 exec_lo, exec_lo, s3
	s_cbranch_execnz .LBB34_1514
.LBB34_1494:
	s_or_b32 exec_lo, exec_lo, s3
	s_and_saveexec_b32 s3, s1
	s_cbranch_execz .LBB34_1496
.LBB34_1495:
	v_and_b32_e32 v3, 0xffff, v2
	s_delay_alu instid0(VALU_DEP_1) | instskip(SKIP_1) | instid1(VALU_DEP_2)
	v_and_b32_e32 v17, 3, v3
	v_bfe_u32 v20, v3, 2, 5
	v_clz_i32_u32_e32 v18, v17
	s_delay_alu instid0(VALU_DEP_2) | instskip(NEXT) | instid1(VALU_DEP_2)
	v_cmp_eq_u32_e32 vcc_lo, 0, v20
	v_min_u32_e32 v18, 32, v18
	s_delay_alu instid0(VALU_DEP_1) | instskip(NEXT) | instid1(VALU_DEP_1)
	v_subrev_nc_u32_e32 v19, 29, v18
	v_dual_lshlrev_b32 v3, v19, v3 :: v_dual_sub_nc_u32 v18, 30, v18
	s_delay_alu instid0(VALU_DEP_1) | instskip(NEXT) | instid1(VALU_DEP_1)
	v_dual_lshlrev_b32 v2, 24, v2 :: v_dual_bitop2_b32 v3, 3, v3 bitop3:0x40
	v_dual_cndmask_b32 v3, v17, v3 :: v_dual_cndmask_b32 v18, v20, v18
	s_delay_alu instid0(VALU_DEP_2) | instskip(NEXT) | instid1(VALU_DEP_2)
	v_and_b32_e32 v2, 0x80000000, v2
	v_lshlrev_b32_e32 v3, 21, v3
	s_delay_alu instid0(VALU_DEP_3) | instskip(NEXT) | instid1(VALU_DEP_1)
	v_lshl_add_u32 v17, v18, 23, 0x37800000
	v_or3_b32 v3, v2, v17, v3
.LBB34_1496:
	s_or_b32 exec_lo, exec_lo, s3
	s_delay_alu instid0(VALU_DEP_1) | instskip(SKIP_2) | instid1(VALU_DEP_2)
	v_bfe_u32 v2, v3, 16, 1
	v_cmp_o_f32_e32 vcc_lo, v3, v3
	s_mov_b32 s1, 0
	v_add3_u32 v2, v3, v2, 0x7fff
	s_delay_alu instid0(VALU_DEP_1) | instskip(NEXT) | instid1(VALU_DEP_1)
	v_lshrrev_b32_e32 v2, 16, v2
	v_cndmask_b32_e32 v2, 0x7fc0, v2, vcc_lo
	s_branch .LBB34_1502
.LBB34_1497:
	s_mov_b32 s1, -1
                                        ; implicit-def: $vgpr2
	s_branch .LBB34_1508
.LBB34_1498:
	s_or_saveexec_b32 s6, s6
	v_mov_b32_e32 v3, 0x7f800001
	s_xor_b32 exec_lo, exec_lo, s6
	s_cbranch_execz .LBB34_1481
.LBB34_1499:
	v_cmp_ne_u16_e32 vcc_lo, 0, v2
	v_mov_b32_e32 v3, 0
	s_and_not1_b32 s3, s3, exec_lo
	s_and_b32 s7, vcc_lo, exec_lo
	s_delay_alu instid0(SALU_CYCLE_1)
	s_or_b32 s3, s3, s7
	s_or_b32 exec_lo, exec_lo, s6
	s_and_saveexec_b32 s6, s3
	s_cbranch_execnz .LBB34_1482
	s_branch .LBB34_1483
.LBB34_1500:
	s_mov_b32 s1, -1
                                        ; implicit-def: $vgpr2
	s_branch .LBB34_1505
.LBB34_1501:
	s_mov_b32 s1, -1
                                        ; implicit-def: $vgpr2
.LBB34_1502:
	s_delay_alu instid0(SALU_CYCLE_1)
	s_and_b32 vcc_lo, exec_lo, s1
	s_cbranch_vccz .LBB34_1504
; %bb.1503:
	s_wait_loadcnt 0x0
	global_load_u8 v2, v[0:1], off
	s_wait_loadcnt 0x0
	v_lshlrev_b32_e32 v2, 24, v2
	s_delay_alu instid0(VALU_DEP_1) | instskip(NEXT) | instid1(VALU_DEP_1)
	v_and_b32_e32 v3, 0x7f000000, v2
	v_clz_i32_u32_e32 v17, v3
	v_add_nc_u32_e32 v19, 0x1000000, v3
	v_cmp_ne_u32_e32 vcc_lo, 0, v3
	s_delay_alu instid0(VALU_DEP_3) | instskip(NEXT) | instid1(VALU_DEP_1)
	v_min_u32_e32 v17, 32, v17
	v_sub_nc_u32_e64 v17, v17, 4 clamp
	s_delay_alu instid0(VALU_DEP_1) | instskip(NEXT) | instid1(VALU_DEP_1)
	v_dual_lshlrev_b32 v18, v17, v3 :: v_dual_lshlrev_b32 v17, 23, v17
	v_lshrrev_b32_e32 v18, 4, v18
	s_delay_alu instid0(VALU_DEP_1) | instskip(NEXT) | instid1(VALU_DEP_1)
	v_dual_sub_nc_u32 v17, v18, v17 :: v_dual_ashrrev_i32 v18, 8, v19
	v_add_nc_u32_e32 v17, 0x3c000000, v17
	s_delay_alu instid0(VALU_DEP_1) | instskip(NEXT) | instid1(VALU_DEP_1)
	v_and_or_b32 v17, 0x7f800000, v18, v17
	v_cndmask_b32_e32 v3, 0, v17, vcc_lo
	s_delay_alu instid0(VALU_DEP_1) | instskip(SKIP_1) | instid1(VALU_DEP_2)
	v_and_or_b32 v2, 0x80000000, v2, v3
	v_bfe_u32 v3, v3, 16, 1
	v_cmp_o_f32_e32 vcc_lo, v2, v2
	s_delay_alu instid0(VALU_DEP_2) | instskip(NEXT) | instid1(VALU_DEP_1)
	v_add3_u32 v3, v2, v3, 0x7fff
	v_lshrrev_b32_e32 v3, 16, v3
	s_delay_alu instid0(VALU_DEP_1)
	v_cndmask_b32_e32 v2, 0x7fc0, v3, vcc_lo
.LBB34_1504:
	s_mov_b32 s1, 0
.LBB34_1505:
	s_delay_alu instid0(SALU_CYCLE_1)
	s_and_not1_b32 vcc_lo, exec_lo, s1
	s_cbranch_vccnz .LBB34_1507
; %bb.1506:
	s_wait_loadcnt 0x0
	global_load_u8 v2, v[0:1], off
	s_wait_loadcnt 0x0
	v_lshlrev_b32_e32 v3, 25, v2
	v_lshlrev_b16 v2, 8, v2
	s_delay_alu instid0(VALU_DEP_2) | instskip(NEXT) | instid1(VALU_DEP_2)
	v_cmp_gt_u32_e32 vcc_lo, 0x8000000, v3
	v_and_or_b32 v18, 0x7f00, v2, 0.5
	v_lshrrev_b32_e32 v17, 4, v3
	v_bfe_i32 v2, v2, 0, 16
	s_delay_alu instid0(VALU_DEP_3) | instskip(NEXT) | instid1(VALU_DEP_3)
	v_add_f32_e32 v18, -0.5, v18
	v_or_b32_e32 v17, 0x70000000, v17
	s_delay_alu instid0(VALU_DEP_1) | instskip(NEXT) | instid1(VALU_DEP_1)
	v_mul_f32_e32 v17, 0x7800000, v17
	v_cndmask_b32_e32 v3, v17, v18, vcc_lo
	s_delay_alu instid0(VALU_DEP_1) | instskip(SKIP_1) | instid1(VALU_DEP_2)
	v_and_or_b32 v2, 0x80000000, v2, v3
	v_bfe_u32 v3, v3, 16, 1
	v_cmp_o_f32_e32 vcc_lo, v2, v2
	s_delay_alu instid0(VALU_DEP_2) | instskip(NEXT) | instid1(VALU_DEP_1)
	v_add3_u32 v3, v2, v3, 0x7fff
	v_lshrrev_b32_e32 v3, 16, v3
	s_delay_alu instid0(VALU_DEP_1)
	v_cndmask_b32_e32 v2, 0x7fc0, v3, vcc_lo
.LBB34_1507:
	s_mov_b32 s1, 0
	s_mov_b32 s3, -1
.LBB34_1508:
	s_and_not1_b32 vcc_lo, exec_lo, s1
	s_mov_b32 s1, 0
	s_cbranch_vccnz .LBB34_1519
; %bb.1509:
	s_cmp_gt_i32 s10, 14
	s_cbranch_scc0 .LBB34_1512
; %bb.1510:
	s_cmp_eq_u32 s10, 15
	s_cbranch_scc0 .LBB34_1515
; %bb.1511:
	s_wait_loadcnt 0x0
	global_load_u16 v2, v[0:1], off
	s_mov_b32 s0, 0
	s_mov_b32 s3, -1
	s_branch .LBB34_1517
.LBB34_1512:
	s_mov_b32 s1, -1
	s_branch .LBB34_1516
.LBB34_1513:
	s_or_saveexec_b32 s3, s3
	v_mov_b32_e32 v3, 0x7f800001
	s_xor_b32 exec_lo, exec_lo, s3
	s_cbranch_execz .LBB34_1494
.LBB34_1514:
	v_cmp_ne_u16_e32 vcc_lo, 0, v2
	v_mov_b32_e32 v3, 0
	s_and_not1_b32 s1, s1, exec_lo
	s_and_b32 s6, vcc_lo, exec_lo
	s_delay_alu instid0(SALU_CYCLE_1)
	s_or_b32 s1, s1, s6
	s_or_b32 exec_lo, exec_lo, s3
	s_and_saveexec_b32 s3, s1
	s_cbranch_execnz .LBB34_1495
	s_branch .LBB34_1496
.LBB34_1515:
	s_mov_b32 s0, -1
.LBB34_1516:
                                        ; implicit-def: $vgpr2
.LBB34_1517:
	s_and_b32 vcc_lo, exec_lo, s1
	s_mov_b32 s1, 0
	s_cbranch_vccz .LBB34_1519
; %bb.1518:
	s_cmp_lg_u32 s10, 11
	s_mov_b32 s1, -1
	s_cselect_b32 s0, -1, 0
.LBB34_1519:
	s_delay_alu instid0(SALU_CYCLE_1)
	s_and_b32 vcc_lo, exec_lo, s0
	s_cbranch_vccnz .LBB34_2052
; %bb.1520:
	s_and_not1_b32 vcc_lo, exec_lo, s1
	s_cbranch_vccnz .LBB34_1522
.LBB34_1521:
	s_wait_loadcnt 0x0
	global_load_u8 v2, v[0:1], off
	s_mov_b32 s3, -1
	s_wait_loadcnt 0x0
	v_cmp_ne_u16_e32 vcc_lo, 0, v2
	v_cndmask_b32_e64 v2, 0, 1.0, vcc_lo
	s_delay_alu instid0(VALU_DEP_1)
	v_lshrrev_b32_e32 v2, 16, v2
.LBB34_1522:
	s_mov_b32 s0, 0
.LBB34_1523:
	s_delay_alu instid0(SALU_CYCLE_1)
	s_and_b32 vcc_lo, exec_lo, s0
	s_cbranch_vccz .LBB34_1572
; %bb.1524:
	s_cmp_lt_i32 s10, 5
	s_cbranch_scc1 .LBB34_1529
; %bb.1525:
	s_cmp_lt_i32 s10, 8
	s_cbranch_scc1 .LBB34_1530
	;; [unrolled: 3-line block ×3, first 2 shown]
; %bb.1527:
	s_cmp_gt_i32 s10, 9
	s_cbranch_scc0 .LBB34_1532
; %bb.1528:
	s_wait_loadcnt 0x0
	global_load_b64 v[2:3], v[0:1], off
	s_mov_b32 s0, 0
	s_wait_loadcnt 0x0
	v_cvt_f32_f64_e32 v2, v[2:3]
	s_delay_alu instid0(VALU_DEP_1) | instskip(SKIP_1) | instid1(VALU_DEP_2)
	v_bfe_u32 v3, v2, 16, 1
	v_cmp_o_f32_e32 vcc_lo, v2, v2
	v_add3_u32 v3, v2, v3, 0x7fff
	s_delay_alu instid0(VALU_DEP_1) | instskip(NEXT) | instid1(VALU_DEP_1)
	v_lshrrev_b32_e32 v3, 16, v3
	v_cndmask_b32_e32 v2, 0x7fc0, v3, vcc_lo
	s_branch .LBB34_1533
.LBB34_1529:
	s_mov_b32 s0, -1
                                        ; implicit-def: $vgpr2
	s_branch .LBB34_1551
.LBB34_1530:
	s_mov_b32 s0, -1
                                        ; implicit-def: $vgpr2
	s_branch .LBB34_1539
.LBB34_1531:
	s_mov_b32 s0, -1
                                        ; implicit-def: $vgpr2
	s_branch .LBB34_1536
.LBB34_1532:
	s_mov_b32 s0, -1
                                        ; implicit-def: $vgpr2
.LBB34_1533:
	s_delay_alu instid0(SALU_CYCLE_1)
	s_and_not1_b32 vcc_lo, exec_lo, s0
	s_cbranch_vccnz .LBB34_1535
; %bb.1534:
	s_wait_loadcnt 0x0
	global_load_b32 v2, v[0:1], off
	s_wait_loadcnt 0x0
	v_bfe_u32 v3, v2, 16, 1
	v_cmp_o_f32_e32 vcc_lo, v2, v2
	s_delay_alu instid0(VALU_DEP_2) | instskip(NEXT) | instid1(VALU_DEP_1)
	v_add3_u32 v3, v2, v3, 0x7fff
	v_lshrrev_b32_e32 v3, 16, v3
	s_delay_alu instid0(VALU_DEP_1)
	v_cndmask_b32_e32 v2, 0x7fc0, v3, vcc_lo
.LBB34_1535:
	s_mov_b32 s0, 0
.LBB34_1536:
	s_delay_alu instid0(SALU_CYCLE_1)
	s_and_not1_b32 vcc_lo, exec_lo, s0
	s_cbranch_vccnz .LBB34_1538
; %bb.1537:
	s_wait_loadcnt 0x0
	global_load_b32 v2, v[0:1], off
	s_wait_loadcnt 0x0
	v_cvt_f32_f16_e32 v3, v2
	v_cmp_o_f16_e32 vcc_lo, v2, v2
	s_delay_alu instid0(VALU_DEP_2) | instskip(NEXT) | instid1(VALU_DEP_1)
	v_bfe_u32 v17, v3, 16, 1
	v_add3_u32 v3, v3, v17, 0x7fff
	s_delay_alu instid0(VALU_DEP_1) | instskip(NEXT) | instid1(VALU_DEP_1)
	v_lshrrev_b32_e32 v3, 16, v3
	v_cndmask_b32_e32 v2, 0x7fc0, v3, vcc_lo
.LBB34_1538:
	s_mov_b32 s0, 0
.LBB34_1539:
	s_delay_alu instid0(SALU_CYCLE_1)
	s_and_not1_b32 vcc_lo, exec_lo, s0
	s_cbranch_vccnz .LBB34_1550
; %bb.1540:
	s_cmp_lt_i32 s10, 6
	s_cbranch_scc1 .LBB34_1543
; %bb.1541:
	s_cmp_gt_i32 s10, 6
	s_cbranch_scc0 .LBB34_1544
; %bb.1542:
	s_wait_loadcnt 0x0
	global_load_b64 v[2:3], v[0:1], off
	s_mov_b32 s0, 0
	s_wait_loadcnt 0x0
	v_cvt_f32_f64_e32 v2, v[2:3]
	s_delay_alu instid0(VALU_DEP_1) | instskip(SKIP_1) | instid1(VALU_DEP_2)
	v_bfe_u32 v3, v2, 16, 1
	v_cmp_o_f32_e32 vcc_lo, v2, v2
	v_add3_u32 v3, v2, v3, 0x7fff
	s_delay_alu instid0(VALU_DEP_1) | instskip(NEXT) | instid1(VALU_DEP_1)
	v_lshrrev_b32_e32 v3, 16, v3
	v_cndmask_b32_e32 v2, 0x7fc0, v3, vcc_lo
	s_branch .LBB34_1545
.LBB34_1543:
	s_mov_b32 s0, -1
                                        ; implicit-def: $vgpr2
	s_branch .LBB34_1548
.LBB34_1544:
	s_mov_b32 s0, -1
                                        ; implicit-def: $vgpr2
.LBB34_1545:
	s_delay_alu instid0(SALU_CYCLE_1)
	s_and_not1_b32 vcc_lo, exec_lo, s0
	s_cbranch_vccnz .LBB34_1547
; %bb.1546:
	s_wait_loadcnt 0x0
	global_load_b32 v2, v[0:1], off
	s_wait_loadcnt 0x0
	v_bfe_u32 v3, v2, 16, 1
	v_cmp_o_f32_e32 vcc_lo, v2, v2
	s_delay_alu instid0(VALU_DEP_2) | instskip(NEXT) | instid1(VALU_DEP_1)
	v_add3_u32 v3, v2, v3, 0x7fff
	v_lshrrev_b32_e32 v3, 16, v3
	s_delay_alu instid0(VALU_DEP_1)
	v_cndmask_b32_e32 v2, 0x7fc0, v3, vcc_lo
.LBB34_1547:
	s_mov_b32 s0, 0
.LBB34_1548:
	s_delay_alu instid0(SALU_CYCLE_1)
	s_and_not1_b32 vcc_lo, exec_lo, s0
	s_cbranch_vccnz .LBB34_1550
; %bb.1549:
	s_wait_loadcnt 0x0
	global_load_u16 v2, v[0:1], off
	s_wait_loadcnt 0x0
	v_cvt_f32_f16_e32 v3, v2
	v_cmp_o_f16_e32 vcc_lo, v2, v2
	s_delay_alu instid0(VALU_DEP_2) | instskip(NEXT) | instid1(VALU_DEP_1)
	v_bfe_u32 v17, v3, 16, 1
	v_add3_u32 v3, v3, v17, 0x7fff
	s_delay_alu instid0(VALU_DEP_1) | instskip(NEXT) | instid1(VALU_DEP_1)
	v_lshrrev_b32_e32 v3, 16, v3
	v_cndmask_b32_e32 v2, 0x7fc0, v3, vcc_lo
.LBB34_1550:
	s_mov_b32 s0, 0
.LBB34_1551:
	s_delay_alu instid0(SALU_CYCLE_1)
	s_and_not1_b32 vcc_lo, exec_lo, s0
	s_cbranch_vccnz .LBB34_1571
; %bb.1552:
	s_cmp_lt_i32 s10, 2
	s_cbranch_scc1 .LBB34_1556
; %bb.1553:
	s_cmp_lt_i32 s10, 3
	s_cbranch_scc1 .LBB34_1557
; %bb.1554:
	s_cmp_gt_i32 s10, 3
	s_cbranch_scc0 .LBB34_1558
; %bb.1555:
	s_wait_loadcnt 0x0
	global_load_b64 v[2:3], v[0:1], off
	s_mov_b32 s0, 0
	s_wait_loadcnt 0x0
	v_xor_b32_e32 v17, v2, v3
	v_cls_i32_e32 v18, v3
	s_delay_alu instid0(VALU_DEP_2) | instskip(NEXT) | instid1(VALU_DEP_1)
	v_ashrrev_i32_e32 v17, 31, v17
	v_add_nc_u32_e32 v17, 32, v17
	s_delay_alu instid0(VALU_DEP_1) | instskip(NEXT) | instid1(VALU_DEP_1)
	v_add_min_u32_e64 v17, v18, -1, v17
	v_lshlrev_b64_e32 v[2:3], v17, v[2:3]
	s_delay_alu instid0(VALU_DEP_1) | instskip(NEXT) | instid1(VALU_DEP_1)
	v_min_u32_e32 v2, 1, v2
	v_dual_sub_nc_u32 v3, 32, v17 :: v_dual_bitop2_b32 v2, v3, v2 bitop3:0x54
	s_delay_alu instid0(VALU_DEP_1) | instskip(NEXT) | instid1(VALU_DEP_1)
	v_cvt_f32_i32_e32 v2, v2
	v_ldexp_f32 v2, v2, v3
	s_delay_alu instid0(VALU_DEP_1) | instskip(NEXT) | instid1(VALU_DEP_1)
	v_bfe_u32 v3, v2, 16, 1
	v_add3_u32 v2, v2, v3, 0x7fff
	s_delay_alu instid0(VALU_DEP_1)
	v_lshrrev_b32_e32 v2, 16, v2
	s_branch .LBB34_1559
.LBB34_1556:
	s_mov_b32 s0, -1
                                        ; implicit-def: $vgpr2
	s_branch .LBB34_1565
.LBB34_1557:
	s_mov_b32 s0, -1
                                        ; implicit-def: $vgpr2
	s_branch .LBB34_1562
.LBB34_1558:
	s_mov_b32 s0, -1
                                        ; implicit-def: $vgpr2
.LBB34_1559:
	s_delay_alu instid0(SALU_CYCLE_1)
	s_and_not1_b32 vcc_lo, exec_lo, s0
	s_cbranch_vccnz .LBB34_1561
; %bb.1560:
	s_wait_loadcnt 0x0
	global_load_b32 v2, v[0:1], off
	s_wait_loadcnt 0x0
	v_cvt_f32_i32_e32 v2, v2
	s_delay_alu instid0(VALU_DEP_1) | instskip(NEXT) | instid1(VALU_DEP_1)
	v_bfe_u32 v3, v2, 16, 1
	v_add3_u32 v2, v2, v3, 0x7fff
	s_delay_alu instid0(VALU_DEP_1)
	v_lshrrev_b32_e32 v2, 16, v2
.LBB34_1561:
	s_mov_b32 s0, 0
.LBB34_1562:
	s_delay_alu instid0(SALU_CYCLE_1)
	s_and_not1_b32 vcc_lo, exec_lo, s0
	s_cbranch_vccnz .LBB34_1564
; %bb.1563:
	s_wait_loadcnt 0x0
	global_load_i16 v2, v[0:1], off
	s_wait_loadcnt 0x0
	v_cvt_f32_i32_e32 v2, v2
	s_delay_alu instid0(VALU_DEP_1) | instskip(NEXT) | instid1(VALU_DEP_1)
	v_bfe_u32 v3, v2, 16, 1
	v_add3_u32 v2, v2, v3, 0x7fff
	s_delay_alu instid0(VALU_DEP_1)
	v_lshrrev_b32_e32 v2, 16, v2
.LBB34_1564:
	s_mov_b32 s0, 0
.LBB34_1565:
	s_delay_alu instid0(SALU_CYCLE_1)
	s_and_not1_b32 vcc_lo, exec_lo, s0
	s_cbranch_vccnz .LBB34_1571
; %bb.1566:
	s_cmp_gt_i32 s10, 0
	s_mov_b32 s0, 0
	s_cbranch_scc0 .LBB34_1568
; %bb.1567:
	s_wait_loadcnt 0x0
	global_load_i8 v2, v[0:1], off
	s_wait_loadcnt 0x0
	v_cvt_f32_i32_e32 v2, v2
	s_delay_alu instid0(VALU_DEP_1) | instskip(NEXT) | instid1(VALU_DEP_1)
	v_bfe_u32 v3, v2, 16, 1
	v_add3_u32 v2, v2, v3, 0x7fff
	s_delay_alu instid0(VALU_DEP_1)
	v_lshrrev_b32_e32 v2, 16, v2
	s_branch .LBB34_1569
.LBB34_1568:
	s_mov_b32 s0, -1
                                        ; implicit-def: $vgpr2
.LBB34_1569:
	s_delay_alu instid0(SALU_CYCLE_1)
	s_and_not1_b32 vcc_lo, exec_lo, s0
	s_cbranch_vccnz .LBB34_1571
; %bb.1570:
	global_load_u8 v0, v[0:1], off
	s_wait_loadcnt 0x0
	v_cvt_f32_ubyte0_e32 v0, v0
	s_delay_alu instid0(VALU_DEP_1) | instskip(NEXT) | instid1(VALU_DEP_1)
	v_bfe_u32 v1, v0, 16, 1
	v_add3_u32 v0, v0, v1, 0x7fff
	s_delay_alu instid0(VALU_DEP_1)
	v_lshrrev_b32_e32 v2, 16, v0
.LBB34_1571:
	s_mov_b32 s3, -1
.LBB34_1572:
	s_delay_alu instid0(SALU_CYCLE_1)
	s_and_not1_b32 vcc_lo, exec_lo, s3
	s_cbranch_vccnz .LBB34_2007
; %bb.1573:
	s_wait_loadcnt 0x0
	v_lshlrev_b32_e32 v17, 16, v2
                                        ; implicit-def: $vgpr20
                                        ; implicit-def: $vgpr19
	s_mov_b32 s1, exec_lo
	s_delay_alu instid0(VALU_DEP_1)
	v_and_b32_e32 v18, 0x7fffffff, v17
	s_wait_xcnt 0x0
	v_cmpx_ngt_f32_e64 0x48000000, |v17|
	s_xor_b32 s3, exec_lo, s1
	s_cbranch_execz .LBB34_1575
; %bb.1574:
	s_mov_b32 s0, 0x7fffff
	v_mov_b32_e32 v1, 0
	v_and_or_b32 v0, v18, s0, 0x800000
	s_mov_b64 s[0:1], 0xfe5163ab
	s_delay_alu instid0(VALU_DEP_1) | instid1(SALU_CYCLE_1)
	v_mul_u64_e32 v[2:3], s[0:1], v[0:1]
	s_delay_alu instid0(VALU_DEP_1) | instskip(SKIP_2) | instid1(VALU_DEP_3)
	v_dual_mov_b32 v20, v3 :: v_dual_mov_b32 v21, v1
	v_dual_mov_b32 v23, v1 :: v_dual_mov_b32 v25, v1
	v_dual_mov_b32 v27, v1 :: v_dual_lshrrev_b32 v3, 23, v18
	v_mad_nc_u64_u32 v[20:21], 0x3c439041, v0, v[20:21]
	s_delay_alu instid0(VALU_DEP_1) | instskip(NEXT) | instid1(VALU_DEP_1)
	v_dual_mov_b32 v31, v1 :: v_dual_mov_b32 v22, v21
	v_mad_nc_u64_u32 v[22:23], 0xdb629599, v0, v[22:23]
	s_delay_alu instid0(VALU_DEP_1) | instskip(NEXT) | instid1(VALU_DEP_1)
	v_mov_b32_e32 v24, v23
	v_mad_nc_u64_u32 v[24:25], 0xf534ddc0, v0, v[24:25]
	s_delay_alu instid0(VALU_DEP_1) | instskip(NEXT) | instid1(VALU_DEP_1)
	v_mov_b32_e32 v26, v25
	v_mad_nc_u64_u32 v[26:27], 0xfc2757d1, v0, v[26:27]
	s_delay_alu instid0(VALU_DEP_1) | instskip(NEXT) | instid1(VALU_DEP_1)
	v_dual_mov_b32 v29, v1 :: v_dual_mov_b32 v28, v27
	v_mad_nc_u64_u32 v[28:29], 0x4e441529, v0, v[28:29]
	s_delay_alu instid0(VALU_DEP_1) | instskip(NEXT) | instid1(VALU_DEP_1)
	v_dual_mov_b32 v30, v29 :: v_dual_add_nc_u32 v3, 0xffffff88, v3
	v_cmp_lt_u32_e32 vcc_lo, 63, v3
	s_delay_alu instid0(VALU_DEP_2) | instskip(SKIP_2) | instid1(VALU_DEP_2)
	v_mad_nc_u64_u32 v[0:1], 0xa2f9836e, v0, v[30:31]
	v_cndmask_b32_e64 v19, 0, 0xffffffc0, vcc_lo
	v_dual_cndmask_b32 v21, v28, v24 :: v_dual_cndmask_b32 v2, v22, v2
	v_add_nc_u32_e32 v3, v19, v3
	s_delay_alu instid0(VALU_DEP_1) | instskip(SKIP_1) | instid1(VALU_DEP_2)
	v_cmp_lt_u32_e64 s0, 31, v3
	v_dual_cndmask_b32 v0, v0, v26 :: v_dual_cndmask_b32 v1, v1, v28
	v_cndmask_b32_e64 v19, 0, 0xffffffe0, s0
	s_delay_alu instid0(VALU_DEP_1) | instskip(NEXT) | instid1(VALU_DEP_1)
	v_add_nc_u32_e32 v3, v19, v3
	v_cmp_lt_u32_e64 s1, 31, v3
	s_delay_alu instid0(VALU_DEP_1) | instskip(NEXT) | instid1(VALU_DEP_1)
	v_cndmask_b32_e64 v19, 0, 0xffffffe0, s1
	v_dual_cndmask_b32 v23, v26, v22, vcc_lo :: v_dual_add_nc_u32 v3, v19, v3
	v_cndmask_b32_e32 v19, v24, v20, vcc_lo
	v_dual_cndmask_b32 v20, v0, v21, s0 :: v_dual_cndmask_b32 v0, v1, v0, s0
	s_delay_alu instid0(VALU_DEP_3) | instskip(NEXT) | instid1(VALU_DEP_4)
	v_cndmask_b32_e64 v1, v21, v23, s0
	v_sub_nc_u32_e32 v21, 32, v3
	s_delay_alu instid0(VALU_DEP_4) | instskip(SKIP_3) | instid1(VALU_DEP_4)
	v_cndmask_b32_e64 v23, v23, v19, s0
	v_cmp_eq_u32_e32 vcc_lo, 0, v3
	v_cndmask_b32_e64 v0, v0, v20, s1
	v_dual_cndmask_b32 v20, v20, v1, s1 :: v_dual_cndmask_b32 v2, v19, v2, s0
	v_cndmask_b32_e64 v1, v1, v23, s1
	s_delay_alu instid0(VALU_DEP_2) | instskip(NEXT) | instid1(VALU_DEP_3)
	v_alignbit_b32 v24, v0, v20, v21
	v_cndmask_b32_e64 v2, v23, v2, s1
	s_delay_alu instid0(VALU_DEP_3) | instskip(NEXT) | instid1(VALU_DEP_3)
	v_alignbit_b32 v22, v20, v1, v21
	v_cndmask_b32_e32 v0, v24, v0, vcc_lo
	s_delay_alu instid0(VALU_DEP_3) | instskip(NEXT) | instid1(VALU_DEP_3)
	v_alignbit_b32 v21, v1, v2, v21
	v_cndmask_b32_e32 v3, v22, v20, vcc_lo
	s_delay_alu instid0(VALU_DEP_3) | instskip(NEXT) | instid1(VALU_DEP_3)
	v_bfe_u32 v20, v0, 29, 1
	v_cndmask_b32_e32 v1, v21, v1, vcc_lo
	s_delay_alu instid0(VALU_DEP_3) | instskip(NEXT) | instid1(VALU_DEP_3)
	v_alignbit_b32 v19, v0, v3, 30
	v_sub_nc_u32_e32 v22, 0, v20
	s_delay_alu instid0(VALU_DEP_3) | instskip(SKIP_1) | instid1(VALU_DEP_3)
	v_alignbit_b32 v3, v3, v1, 30
	v_alignbit_b32 v1, v1, v2, 30
	v_xor_b32_e32 v19, v19, v22
	s_delay_alu instid0(VALU_DEP_3) | instskip(NEXT) | instid1(VALU_DEP_3)
	v_xor_b32_e32 v2, v3, v22
	v_dual_lshrrev_b32 v22, 29, v0 :: v_dual_bitop2_b32 v1, v1, v22 bitop3:0x14
	v_lshrrev_b32_e32 v0, 30, v0
	s_delay_alu instid0(VALU_DEP_4) | instskip(NEXT) | instid1(VALU_DEP_2)
	v_clz_i32_u32_e32 v21, v19
	v_add_nc_u32_e32 v20, v20, v0
	s_delay_alu instid0(VALU_DEP_2) | instskip(NEXT) | instid1(VALU_DEP_1)
	v_min_u32_e32 v21, 32, v21
	v_dual_sub_nc_u32 v3, 31, v21 :: v_dual_lshlrev_b32 v23, 23, v21
	s_delay_alu instid0(VALU_DEP_1) | instskip(SKIP_2) | instid1(VALU_DEP_2)
	v_alignbit_b32 v19, v19, v2, v3
	v_alignbit_b32 v1, v2, v1, v3
	v_lshlrev_b32_e32 v2, 31, v22
	v_alignbit_b32 v3, v19, v1, 9
	s_delay_alu instid0(VALU_DEP_2) | instskip(SKIP_1) | instid1(VALU_DEP_3)
	v_or_b32_e32 v22, 0.5, v2
	v_or_b32_e32 v2, 0x33000000, v2
	v_clz_i32_u32_e32 v24, v3
	s_delay_alu instid0(VALU_DEP_3) | instskip(NEXT) | instid1(VALU_DEP_2)
	v_sub_nc_u32_e32 v22, v22, v23
	v_min_u32_e32 v23, 32, v24
	s_delay_alu instid0(VALU_DEP_1) | instskip(NEXT) | instid1(VALU_DEP_1)
	v_add_lshl_u32 v21, v23, v21, 23
	v_dual_lshrrev_b32 v19, 9, v19 :: v_dual_sub_nc_u32 v2, v2, v21
	s_delay_alu instid0(VALU_DEP_1) | instskip(SKIP_1) | instid1(VALU_DEP_1)
	v_or_b32_e32 v19, v19, v22
	v_not_b32_e32 v22, v23
	v_alignbit_b32 v1, v3, v1, v22
	s_delay_alu instid0(VALU_DEP_1) | instskip(NEXT) | instid1(VALU_DEP_1)
	v_lshrrev_b32_e32 v1, 9, v1
	v_or_b32_e32 v1, v2, v1
	v_mul_f32_e32 v24, 0x3fc90fda, v19
	s_delay_alu instid0(VALU_DEP_1) | instskip(NEXT) | instid1(VALU_DEP_1)
	v_fma_f32 v3, 0x3fc90fda, v19, -v24
	v_fmamk_f32 v3, v19, 0x33a22168, v3
	s_delay_alu instid0(VALU_DEP_1) | instskip(NEXT) | instid1(VALU_DEP_1)
	v_fmac_f32_e32 v3, 0x3fc90fda, v1
	v_add_f32_e32 v19, v24, v3
.LBB34_1575:
	s_and_not1_saveexec_b32 s0, s3
; %bb.1576:
	v_mul_f32_e64 v0, 0x3f22f983, |v17|
	s_delay_alu instid0(VALU_DEP_1) | instskip(NEXT) | instid1(VALU_DEP_1)
	v_rndne_f32_e32 v0, v0
	v_fma_f32 v1, 0xbfc90fda, v0, |v17|
	v_cvt_i32_f32_e32 v20, v0
	s_delay_alu instid0(VALU_DEP_2) | instskip(NEXT) | instid1(VALU_DEP_1)
	v_fmamk_f32 v1, v0, 0xb3a22168, v1
	v_fmamk_f32 v19, v0, 0xa7c234c4, v1
; %bb.1577:
	s_or_b32 exec_lo, exec_lo, s0
	v_dual_mul_f32 v0, v7, v7 :: v_dual_bitop2_b32 v3, 1, v8 bitop3:0x40
	s_mov_b32 s0, 0xb94c1982
	s_mov_b32 s1, 0x37d75334
	;; [unrolled: 1-line block ×3, first 2 shown]
	s_delay_alu instid0(VALU_DEP_1) | instskip(SKIP_2) | instid1(VALU_DEP_2)
	v_fmaak_f32 v1, s0, v0, 0x3c0881c4
	v_cmp_eq_u32_e32 vcc_lo, 0, v3
	s_mov_b32 s0, -1
	v_dual_fmaak_f32 v1, v0, v1, 0xbe2aaa9d :: v_dual_lshlrev_b32 v8, 30, v8
	v_fmaak_f32 v2, s1, v0, 0xbab64f3b
	s_and_b32 s1, s8, 0xff
	s_delay_alu instid0(SALU_CYCLE_1) | instskip(NEXT) | instid1(VALU_DEP_1)
	s_cmp_lt_i32 s1, 11
	v_dual_mul_f32 v1, v0, v1 :: v_dual_fmaak_f32 v2, v0, v2, 0x3d2aabf7
	s_delay_alu instid0(VALU_DEP_1) | instskip(SKIP_1) | instid1(VALU_DEP_2)
	v_dual_fmac_f32 v7, v7, v1 :: v_dual_fmaak_f32 v2, v0, v2, 0xbf000004
	v_bitop3_b32 v1, v6, v8, 0x80000000 bitop3:0x78
	v_fma_f32 v0, v0, v2, 1.0
	s_delay_alu instid0(VALU_DEP_1) | instskip(SKIP_1) | instid1(VALU_DEP_2)
	v_cndmask_b32_e32 v0, v0, v7, vcc_lo
	v_cmp_class_f32_e64 vcc_lo, v5, 0x1f8
	v_xor3_b32 v0, v1, v0, v5
	s_delay_alu instid0(VALU_DEP_1) | instskip(SKIP_1) | instid1(VALU_DEP_2)
	v_cndmask_b32_e32 v5, 0x7fc00000, v0, vcc_lo
	v_mul_lo_u32 v0, s2, v4
	v_bfe_u32 v1, v5, 16, 1
	v_cmp_o_f32_e32 vcc_lo, v5, v5
	s_delay_alu instid0(VALU_DEP_2) | instskip(NEXT) | instid1(VALU_DEP_1)
	v_add3_u32 v2, v5, v1, 0x7fff
	v_dual_ashrrev_i32 v1, 31, v0 :: v_dual_lshrrev_b32 v4, 16, v2
	s_delay_alu instid0(VALU_DEP_1) | instskip(NEXT) | instid1(VALU_DEP_2)
	v_add_nc_u64_e32 v[2:3], s[4:5], v[0:1]
	v_cndmask_b32_e32 v1, 0x7fc0, v4, vcc_lo
	s_cbranch_scc1 .LBB34_1656
; %bb.1578:
	s_and_b32 s3, 0xffff, s1
	s_mov_b32 s8, -1
	s_mov_b32 s6, 0
	s_cmp_gt_i32 s3, 25
	s_mov_b32 s0, 0
	s_cbranch_scc0 .LBB34_1611
; %bb.1579:
	s_cmp_gt_i32 s3, 28
	s_cbranch_scc0 .LBB34_1594
; %bb.1580:
	s_cmp_gt_i32 s3, 43
	;; [unrolled: 3-line block ×3, first 2 shown]
	s_cbranch_scc0 .LBB34_1584
; %bb.1582:
	s_mov_b32 s0, -1
	s_mov_b32 s8, 0
	s_cmp_eq_u32 s3, 46
	s_cbranch_scc0 .LBB34_1584
; %bb.1583:
	v_and_b32_e32 v4, 0xffff, v1
	s_mov_b32 s0, 0
	s_mov_b32 s7, -1
	global_store_b32 v[2:3], v4, off
.LBB34_1584:
	s_and_b32 vcc_lo, exec_lo, s8
	s_cbranch_vccz .LBB34_1589
; %bb.1585:
	s_cmp_eq_u32 s3, 44
	s_mov_b32 s0, -1
	s_cbranch_scc0 .LBB34_1589
; %bb.1586:
	s_wait_xcnt 0x0
	v_and_b32_e32 v4, 0xffff, v1
	v_mov_b32_e32 v5, 0xff
	s_mov_b32 s7, exec_lo
	s_delay_alu instid0(VALU_DEP_2) | instskip(NEXT) | instid1(VALU_DEP_1)
	v_bfe_u32 v6, v4, 7, 8
	v_cmpx_ne_u32_e32 0xff, v6
	s_cbranch_execz .LBB34_1588
; %bb.1587:
	v_dual_lshlrev_b32 v5, 16, v4 :: v_dual_bitop2_b32 v7, 64, v4 bitop3:0x40
	v_lshrrev_b32_e32 v4, 7, v4
	s_delay_alu instid0(VALU_DEP_2) | instskip(NEXT) | instid1(VALU_DEP_3)
	v_and_or_b32 v5, 0x3f0000, v5, v6
	v_cmp_ne_u32_e32 vcc_lo, 0, v7
	s_delay_alu instid0(VALU_DEP_2) | instskip(SKIP_1) | instid1(SALU_CYCLE_1)
	v_cmp_ne_u32_e64 s0, 0, v5
	s_and_b32 s0, vcc_lo, s0
	v_cndmask_b32_e64 v5, 0, 1, s0
	s_delay_alu instid0(VALU_DEP_1)
	v_add_nc_u32_e32 v5, v4, v5
.LBB34_1588:
	s_or_b32 exec_lo, exec_lo, s7
	s_mov_b32 s0, 0
	s_mov_b32 s7, -1
	global_store_b8 v[2:3], v5, off
.LBB34_1589:
	s_mov_b32 s8, 0
.LBB34_1590:
	s_delay_alu instid0(SALU_CYCLE_1)
	s_and_b32 vcc_lo, exec_lo, s8
	s_cbranch_vccz .LBB34_1593
; %bb.1591:
	s_cmp_eq_u32 s3, 29
	s_mov_b32 s0, -1
	s_cbranch_scc0 .LBB34_1593
; %bb.1592:
	s_wait_xcnt 0x0
	v_lshlrev_b32_e32 v4, 16, v1
	s_mov_b32 s0, 0
	s_mov_b32 s7, -1
	s_delay_alu instid0(VALU_DEP_1) | instskip(NEXT) | instid1(VALU_DEP_1)
	v_trunc_f32_e32 v4, v4
	v_mul_f32_e32 v5, 0x2f800000, v4
	s_delay_alu instid0(VALU_DEP_1) | instskip(NEXT) | instid1(VALU_DEP_1)
	v_floor_f32_e32 v5, v5
	v_fmamk_f32 v4, v5, 0xcf800000, v4
	v_cvt_u32_f32_e32 v5, v5
	s_delay_alu instid0(VALU_DEP_2)
	v_cvt_u32_f32_e32 v4, v4
	global_store_b64 v[2:3], v[4:5], off
.LBB34_1593:
	s_mov_b32 s8, 0
.LBB34_1594:
	s_delay_alu instid0(SALU_CYCLE_1)
	s_and_b32 vcc_lo, exec_lo, s8
	s_cbranch_vccz .LBB34_1610
; %bb.1595:
	s_cmp_lt_i32 s3, 27
	s_mov_b32 s7, -1
	s_cbranch_scc1 .LBB34_1601
; %bb.1596:
	s_cmp_gt_i32 s3, 27
	s_cbranch_scc0 .LBB34_1598
; %bb.1597:
	s_wait_xcnt 0x0
	v_lshlrev_b32_e32 v4, 16, v1
	s_mov_b32 s7, 0
	s_delay_alu instid0(VALU_DEP_1)
	v_cvt_u32_f32_e32 v4, v4
	global_store_b32 v[2:3], v4, off
.LBB34_1598:
	s_and_not1_b32 vcc_lo, exec_lo, s7
	s_cbranch_vccnz .LBB34_1600
; %bb.1599:
	s_wait_xcnt 0x0
	v_lshlrev_b32_e32 v4, 16, v1
	s_delay_alu instid0(VALU_DEP_1)
	v_cvt_u32_f32_e32 v4, v4
	global_store_b16 v[2:3], v4, off
.LBB34_1600:
	s_mov_b32 s7, 0
.LBB34_1601:
	s_delay_alu instid0(SALU_CYCLE_1)
	s_and_not1_b32 vcc_lo, exec_lo, s7
	s_cbranch_vccnz .LBB34_1609
; %bb.1602:
	v_dual_mov_b32 v7, 0x80 :: v_dual_lshlrev_b32 v6, 16, v1
	s_mov_b32 s7, exec_lo
	s_wait_xcnt 0x0
	s_delay_alu instid0(VALU_DEP_1) | instskip(NEXT) | instid1(VALU_DEP_1)
	v_and_b32_e32 v5, 0x7fffffff, v6
	v_cmpx_gt_u32_e32 0x43800000, v5
	s_cbranch_execz .LBB34_1608
; %bb.1603:
	v_and_b32_e32 v4, 0xffff, v1
	v_cmp_lt_u32_e32 vcc_lo, 0x3bffffff, v5
	s_mov_b32 s8, 0
                                        ; implicit-def: $vgpr5
	s_and_saveexec_b32 s10, vcc_lo
	s_delay_alu instid0(SALU_CYCLE_1)
	s_xor_b32 s10, exec_lo, s10
	s_cbranch_execz .LBB34_2053
; %bb.1604:
	v_bfe_u32 v5, v4, 4, 1
	s_mov_b32 s8, exec_lo
	s_delay_alu instid0(VALU_DEP_1) | instskip(NEXT) | instid1(VALU_DEP_1)
	v_add3_u32 v5, v6, v5, 0x487ffff
                                        ; implicit-def: $vgpr6
	v_lshrrev_b32_e32 v5, 20, v5
	s_and_not1_saveexec_b32 s10, s10
	s_cbranch_execnz .LBB34_2054
.LBB34_1605:
	s_or_b32 exec_lo, exec_lo, s10
	v_mov_b32_e32 v7, 0
	s_and_saveexec_b32 s10, s8
.LBB34_1606:
	v_lshrrev_b32_e32 v4, 8, v4
	s_delay_alu instid0(VALU_DEP_1)
	v_and_or_b32 v7, 0x80, v4, v5
.LBB34_1607:
	s_or_b32 exec_lo, exec_lo, s10
.LBB34_1608:
	s_delay_alu instid0(SALU_CYCLE_1)
	s_or_b32 exec_lo, exec_lo, s7
	global_store_b8 v[2:3], v7, off
.LBB34_1609:
	s_mov_b32 s7, -1
.LBB34_1610:
	s_mov_b32 s8, 0
.LBB34_1611:
	s_delay_alu instid0(SALU_CYCLE_1)
	s_and_b32 vcc_lo, exec_lo, s8
	s_cbranch_vccz .LBB34_1651
; %bb.1612:
	s_cmp_gt_i32 s3, 22
	s_mov_b32 s6, -1
	s_cbranch_scc0 .LBB34_1644
; %bb.1613:
	s_cmp_lt_i32 s3, 24
	s_cbranch_scc1 .LBB34_1633
; %bb.1614:
	s_cmp_gt_i32 s3, 24
	s_cbranch_scc0 .LBB34_1622
; %bb.1615:
	s_wait_xcnt 0x0
	v_dual_mov_b32 v7, 0x80 :: v_dual_lshlrev_b32 v6, 16, v1
	s_mov_b32 s6, exec_lo
	s_delay_alu instid0(VALU_DEP_1) | instskip(NEXT) | instid1(VALU_DEP_1)
	v_and_b32_e32 v5, 0x7fffffff, v6
	v_cmpx_gt_u32_e32 0x47800000, v5
	s_cbranch_execz .LBB34_1621
; %bb.1616:
	v_and_b32_e32 v4, 0xffff, v1
	v_cmp_lt_u32_e32 vcc_lo, 0x37ffffff, v5
	s_mov_b32 s7, 0
                                        ; implicit-def: $vgpr5
	s_and_saveexec_b32 s8, vcc_lo
	s_delay_alu instid0(SALU_CYCLE_1)
	s_xor_b32 s8, exec_lo, s8
	s_cbranch_execz .LBB34_2056
; %bb.1617:
	v_bfe_u32 v5, v4, 5, 1
	s_mov_b32 s7, exec_lo
	s_delay_alu instid0(VALU_DEP_1) | instskip(NEXT) | instid1(VALU_DEP_1)
	v_add3_u32 v5, v6, v5, 0x88fffff
                                        ; implicit-def: $vgpr6
	v_lshrrev_b32_e32 v5, 21, v5
	s_and_not1_saveexec_b32 s8, s8
	s_cbranch_execnz .LBB34_2057
.LBB34_1618:
	s_or_b32 exec_lo, exec_lo, s8
	v_mov_b32_e32 v7, 0
	s_and_saveexec_b32 s8, s7
.LBB34_1619:
	v_lshrrev_b32_e32 v4, 8, v4
	s_delay_alu instid0(VALU_DEP_1)
	v_and_or_b32 v7, 0x80, v4, v5
.LBB34_1620:
	s_or_b32 exec_lo, exec_lo, s8
.LBB34_1621:
	s_delay_alu instid0(SALU_CYCLE_1)
	s_or_b32 exec_lo, exec_lo, s6
	s_mov_b32 s6, 0
	global_store_b8 v[2:3], v7, off
.LBB34_1622:
	s_and_b32 vcc_lo, exec_lo, s6
	s_cbranch_vccz .LBB34_1632
; %bb.1623:
	v_lshlrev_b32_e32 v6, 16, v1
	s_wait_xcnt 0x0
	v_and_b32_e32 v4, 0xffff, v1
	s_mov_b32 s6, exec_lo
                                        ; implicit-def: $vgpr5
	s_delay_alu instid0(VALU_DEP_2) | instskip(NEXT) | instid1(VALU_DEP_1)
	v_and_b32_e32 v7, 0x7fffffff, v6
	v_cmpx_gt_u32_e32 0x43f00000, v7
	s_xor_b32 s6, exec_lo, s6
	s_cbranch_execz .LBB34_1629
; %bb.1624:
	s_mov_b32 s7, exec_lo
                                        ; implicit-def: $vgpr5
	v_cmpx_lt_u32_e32 0x3c7fffff, v7
	s_xor_b32 s7, exec_lo, s7
; %bb.1625:
	v_bfe_u32 v5, v4, 4, 1
	s_delay_alu instid0(VALU_DEP_1) | instskip(NEXT) | instid1(VALU_DEP_1)
	v_add3_u32 v5, v6, v5, 0x407ffff
	v_and_b32_e32 v6, 0xff00000, v5
	v_lshrrev_b32_e32 v5, 20, v5
	s_delay_alu instid0(VALU_DEP_2) | instskip(NEXT) | instid1(VALU_DEP_2)
	v_cmp_ne_u32_e32 vcc_lo, 0x7f00000, v6
                                        ; implicit-def: $vgpr6
	v_cndmask_b32_e32 v5, 0x7e, v5, vcc_lo
; %bb.1626:
	s_and_not1_saveexec_b32 s7, s7
; %bb.1627:
	v_add_f32_e64 v5, 0x46800000, |v6|
; %bb.1628:
	s_or_b32 exec_lo, exec_lo, s7
                                        ; implicit-def: $vgpr7
.LBB34_1629:
	s_and_not1_saveexec_b32 s6, s6
; %bb.1630:
	v_mov_b32_e32 v5, 0x7f
	v_cmp_lt_u32_e32 vcc_lo, 0x7f800000, v7
	s_delay_alu instid0(VALU_DEP_2)
	v_cndmask_b32_e32 v5, 0x7e, v5, vcc_lo
; %bb.1631:
	s_or_b32 exec_lo, exec_lo, s6
	v_lshrrev_b32_e32 v4, 8, v4
	s_delay_alu instid0(VALU_DEP_1)
	v_and_or_b32 v4, 0x80, v4, v5
	global_store_b8 v[2:3], v4, off
.LBB34_1632:
	s_mov_b32 s6, 0
.LBB34_1633:
	s_delay_alu instid0(SALU_CYCLE_1)
	s_and_not1_b32 vcc_lo, exec_lo, s6
	s_cbranch_vccnz .LBB34_1643
; %bb.1634:
	v_lshlrev_b32_e32 v6, 16, v1
	s_wait_xcnt 0x0
	v_and_b32_e32 v4, 0xffff, v1
	s_mov_b32 s6, exec_lo
                                        ; implicit-def: $vgpr5
	s_delay_alu instid0(VALU_DEP_2) | instskip(NEXT) | instid1(VALU_DEP_1)
	v_and_b32_e32 v7, 0x7fffffff, v6
	v_cmpx_gt_u32_e32 0x47800000, v7
	s_xor_b32 s6, exec_lo, s6
	s_cbranch_execz .LBB34_1640
; %bb.1635:
	s_mov_b32 s7, exec_lo
                                        ; implicit-def: $vgpr5
	v_cmpx_lt_u32_e32 0x387fffff, v7
	s_xor_b32 s7, exec_lo, s7
; %bb.1636:
	v_bfe_u32 v5, v4, 5, 1
	s_delay_alu instid0(VALU_DEP_1) | instskip(NEXT) | instid1(VALU_DEP_1)
	v_add3_u32 v5, v6, v5, 0x80fffff
                                        ; implicit-def: $vgpr6
	v_lshrrev_b32_e32 v5, 21, v5
; %bb.1637:
	s_and_not1_saveexec_b32 s7, s7
; %bb.1638:
	v_add_f32_e64 v5, 0x43000000, |v6|
; %bb.1639:
	s_or_b32 exec_lo, exec_lo, s7
                                        ; implicit-def: $vgpr7
.LBB34_1640:
	s_and_not1_saveexec_b32 s6, s6
; %bb.1641:
	v_mov_b32_e32 v5, 0x7f
	v_cmp_lt_u32_e32 vcc_lo, 0x7f800000, v7
	s_delay_alu instid0(VALU_DEP_2)
	v_cndmask_b32_e32 v5, 0x7c, v5, vcc_lo
; %bb.1642:
	s_or_b32 exec_lo, exec_lo, s6
	v_lshrrev_b32_e32 v4, 8, v4
	s_delay_alu instid0(VALU_DEP_1)
	v_and_or_b32 v4, 0x80, v4, v5
	global_store_b8 v[2:3], v4, off
.LBB34_1643:
	s_mov_b32 s6, 0
	s_mov_b32 s7, -1
.LBB34_1644:
	s_and_not1_b32 vcc_lo, exec_lo, s6
	s_mov_b32 s6, 0
	s_cbranch_vccnz .LBB34_1651
; %bb.1645:
	s_cmp_gt_i32 s3, 14
	s_mov_b32 s6, -1
	s_cbranch_scc0 .LBB34_1649
; %bb.1646:
	s_cmp_eq_u32 s3, 15
	s_mov_b32 s0, -1
	s_cbranch_scc0 .LBB34_1648
; %bb.1647:
	s_mov_b32 s0, 0
	s_mov_b32 s7, -1
	global_store_b16 v[2:3], v1, off
.LBB34_1648:
	s_mov_b32 s6, 0
.LBB34_1649:
	s_delay_alu instid0(SALU_CYCLE_1)
	s_and_b32 vcc_lo, exec_lo, s6
	s_mov_b32 s6, 0
	s_cbranch_vccz .LBB34_1651
; %bb.1650:
	s_cmp_lg_u32 s3, 11
	s_mov_b32 s6, -1
	s_cselect_b32 s0, -1, 0
.LBB34_1651:
	s_delay_alu instid0(SALU_CYCLE_1)
	s_and_b32 vcc_lo, exec_lo, s0
	s_cbranch_vccnz .LBB34_2055
; %bb.1652:
	s_and_not1_b32 vcc_lo, exec_lo, s6
	s_cbranch_vccnz .LBB34_1654
.LBB34_1653:
	s_wait_xcnt 0x0
	v_and_b32_e32 v4, 0x7fff, v1
	s_mov_b32 s7, -1
	s_delay_alu instid0(VALU_DEP_1)
	v_cmp_ne_u16_e32 vcc_lo, 0, v4
	v_cndmask_b32_e64 v4, 0, 1, vcc_lo
	global_store_b8 v[2:3], v4, off
.LBB34_1654:
.LBB34_1655:
	s_and_not1_b32 vcc_lo, exec_lo, s7
	s_cbranch_vccz .LBB34_1695
	s_branch .LBB34_2007
.LBB34_1656:
	s_and_b32 vcc_lo, exec_lo, s0
	s_cbranch_vccz .LBB34_1655
; %bb.1657:
	s_and_b32 s0, 0xffff, s1
	s_mov_b32 s3, -1
	s_cmp_lt_i32 s0, 5
	s_cbranch_scc1 .LBB34_1678
; %bb.1658:
	s_cmp_lt_i32 s0, 8
	s_cbranch_scc1 .LBB34_1668
; %bb.1659:
	;; [unrolled: 3-line block ×3, first 2 shown]
	s_cmp_gt_i32 s0, 9
	s_cbranch_scc0 .LBB34_1662
; %bb.1661:
	s_wait_xcnt 0x0
	v_dual_lshlrev_b32 v4, 16, v1 :: v_dual_mov_b32 v6, 0
	s_mov_b32 s3, 0
	s_delay_alu instid0(VALU_DEP_1) | instskip(NEXT) | instid1(VALU_DEP_2)
	v_cvt_f64_f32_e32 v[4:5], v4
	v_mov_b32_e32 v7, v6
	global_store_b128 v[2:3], v[4:7], off
.LBB34_1662:
	s_and_not1_b32 vcc_lo, exec_lo, s3
	s_cbranch_vccnz .LBB34_1664
; %bb.1663:
	s_wait_xcnt 0x0
	v_dual_mov_b32 v5, 0 :: v_dual_lshlrev_b32 v4, 16, v1
	global_store_b64 v[2:3], v[4:5], off
.LBB34_1664:
	s_mov_b32 s3, 0
.LBB34_1665:
	s_delay_alu instid0(SALU_CYCLE_1)
	s_and_not1_b32 vcc_lo, exec_lo, s3
	s_cbranch_vccnz .LBB34_1667
; %bb.1666:
	s_wait_xcnt 0x0
	v_lshlrev_b32_e32 v4, 16, v1
	s_delay_alu instid0(VALU_DEP_1) | instskip(NEXT) | instid1(VALU_DEP_1)
	v_cvt_f16_f32_e32 v4, v4
	v_and_b32_e32 v4, 0xffff, v4
	global_store_b32 v[2:3], v4, off
.LBB34_1667:
	s_mov_b32 s3, 0
.LBB34_1668:
	s_delay_alu instid0(SALU_CYCLE_1)
	s_and_not1_b32 vcc_lo, exec_lo, s3
	s_cbranch_vccnz .LBB34_1677
; %bb.1669:
	s_cmp_lt_i32 s0, 6
	s_mov_b32 s3, -1
	s_cbranch_scc1 .LBB34_1675
; %bb.1670:
	s_cmp_gt_i32 s0, 6
	s_cbranch_scc0 .LBB34_1672
; %bb.1671:
	s_wait_xcnt 0x0
	v_lshlrev_b32_e32 v4, 16, v1
	s_mov_b32 s3, 0
	s_delay_alu instid0(VALU_DEP_1)
	v_cvt_f64_f32_e32 v[4:5], v4
	global_store_b64 v[2:3], v[4:5], off
.LBB34_1672:
	s_and_not1_b32 vcc_lo, exec_lo, s3
	s_cbranch_vccnz .LBB34_1674
; %bb.1673:
	s_wait_xcnt 0x0
	v_lshlrev_b32_e32 v4, 16, v1
	global_store_b32 v[2:3], v4, off
.LBB34_1674:
	s_mov_b32 s3, 0
.LBB34_1675:
	s_delay_alu instid0(SALU_CYCLE_1)
	s_and_not1_b32 vcc_lo, exec_lo, s3
	s_cbranch_vccnz .LBB34_1677
; %bb.1676:
	s_wait_xcnt 0x0
	v_lshlrev_b32_e32 v4, 16, v1
	s_delay_alu instid0(VALU_DEP_1)
	v_cvt_f16_f32_e32 v4, v4
	global_store_b16 v[2:3], v4, off
.LBB34_1677:
	s_mov_b32 s3, 0
.LBB34_1678:
	s_delay_alu instid0(SALU_CYCLE_1)
	s_and_not1_b32 vcc_lo, exec_lo, s3
	s_cbranch_vccnz .LBB34_1694
; %bb.1679:
	s_cmp_lt_i32 s0, 2
	s_mov_b32 s3, -1
	s_cbranch_scc1 .LBB34_1689
; %bb.1680:
	s_cmp_lt_i32 s0, 3
	s_cbranch_scc1 .LBB34_1686
; %bb.1681:
	s_cmp_gt_i32 s0, 3
	s_cbranch_scc0 .LBB34_1683
; %bb.1682:
	s_wait_xcnt 0x0
	v_lshlrev_b32_e32 v4, 16, v1
	s_mov_b32 s3, 0
	s_delay_alu instid0(VALU_DEP_1) | instskip(NEXT) | instid1(VALU_DEP_1)
	v_trunc_f32_e32 v4, v4
	v_mul_f32_e64 v5, 0x2f800000, |v4|
	s_delay_alu instid0(VALU_DEP_1) | instskip(NEXT) | instid1(VALU_DEP_1)
	v_floor_f32_e32 v5, v5
	v_fma_f32 v6, 0xcf800000, v5, |v4|
	v_ashrrev_i32_e32 v4, 31, v4
	v_cvt_u32_f32_e32 v7, v5
	s_delay_alu instid0(VALU_DEP_3) | instskip(NEXT) | instid1(VALU_DEP_2)
	v_cvt_u32_f32_e32 v6, v6
	v_dual_mov_b32 v5, v4 :: v_dual_bitop2_b32 v7, v7, v4 bitop3:0x14
	s_delay_alu instid0(VALU_DEP_2) | instskip(NEXT) | instid1(VALU_DEP_1)
	v_xor_b32_e32 v6, v6, v4
	v_sub_nc_u64_e32 v[4:5], v[6:7], v[4:5]
	global_store_b64 v[2:3], v[4:5], off
.LBB34_1683:
	s_and_not1_b32 vcc_lo, exec_lo, s3
	s_cbranch_vccnz .LBB34_1685
; %bb.1684:
	s_wait_xcnt 0x0
	v_lshlrev_b32_e32 v4, 16, v1
	s_delay_alu instid0(VALU_DEP_1)
	v_cvt_i32_f32_e32 v4, v4
	global_store_b32 v[2:3], v4, off
.LBB34_1685:
	s_mov_b32 s3, 0
.LBB34_1686:
	s_delay_alu instid0(SALU_CYCLE_1)
	s_and_not1_b32 vcc_lo, exec_lo, s3
	s_cbranch_vccnz .LBB34_1688
; %bb.1687:
	s_wait_xcnt 0x0
	v_lshlrev_b32_e32 v4, 16, v1
	s_delay_alu instid0(VALU_DEP_1)
	v_cvt_i32_f32_e32 v4, v4
	global_store_b16 v[2:3], v4, off
.LBB34_1688:
	s_mov_b32 s3, 0
.LBB34_1689:
	s_delay_alu instid0(SALU_CYCLE_1)
	s_and_not1_b32 vcc_lo, exec_lo, s3
	s_cbranch_vccnz .LBB34_1694
; %bb.1690:
	s_wait_xcnt 0x0
	v_lshlrev_b32_e32 v1, 16, v1
	s_cmp_gt_i32 s0, 0
	s_mov_b32 s0, -1
	s_cbranch_scc0 .LBB34_1692
; %bb.1691:
	s_delay_alu instid0(VALU_DEP_1)
	v_cvt_i32_f32_e32 v4, v1
	s_mov_b32 s0, 0
	global_store_b8 v[2:3], v4, off
.LBB34_1692:
	s_and_not1_b32 vcc_lo, exec_lo, s0
	s_cbranch_vccnz .LBB34_1694
; %bb.1693:
	v_trunc_f32_e32 v1, v1
	s_wait_xcnt 0x0
	s_delay_alu instid0(VALU_DEP_1) | instskip(NEXT) | instid1(VALU_DEP_1)
	v_mul_f32_e64 v4, 0x2f800000, |v1|
	v_floor_f32_e32 v4, v4
	s_delay_alu instid0(VALU_DEP_1) | instskip(SKIP_1) | instid1(VALU_DEP_2)
	v_fma_f32 v4, 0xcf800000, v4, |v1|
	v_ashrrev_i32_e32 v1, 31, v1
	v_cvt_u32_f32_e32 v4, v4
	s_delay_alu instid0(VALU_DEP_1) | instskip(NEXT) | instid1(VALU_DEP_1)
	v_xor_b32_e32 v4, v4, v1
	v_sub_nc_u32_e32 v1, v4, v1
	global_store_b8 v[2:3], v1, off
.LBB34_1694:
.LBB34_1695:
	s_wait_xcnt 0x0
	v_dual_mul_f32 v1, v11, v11 :: v_dual_bitop2_b32 v4, 1, v12 bitop3:0x40
	s_mov_b32 s0, 0xb94c1982
	s_lshl_b32 s2, s2, 7
	s_mov_b32 s3, 0x37d75334
	v_add_nc_u32_e32 v0, s2, v0
	v_fmaak_f32 v2, s0, v1, 0x3c0881c4
	v_cmp_eq_u32_e32 vcc_lo, 0, v4
	s_mov_b32 s7, 0
	s_cmp_lt_i32 s1, 11
	s_mov_b32 s0, -1
	v_fmaak_f32 v2, v1, v2, 0xbe2aaa9d
	s_delay_alu instid0(VALU_DEP_1) | instskip(NEXT) | instid1(VALU_DEP_1)
	v_dual_fmaak_f32 v3, s3, v1, 0xbab64f3b :: v_dual_mul_f32 v2, v1, v2
	v_fmaak_f32 v3, v1, v3, 0x3d2aabf7
	s_delay_alu instid0(VALU_DEP_2) | instskip(NEXT) | instid1(VALU_DEP_2)
	v_dual_fmac_f32 v11, v11, v2 :: v_dual_lshlrev_b32 v2, 30, v12
	v_fmaak_f32 v3, v1, v3, 0xbf000004
	s_delay_alu instid0(VALU_DEP_2) | instskip(NEXT) | instid1(VALU_DEP_2)
	v_bitop3_b32 v2, v10, v2, 0x80000000 bitop3:0x78
	v_fma_f32 v1, v1, v3, 1.0
	s_delay_alu instid0(VALU_DEP_1) | instskip(SKIP_1) | instid1(VALU_DEP_2)
	v_cndmask_b32_e32 v1, v1, v11, vcc_lo
	v_cmp_class_f32_e64 vcc_lo, v9, 0x1f8
	v_xor3_b32 v1, v2, v1, v9
	s_delay_alu instid0(VALU_DEP_1) | instskip(NEXT) | instid1(VALU_DEP_1)
	v_cndmask_b32_e32 v4, 0x7fc00000, v1, vcc_lo
	v_bfe_u32 v1, v4, 16, 1
	v_cmp_o_f32_e32 vcc_lo, v4, v4
	s_delay_alu instid0(VALU_DEP_2) | instskip(NEXT) | instid1(VALU_DEP_1)
	v_add3_u32 v2, v4, v1, 0x7fff
	v_dual_lshrrev_b32 v5, 16, v2 :: v_dual_ashrrev_i32 v1, 31, v0
	s_delay_alu instid0(VALU_DEP_1) | instskip(NEXT) | instid1(VALU_DEP_2)
	v_add_nc_u64_e32 v[2:3], s[4:5], v[0:1]
	v_cndmask_b32_e32 v1, 0x7fc0, v5, vcc_lo
	s_cbranch_scc1 .LBB34_1774
; %bb.1696:
	s_and_b32 s3, 0xffff, s1
	s_mov_b32 s8, -1
	s_mov_b32 s6, 0
	s_cmp_gt_i32 s3, 25
	s_mov_b32 s0, 0
	s_cbranch_scc0 .LBB34_1729
; %bb.1697:
	s_cmp_gt_i32 s3, 28
	s_cbranch_scc0 .LBB34_1712
; %bb.1698:
	s_cmp_gt_i32 s3, 43
	s_cbranch_scc0 .LBB34_1708
; %bb.1699:
	s_cmp_gt_i32 s3, 45
	s_cbranch_scc0 .LBB34_1702
; %bb.1700:
	s_mov_b32 s0, -1
	s_mov_b32 s8, 0
	s_cmp_eq_u32 s3, 46
	s_cbranch_scc0 .LBB34_1702
; %bb.1701:
	v_and_b32_e32 v4, 0xffff, v1
	s_mov_b32 s0, 0
	s_mov_b32 s7, -1
	global_store_b32 v[2:3], v4, off
.LBB34_1702:
	s_and_b32 vcc_lo, exec_lo, s8
	s_cbranch_vccz .LBB34_1707
; %bb.1703:
	s_cmp_eq_u32 s3, 44
	s_mov_b32 s0, -1
	s_cbranch_scc0 .LBB34_1707
; %bb.1704:
	s_wait_xcnt 0x0
	v_and_b32_e32 v4, 0xffff, v1
	v_mov_b32_e32 v5, 0xff
	s_mov_b32 s7, exec_lo
	s_delay_alu instid0(VALU_DEP_2) | instskip(NEXT) | instid1(VALU_DEP_1)
	v_bfe_u32 v6, v4, 7, 8
	v_cmpx_ne_u32_e32 0xff, v6
	s_cbranch_execz .LBB34_1706
; %bb.1705:
	v_dual_lshlrev_b32 v5, 16, v4 :: v_dual_bitop2_b32 v7, 64, v4 bitop3:0x40
	v_lshrrev_b32_e32 v4, 7, v4
	s_delay_alu instid0(VALU_DEP_2) | instskip(NEXT) | instid1(VALU_DEP_3)
	v_and_or_b32 v5, 0x3f0000, v5, v6
	v_cmp_ne_u32_e32 vcc_lo, 0, v7
	s_delay_alu instid0(VALU_DEP_2) | instskip(SKIP_1) | instid1(SALU_CYCLE_1)
	v_cmp_ne_u32_e64 s0, 0, v5
	s_and_b32 s0, vcc_lo, s0
	v_cndmask_b32_e64 v5, 0, 1, s0
	s_delay_alu instid0(VALU_DEP_1)
	v_add_nc_u32_e32 v5, v4, v5
.LBB34_1706:
	s_or_b32 exec_lo, exec_lo, s7
	s_mov_b32 s0, 0
	s_mov_b32 s7, -1
	global_store_b8 v[2:3], v5, off
.LBB34_1707:
	s_mov_b32 s8, 0
.LBB34_1708:
	s_delay_alu instid0(SALU_CYCLE_1)
	s_and_b32 vcc_lo, exec_lo, s8
	s_cbranch_vccz .LBB34_1711
; %bb.1709:
	s_cmp_eq_u32 s3, 29
	s_mov_b32 s0, -1
	s_cbranch_scc0 .LBB34_1711
; %bb.1710:
	s_wait_xcnt 0x0
	v_lshlrev_b32_e32 v4, 16, v1
	s_mov_b32 s0, 0
	s_mov_b32 s7, -1
	s_delay_alu instid0(VALU_DEP_1) | instskip(NEXT) | instid1(VALU_DEP_1)
	v_trunc_f32_e32 v4, v4
	v_mul_f32_e32 v5, 0x2f800000, v4
	s_delay_alu instid0(VALU_DEP_1) | instskip(NEXT) | instid1(VALU_DEP_1)
	v_floor_f32_e32 v5, v5
	v_fmamk_f32 v4, v5, 0xcf800000, v4
	v_cvt_u32_f32_e32 v5, v5
	s_delay_alu instid0(VALU_DEP_2)
	v_cvt_u32_f32_e32 v4, v4
	global_store_b64 v[2:3], v[4:5], off
.LBB34_1711:
	s_mov_b32 s8, 0
.LBB34_1712:
	s_delay_alu instid0(SALU_CYCLE_1)
	s_and_b32 vcc_lo, exec_lo, s8
	s_cbranch_vccz .LBB34_1728
; %bb.1713:
	s_cmp_lt_i32 s3, 27
	s_mov_b32 s7, -1
	s_cbranch_scc1 .LBB34_1719
; %bb.1714:
	s_cmp_gt_i32 s3, 27
	s_cbranch_scc0 .LBB34_1716
; %bb.1715:
	s_wait_xcnt 0x0
	v_lshlrev_b32_e32 v4, 16, v1
	s_mov_b32 s7, 0
	s_delay_alu instid0(VALU_DEP_1)
	v_cvt_u32_f32_e32 v4, v4
	global_store_b32 v[2:3], v4, off
.LBB34_1716:
	s_and_not1_b32 vcc_lo, exec_lo, s7
	s_cbranch_vccnz .LBB34_1718
; %bb.1717:
	s_wait_xcnt 0x0
	v_lshlrev_b32_e32 v4, 16, v1
	s_delay_alu instid0(VALU_DEP_1)
	v_cvt_u32_f32_e32 v4, v4
	global_store_b16 v[2:3], v4, off
.LBB34_1718:
	s_mov_b32 s7, 0
.LBB34_1719:
	s_delay_alu instid0(SALU_CYCLE_1)
	s_and_not1_b32 vcc_lo, exec_lo, s7
	s_cbranch_vccnz .LBB34_1727
; %bb.1720:
	v_dual_mov_b32 v7, 0x80 :: v_dual_lshlrev_b32 v6, 16, v1
	s_mov_b32 s7, exec_lo
	s_wait_xcnt 0x0
	s_delay_alu instid0(VALU_DEP_1) | instskip(NEXT) | instid1(VALU_DEP_1)
	v_and_b32_e32 v5, 0x7fffffff, v6
	v_cmpx_gt_u32_e32 0x43800000, v5
	s_cbranch_execz .LBB34_1726
; %bb.1721:
	v_and_b32_e32 v4, 0xffff, v1
	v_cmp_lt_u32_e32 vcc_lo, 0x3bffffff, v5
	s_mov_b32 s8, 0
                                        ; implicit-def: $vgpr5
	s_and_saveexec_b32 s10, vcc_lo
	s_delay_alu instid0(SALU_CYCLE_1)
	s_xor_b32 s10, exec_lo, s10
	s_cbranch_execz .LBB34_2058
; %bb.1722:
	v_bfe_u32 v5, v4, 4, 1
	s_mov_b32 s8, exec_lo
	s_delay_alu instid0(VALU_DEP_1) | instskip(NEXT) | instid1(VALU_DEP_1)
	v_add3_u32 v5, v6, v5, 0x487ffff
                                        ; implicit-def: $vgpr6
	v_lshrrev_b32_e32 v5, 20, v5
	s_and_not1_saveexec_b32 s10, s10
	s_cbranch_execnz .LBB34_2059
.LBB34_1723:
	s_or_b32 exec_lo, exec_lo, s10
	v_mov_b32_e32 v7, 0
	s_and_saveexec_b32 s10, s8
.LBB34_1724:
	v_lshrrev_b32_e32 v4, 8, v4
	s_delay_alu instid0(VALU_DEP_1)
	v_and_or_b32 v7, 0x80, v4, v5
.LBB34_1725:
	s_or_b32 exec_lo, exec_lo, s10
.LBB34_1726:
	s_delay_alu instid0(SALU_CYCLE_1)
	s_or_b32 exec_lo, exec_lo, s7
	global_store_b8 v[2:3], v7, off
.LBB34_1727:
	s_mov_b32 s7, -1
.LBB34_1728:
	s_mov_b32 s8, 0
.LBB34_1729:
	s_delay_alu instid0(SALU_CYCLE_1)
	s_and_b32 vcc_lo, exec_lo, s8
	s_cbranch_vccz .LBB34_1769
; %bb.1730:
	s_cmp_gt_i32 s3, 22
	s_mov_b32 s6, -1
	s_cbranch_scc0 .LBB34_1762
; %bb.1731:
	s_cmp_lt_i32 s3, 24
	s_cbranch_scc1 .LBB34_1751
; %bb.1732:
	s_cmp_gt_i32 s3, 24
	s_cbranch_scc0 .LBB34_1740
; %bb.1733:
	s_wait_xcnt 0x0
	v_dual_mov_b32 v7, 0x80 :: v_dual_lshlrev_b32 v6, 16, v1
	s_mov_b32 s6, exec_lo
	s_delay_alu instid0(VALU_DEP_1) | instskip(NEXT) | instid1(VALU_DEP_1)
	v_and_b32_e32 v5, 0x7fffffff, v6
	v_cmpx_gt_u32_e32 0x47800000, v5
	s_cbranch_execz .LBB34_1739
; %bb.1734:
	v_and_b32_e32 v4, 0xffff, v1
	v_cmp_lt_u32_e32 vcc_lo, 0x37ffffff, v5
	s_mov_b32 s7, 0
                                        ; implicit-def: $vgpr5
	s_and_saveexec_b32 s8, vcc_lo
	s_delay_alu instid0(SALU_CYCLE_1)
	s_xor_b32 s8, exec_lo, s8
	s_cbranch_execz .LBB34_2061
; %bb.1735:
	v_bfe_u32 v5, v4, 5, 1
	s_mov_b32 s7, exec_lo
	s_delay_alu instid0(VALU_DEP_1) | instskip(NEXT) | instid1(VALU_DEP_1)
	v_add3_u32 v5, v6, v5, 0x88fffff
                                        ; implicit-def: $vgpr6
	v_lshrrev_b32_e32 v5, 21, v5
	s_and_not1_saveexec_b32 s8, s8
	s_cbranch_execnz .LBB34_2062
.LBB34_1736:
	s_or_b32 exec_lo, exec_lo, s8
	v_mov_b32_e32 v7, 0
	s_and_saveexec_b32 s8, s7
.LBB34_1737:
	v_lshrrev_b32_e32 v4, 8, v4
	s_delay_alu instid0(VALU_DEP_1)
	v_and_or_b32 v7, 0x80, v4, v5
.LBB34_1738:
	s_or_b32 exec_lo, exec_lo, s8
.LBB34_1739:
	s_delay_alu instid0(SALU_CYCLE_1)
	s_or_b32 exec_lo, exec_lo, s6
	s_mov_b32 s6, 0
	global_store_b8 v[2:3], v7, off
.LBB34_1740:
	s_and_b32 vcc_lo, exec_lo, s6
	s_cbranch_vccz .LBB34_1750
; %bb.1741:
	v_lshlrev_b32_e32 v6, 16, v1
	s_wait_xcnt 0x0
	v_and_b32_e32 v4, 0xffff, v1
	s_mov_b32 s6, exec_lo
                                        ; implicit-def: $vgpr5
	s_delay_alu instid0(VALU_DEP_2) | instskip(NEXT) | instid1(VALU_DEP_1)
	v_and_b32_e32 v7, 0x7fffffff, v6
	v_cmpx_gt_u32_e32 0x43f00000, v7
	s_xor_b32 s6, exec_lo, s6
	s_cbranch_execz .LBB34_1747
; %bb.1742:
	s_mov_b32 s7, exec_lo
                                        ; implicit-def: $vgpr5
	v_cmpx_lt_u32_e32 0x3c7fffff, v7
	s_xor_b32 s7, exec_lo, s7
; %bb.1743:
	v_bfe_u32 v5, v4, 4, 1
	s_delay_alu instid0(VALU_DEP_1) | instskip(NEXT) | instid1(VALU_DEP_1)
	v_add3_u32 v5, v6, v5, 0x407ffff
	v_and_b32_e32 v6, 0xff00000, v5
	v_lshrrev_b32_e32 v5, 20, v5
	s_delay_alu instid0(VALU_DEP_2) | instskip(NEXT) | instid1(VALU_DEP_2)
	v_cmp_ne_u32_e32 vcc_lo, 0x7f00000, v6
                                        ; implicit-def: $vgpr6
	v_cndmask_b32_e32 v5, 0x7e, v5, vcc_lo
; %bb.1744:
	s_and_not1_saveexec_b32 s7, s7
; %bb.1745:
	v_add_f32_e64 v5, 0x46800000, |v6|
; %bb.1746:
	s_or_b32 exec_lo, exec_lo, s7
                                        ; implicit-def: $vgpr7
.LBB34_1747:
	s_and_not1_saveexec_b32 s6, s6
; %bb.1748:
	v_mov_b32_e32 v5, 0x7f
	v_cmp_lt_u32_e32 vcc_lo, 0x7f800000, v7
	s_delay_alu instid0(VALU_DEP_2)
	v_cndmask_b32_e32 v5, 0x7e, v5, vcc_lo
; %bb.1749:
	s_or_b32 exec_lo, exec_lo, s6
	v_lshrrev_b32_e32 v4, 8, v4
	s_delay_alu instid0(VALU_DEP_1)
	v_and_or_b32 v4, 0x80, v4, v5
	global_store_b8 v[2:3], v4, off
.LBB34_1750:
	s_mov_b32 s6, 0
.LBB34_1751:
	s_delay_alu instid0(SALU_CYCLE_1)
	s_and_not1_b32 vcc_lo, exec_lo, s6
	s_cbranch_vccnz .LBB34_1761
; %bb.1752:
	v_lshlrev_b32_e32 v6, 16, v1
	s_wait_xcnt 0x0
	v_and_b32_e32 v4, 0xffff, v1
	s_mov_b32 s6, exec_lo
                                        ; implicit-def: $vgpr5
	s_delay_alu instid0(VALU_DEP_2) | instskip(NEXT) | instid1(VALU_DEP_1)
	v_and_b32_e32 v7, 0x7fffffff, v6
	v_cmpx_gt_u32_e32 0x47800000, v7
	s_xor_b32 s6, exec_lo, s6
	s_cbranch_execz .LBB34_1758
; %bb.1753:
	s_mov_b32 s7, exec_lo
                                        ; implicit-def: $vgpr5
	v_cmpx_lt_u32_e32 0x387fffff, v7
	s_xor_b32 s7, exec_lo, s7
; %bb.1754:
	v_bfe_u32 v5, v4, 5, 1
	s_delay_alu instid0(VALU_DEP_1) | instskip(NEXT) | instid1(VALU_DEP_1)
	v_add3_u32 v5, v6, v5, 0x80fffff
                                        ; implicit-def: $vgpr6
	v_lshrrev_b32_e32 v5, 21, v5
; %bb.1755:
	s_and_not1_saveexec_b32 s7, s7
; %bb.1756:
	v_add_f32_e64 v5, 0x43000000, |v6|
; %bb.1757:
	s_or_b32 exec_lo, exec_lo, s7
                                        ; implicit-def: $vgpr7
.LBB34_1758:
	s_and_not1_saveexec_b32 s6, s6
; %bb.1759:
	v_mov_b32_e32 v5, 0x7f
	v_cmp_lt_u32_e32 vcc_lo, 0x7f800000, v7
	s_delay_alu instid0(VALU_DEP_2)
	v_cndmask_b32_e32 v5, 0x7c, v5, vcc_lo
; %bb.1760:
	s_or_b32 exec_lo, exec_lo, s6
	v_lshrrev_b32_e32 v4, 8, v4
	s_delay_alu instid0(VALU_DEP_1)
	v_and_or_b32 v4, 0x80, v4, v5
	global_store_b8 v[2:3], v4, off
.LBB34_1761:
	s_mov_b32 s6, 0
	s_mov_b32 s7, -1
.LBB34_1762:
	s_and_not1_b32 vcc_lo, exec_lo, s6
	s_mov_b32 s6, 0
	s_cbranch_vccnz .LBB34_1769
; %bb.1763:
	s_cmp_gt_i32 s3, 14
	s_mov_b32 s6, -1
	s_cbranch_scc0 .LBB34_1767
; %bb.1764:
	s_cmp_eq_u32 s3, 15
	s_mov_b32 s0, -1
	s_cbranch_scc0 .LBB34_1766
; %bb.1765:
	s_mov_b32 s0, 0
	s_mov_b32 s7, -1
	global_store_b16 v[2:3], v1, off
.LBB34_1766:
	s_mov_b32 s6, 0
.LBB34_1767:
	s_delay_alu instid0(SALU_CYCLE_1)
	s_and_b32 vcc_lo, exec_lo, s6
	s_mov_b32 s6, 0
	s_cbranch_vccz .LBB34_1769
; %bb.1768:
	s_cmp_lg_u32 s3, 11
	s_mov_b32 s6, -1
	s_cselect_b32 s0, -1, 0
.LBB34_1769:
	s_delay_alu instid0(SALU_CYCLE_1)
	s_and_b32 vcc_lo, exec_lo, s0
	s_cbranch_vccnz .LBB34_2060
; %bb.1770:
	s_and_not1_b32 vcc_lo, exec_lo, s6
	s_cbranch_vccnz .LBB34_1772
.LBB34_1771:
	s_wait_xcnt 0x0
	v_and_b32_e32 v4, 0x7fff, v1
	s_mov_b32 s7, -1
	s_delay_alu instid0(VALU_DEP_1)
	v_cmp_ne_u16_e32 vcc_lo, 0, v4
	v_cndmask_b32_e64 v4, 0, 1, vcc_lo
	global_store_b8 v[2:3], v4, off
.LBB34_1772:
.LBB34_1773:
	s_and_not1_b32 vcc_lo, exec_lo, s7
	s_cbranch_vccz .LBB34_1813
	s_branch .LBB34_2007
.LBB34_1774:
	s_and_b32 vcc_lo, exec_lo, s0
	s_cbranch_vccz .LBB34_1773
; %bb.1775:
	s_and_b32 s0, 0xffff, s1
	s_mov_b32 s3, -1
	s_cmp_lt_i32 s0, 5
	s_cbranch_scc1 .LBB34_1796
; %bb.1776:
	s_cmp_lt_i32 s0, 8
	s_cbranch_scc1 .LBB34_1786
; %bb.1777:
	;; [unrolled: 3-line block ×3, first 2 shown]
	s_cmp_gt_i32 s0, 9
	s_cbranch_scc0 .LBB34_1780
; %bb.1779:
	s_wait_xcnt 0x0
	v_dual_lshlrev_b32 v4, 16, v1 :: v_dual_mov_b32 v6, 0
	s_mov_b32 s3, 0
	s_delay_alu instid0(VALU_DEP_1) | instskip(NEXT) | instid1(VALU_DEP_2)
	v_cvt_f64_f32_e32 v[4:5], v4
	v_mov_b32_e32 v7, v6
	global_store_b128 v[2:3], v[4:7], off
.LBB34_1780:
	s_and_not1_b32 vcc_lo, exec_lo, s3
	s_cbranch_vccnz .LBB34_1782
; %bb.1781:
	s_wait_xcnt 0x0
	v_dual_mov_b32 v5, 0 :: v_dual_lshlrev_b32 v4, 16, v1
	global_store_b64 v[2:3], v[4:5], off
.LBB34_1782:
	s_mov_b32 s3, 0
.LBB34_1783:
	s_delay_alu instid0(SALU_CYCLE_1)
	s_and_not1_b32 vcc_lo, exec_lo, s3
	s_cbranch_vccnz .LBB34_1785
; %bb.1784:
	s_wait_xcnt 0x0
	v_lshlrev_b32_e32 v4, 16, v1
	s_delay_alu instid0(VALU_DEP_1) | instskip(NEXT) | instid1(VALU_DEP_1)
	v_cvt_f16_f32_e32 v4, v4
	v_and_b32_e32 v4, 0xffff, v4
	global_store_b32 v[2:3], v4, off
.LBB34_1785:
	s_mov_b32 s3, 0
.LBB34_1786:
	s_delay_alu instid0(SALU_CYCLE_1)
	s_and_not1_b32 vcc_lo, exec_lo, s3
	s_cbranch_vccnz .LBB34_1795
; %bb.1787:
	s_cmp_lt_i32 s0, 6
	s_mov_b32 s3, -1
	s_cbranch_scc1 .LBB34_1793
; %bb.1788:
	s_cmp_gt_i32 s0, 6
	s_cbranch_scc0 .LBB34_1790
; %bb.1789:
	s_wait_xcnt 0x0
	v_lshlrev_b32_e32 v4, 16, v1
	s_mov_b32 s3, 0
	s_delay_alu instid0(VALU_DEP_1)
	v_cvt_f64_f32_e32 v[4:5], v4
	global_store_b64 v[2:3], v[4:5], off
.LBB34_1790:
	s_and_not1_b32 vcc_lo, exec_lo, s3
	s_cbranch_vccnz .LBB34_1792
; %bb.1791:
	s_wait_xcnt 0x0
	v_lshlrev_b32_e32 v4, 16, v1
	global_store_b32 v[2:3], v4, off
.LBB34_1792:
	s_mov_b32 s3, 0
.LBB34_1793:
	s_delay_alu instid0(SALU_CYCLE_1)
	s_and_not1_b32 vcc_lo, exec_lo, s3
	s_cbranch_vccnz .LBB34_1795
; %bb.1794:
	s_wait_xcnt 0x0
	v_lshlrev_b32_e32 v4, 16, v1
	s_delay_alu instid0(VALU_DEP_1)
	v_cvt_f16_f32_e32 v4, v4
	global_store_b16 v[2:3], v4, off
.LBB34_1795:
	s_mov_b32 s3, 0
.LBB34_1796:
	s_delay_alu instid0(SALU_CYCLE_1)
	s_and_not1_b32 vcc_lo, exec_lo, s3
	s_cbranch_vccnz .LBB34_1812
; %bb.1797:
	s_cmp_lt_i32 s0, 2
	s_mov_b32 s3, -1
	s_cbranch_scc1 .LBB34_1807
; %bb.1798:
	s_cmp_lt_i32 s0, 3
	s_cbranch_scc1 .LBB34_1804
; %bb.1799:
	s_cmp_gt_i32 s0, 3
	s_cbranch_scc0 .LBB34_1801
; %bb.1800:
	s_wait_xcnt 0x0
	v_lshlrev_b32_e32 v4, 16, v1
	s_mov_b32 s3, 0
	s_delay_alu instid0(VALU_DEP_1) | instskip(NEXT) | instid1(VALU_DEP_1)
	v_trunc_f32_e32 v4, v4
	v_mul_f32_e64 v5, 0x2f800000, |v4|
	s_delay_alu instid0(VALU_DEP_1) | instskip(NEXT) | instid1(VALU_DEP_1)
	v_floor_f32_e32 v5, v5
	v_fma_f32 v6, 0xcf800000, v5, |v4|
	v_ashrrev_i32_e32 v4, 31, v4
	v_cvt_u32_f32_e32 v7, v5
	s_delay_alu instid0(VALU_DEP_3) | instskip(NEXT) | instid1(VALU_DEP_2)
	v_cvt_u32_f32_e32 v6, v6
	v_dual_mov_b32 v5, v4 :: v_dual_bitop2_b32 v7, v7, v4 bitop3:0x14
	s_delay_alu instid0(VALU_DEP_2) | instskip(NEXT) | instid1(VALU_DEP_1)
	v_xor_b32_e32 v6, v6, v4
	v_sub_nc_u64_e32 v[4:5], v[6:7], v[4:5]
	global_store_b64 v[2:3], v[4:5], off
.LBB34_1801:
	s_and_not1_b32 vcc_lo, exec_lo, s3
	s_cbranch_vccnz .LBB34_1803
; %bb.1802:
	s_wait_xcnt 0x0
	v_lshlrev_b32_e32 v4, 16, v1
	s_delay_alu instid0(VALU_DEP_1)
	v_cvt_i32_f32_e32 v4, v4
	global_store_b32 v[2:3], v4, off
.LBB34_1803:
	s_mov_b32 s3, 0
.LBB34_1804:
	s_delay_alu instid0(SALU_CYCLE_1)
	s_and_not1_b32 vcc_lo, exec_lo, s3
	s_cbranch_vccnz .LBB34_1806
; %bb.1805:
	s_wait_xcnt 0x0
	v_lshlrev_b32_e32 v4, 16, v1
	s_delay_alu instid0(VALU_DEP_1)
	v_cvt_i32_f32_e32 v4, v4
	global_store_b16 v[2:3], v4, off
.LBB34_1806:
	s_mov_b32 s3, 0
.LBB34_1807:
	s_delay_alu instid0(SALU_CYCLE_1)
	s_and_not1_b32 vcc_lo, exec_lo, s3
	s_cbranch_vccnz .LBB34_1812
; %bb.1808:
	s_wait_xcnt 0x0
	v_lshlrev_b32_e32 v1, 16, v1
	s_cmp_gt_i32 s0, 0
	s_mov_b32 s0, -1
	s_cbranch_scc0 .LBB34_1810
; %bb.1809:
	s_delay_alu instid0(VALU_DEP_1)
	v_cvt_i32_f32_e32 v4, v1
	s_mov_b32 s0, 0
	global_store_b8 v[2:3], v4, off
.LBB34_1810:
	s_and_not1_b32 vcc_lo, exec_lo, s0
	s_cbranch_vccnz .LBB34_1812
; %bb.1811:
	v_trunc_f32_e32 v1, v1
	s_wait_xcnt 0x0
	s_delay_alu instid0(VALU_DEP_1) | instskip(NEXT) | instid1(VALU_DEP_1)
	v_mul_f32_e64 v4, 0x2f800000, |v1|
	v_floor_f32_e32 v4, v4
	s_delay_alu instid0(VALU_DEP_1) | instskip(SKIP_1) | instid1(VALU_DEP_2)
	v_fma_f32 v4, 0xcf800000, v4, |v1|
	v_ashrrev_i32_e32 v1, 31, v1
	v_cvt_u32_f32_e32 v4, v4
	s_delay_alu instid0(VALU_DEP_1) | instskip(NEXT) | instid1(VALU_DEP_1)
	v_xor_b32_e32 v4, v4, v1
	v_sub_nc_u32_e32 v1, v4, v1
	global_store_b8 v[2:3], v1, off
.LBB34_1812:
.LBB34_1813:
	s_wait_xcnt 0x0
	v_dual_mul_f32 v1, v15, v15 :: v_dual_bitop2_b32 v4, 1, v16 bitop3:0x40
	s_mov_b32 s0, 0xb94c1982
	v_add_nc_u32_e32 v0, s2, v0
	s_mov_b32 s3, 0x37d75334
	s_delay_alu instid0(VALU_DEP_2)
	v_fmaak_f32 v2, s0, v1, 0x3c0881c4
	v_cmp_eq_u32_e32 vcc_lo, 0, v4
	s_mov_b32 s7, 0
	s_cmp_lt_i32 s1, 11
	s_mov_b32 s0, -1
	v_fmaak_f32 v2, v1, v2, 0xbe2aaa9d
	s_delay_alu instid0(VALU_DEP_1) | instskip(NEXT) | instid1(VALU_DEP_1)
	v_dual_fmaak_f32 v3, s3, v1, 0xbab64f3b :: v_dual_mul_f32 v2, v1, v2
	v_fmaak_f32 v3, v1, v3, 0x3d2aabf7
	s_delay_alu instid0(VALU_DEP_2) | instskip(NEXT) | instid1(VALU_DEP_2)
	v_dual_fmac_f32 v15, v15, v2 :: v_dual_lshlrev_b32 v2, 30, v16
	v_fmaak_f32 v3, v1, v3, 0xbf000004
	s_delay_alu instid0(VALU_DEP_2) | instskip(NEXT) | instid1(VALU_DEP_2)
	v_bitop3_b32 v2, v14, v2, 0x80000000 bitop3:0x78
	v_fma_f32 v1, v1, v3, 1.0
	s_delay_alu instid0(VALU_DEP_1) | instskip(SKIP_1) | instid1(VALU_DEP_2)
	v_cndmask_b32_e32 v1, v1, v15, vcc_lo
	v_cmp_class_f32_e64 vcc_lo, v13, 0x1f8
	v_xor3_b32 v1, v2, v1, v13
	s_delay_alu instid0(VALU_DEP_1) | instskip(NEXT) | instid1(VALU_DEP_1)
	v_cndmask_b32_e32 v4, 0x7fc00000, v1, vcc_lo
	v_bfe_u32 v1, v4, 16, 1
	v_cmp_o_f32_e32 vcc_lo, v4, v4
	s_delay_alu instid0(VALU_DEP_2) | instskip(NEXT) | instid1(VALU_DEP_1)
	v_add3_u32 v2, v4, v1, 0x7fff
	v_dual_lshrrev_b32 v5, 16, v2 :: v_dual_ashrrev_i32 v1, 31, v0
	s_delay_alu instid0(VALU_DEP_1) | instskip(NEXT) | instid1(VALU_DEP_2)
	v_add_nc_u64_e32 v[2:3], s[4:5], v[0:1]
	v_cndmask_b32_e32 v1, 0x7fc0, v5, vcc_lo
	s_cbranch_scc1 .LBB34_1968
; %bb.1814:
	s_and_b32 s3, 0xffff, s1
	s_mov_b32 s8, -1
	s_mov_b32 s6, 0
	s_cmp_gt_i32 s3, 25
	s_mov_b32 s0, 0
	s_cbranch_scc0 .LBB34_1847
; %bb.1815:
	s_cmp_gt_i32 s3, 28
	s_cbranch_scc0 .LBB34_1830
; %bb.1816:
	s_cmp_gt_i32 s3, 43
	;; [unrolled: 3-line block ×3, first 2 shown]
	s_cbranch_scc0 .LBB34_1820
; %bb.1818:
	s_mov_b32 s0, -1
	s_mov_b32 s8, 0
	s_cmp_eq_u32 s3, 46
	s_cbranch_scc0 .LBB34_1820
; %bb.1819:
	v_and_b32_e32 v4, 0xffff, v1
	s_mov_b32 s0, 0
	s_mov_b32 s7, -1
	global_store_b32 v[2:3], v4, off
.LBB34_1820:
	s_and_b32 vcc_lo, exec_lo, s8
	s_cbranch_vccz .LBB34_1825
; %bb.1821:
	s_cmp_eq_u32 s3, 44
	s_mov_b32 s0, -1
	s_cbranch_scc0 .LBB34_1825
; %bb.1822:
	s_wait_xcnt 0x0
	v_and_b32_e32 v4, 0xffff, v1
	v_mov_b32_e32 v5, 0xff
	s_mov_b32 s7, exec_lo
	s_delay_alu instid0(VALU_DEP_2) | instskip(NEXT) | instid1(VALU_DEP_1)
	v_bfe_u32 v6, v4, 7, 8
	v_cmpx_ne_u32_e32 0xff, v6
	s_cbranch_execz .LBB34_1824
; %bb.1823:
	v_dual_lshlrev_b32 v5, 16, v4 :: v_dual_bitop2_b32 v7, 64, v4 bitop3:0x40
	v_lshrrev_b32_e32 v4, 7, v4
	s_delay_alu instid0(VALU_DEP_2) | instskip(NEXT) | instid1(VALU_DEP_3)
	v_and_or_b32 v5, 0x3f0000, v5, v6
	v_cmp_ne_u32_e32 vcc_lo, 0, v7
	s_delay_alu instid0(VALU_DEP_2) | instskip(SKIP_1) | instid1(SALU_CYCLE_1)
	v_cmp_ne_u32_e64 s0, 0, v5
	s_and_b32 s0, vcc_lo, s0
	v_cndmask_b32_e64 v5, 0, 1, s0
	s_delay_alu instid0(VALU_DEP_1)
	v_add_nc_u32_e32 v5, v4, v5
.LBB34_1824:
	s_or_b32 exec_lo, exec_lo, s7
	s_mov_b32 s0, 0
	s_mov_b32 s7, -1
	global_store_b8 v[2:3], v5, off
.LBB34_1825:
	s_mov_b32 s8, 0
.LBB34_1826:
	s_delay_alu instid0(SALU_CYCLE_1)
	s_and_b32 vcc_lo, exec_lo, s8
	s_cbranch_vccz .LBB34_1829
; %bb.1827:
	s_cmp_eq_u32 s3, 29
	s_mov_b32 s0, -1
	s_cbranch_scc0 .LBB34_1829
; %bb.1828:
	s_wait_xcnt 0x0
	v_lshlrev_b32_e32 v4, 16, v1
	s_mov_b32 s0, 0
	s_mov_b32 s7, -1
	s_delay_alu instid0(VALU_DEP_1) | instskip(NEXT) | instid1(VALU_DEP_1)
	v_trunc_f32_e32 v4, v4
	v_mul_f32_e32 v5, 0x2f800000, v4
	s_delay_alu instid0(VALU_DEP_1) | instskip(NEXT) | instid1(VALU_DEP_1)
	v_floor_f32_e32 v5, v5
	v_fmamk_f32 v4, v5, 0xcf800000, v4
	v_cvt_u32_f32_e32 v5, v5
	s_delay_alu instid0(VALU_DEP_2)
	v_cvt_u32_f32_e32 v4, v4
	global_store_b64 v[2:3], v[4:5], off
.LBB34_1829:
	s_mov_b32 s8, 0
.LBB34_1830:
	s_delay_alu instid0(SALU_CYCLE_1)
	s_and_b32 vcc_lo, exec_lo, s8
	s_cbranch_vccz .LBB34_1846
; %bb.1831:
	s_cmp_lt_i32 s3, 27
	s_mov_b32 s7, -1
	s_cbranch_scc1 .LBB34_1837
; %bb.1832:
	s_cmp_gt_i32 s3, 27
	s_cbranch_scc0 .LBB34_1834
; %bb.1833:
	s_wait_xcnt 0x0
	v_lshlrev_b32_e32 v4, 16, v1
	s_mov_b32 s7, 0
	s_delay_alu instid0(VALU_DEP_1)
	v_cvt_u32_f32_e32 v4, v4
	global_store_b32 v[2:3], v4, off
.LBB34_1834:
	s_and_not1_b32 vcc_lo, exec_lo, s7
	s_cbranch_vccnz .LBB34_1836
; %bb.1835:
	s_wait_xcnt 0x0
	v_lshlrev_b32_e32 v4, 16, v1
	s_delay_alu instid0(VALU_DEP_1)
	v_cvt_u32_f32_e32 v4, v4
	global_store_b16 v[2:3], v4, off
.LBB34_1836:
	s_mov_b32 s7, 0
.LBB34_1837:
	s_delay_alu instid0(SALU_CYCLE_1)
	s_and_not1_b32 vcc_lo, exec_lo, s7
	s_cbranch_vccnz .LBB34_1845
; %bb.1838:
	v_dual_mov_b32 v7, 0x80 :: v_dual_lshlrev_b32 v6, 16, v1
	s_mov_b32 s7, exec_lo
	s_wait_xcnt 0x0
	s_delay_alu instid0(VALU_DEP_1) | instskip(NEXT) | instid1(VALU_DEP_1)
	v_and_b32_e32 v5, 0x7fffffff, v6
	v_cmpx_gt_u32_e32 0x43800000, v5
	s_cbranch_execz .LBB34_1844
; %bb.1839:
	v_and_b32_e32 v4, 0xffff, v1
	v_cmp_lt_u32_e32 vcc_lo, 0x3bffffff, v5
	s_mov_b32 s8, 0
                                        ; implicit-def: $vgpr5
	s_and_saveexec_b32 s10, vcc_lo
	s_delay_alu instid0(SALU_CYCLE_1)
	s_xor_b32 s10, exec_lo, s10
	s_cbranch_execz .LBB34_2063
; %bb.1840:
	v_bfe_u32 v5, v4, 4, 1
	s_mov_b32 s8, exec_lo
	s_delay_alu instid0(VALU_DEP_1) | instskip(NEXT) | instid1(VALU_DEP_1)
	v_add3_u32 v5, v6, v5, 0x487ffff
                                        ; implicit-def: $vgpr6
	v_lshrrev_b32_e32 v5, 20, v5
	s_and_not1_saveexec_b32 s10, s10
	s_cbranch_execnz .LBB34_2064
.LBB34_1841:
	s_or_b32 exec_lo, exec_lo, s10
	v_mov_b32_e32 v7, 0
	s_and_saveexec_b32 s10, s8
.LBB34_1842:
	v_lshrrev_b32_e32 v4, 8, v4
	s_delay_alu instid0(VALU_DEP_1)
	v_and_or_b32 v7, 0x80, v4, v5
.LBB34_1843:
	s_or_b32 exec_lo, exec_lo, s10
.LBB34_1844:
	s_delay_alu instid0(SALU_CYCLE_1)
	s_or_b32 exec_lo, exec_lo, s7
	global_store_b8 v[2:3], v7, off
.LBB34_1845:
	s_mov_b32 s7, -1
.LBB34_1846:
	s_mov_b32 s8, 0
.LBB34_1847:
	s_delay_alu instid0(SALU_CYCLE_1)
	s_and_b32 vcc_lo, exec_lo, s8
	s_cbranch_vccz .LBB34_1887
; %bb.1848:
	s_cmp_gt_i32 s3, 22
	s_mov_b32 s6, -1
	s_cbranch_scc0 .LBB34_1880
; %bb.1849:
	s_cmp_lt_i32 s3, 24
	s_cbranch_scc1 .LBB34_1869
; %bb.1850:
	s_cmp_gt_i32 s3, 24
	s_cbranch_scc0 .LBB34_1858
; %bb.1851:
	s_wait_xcnt 0x0
	v_dual_mov_b32 v7, 0x80 :: v_dual_lshlrev_b32 v6, 16, v1
	s_mov_b32 s6, exec_lo
	s_delay_alu instid0(VALU_DEP_1) | instskip(NEXT) | instid1(VALU_DEP_1)
	v_and_b32_e32 v5, 0x7fffffff, v6
	v_cmpx_gt_u32_e32 0x47800000, v5
	s_cbranch_execz .LBB34_1857
; %bb.1852:
	v_and_b32_e32 v4, 0xffff, v1
	v_cmp_lt_u32_e32 vcc_lo, 0x37ffffff, v5
	s_mov_b32 s7, 0
                                        ; implicit-def: $vgpr5
	s_and_saveexec_b32 s8, vcc_lo
	s_delay_alu instid0(SALU_CYCLE_1)
	s_xor_b32 s8, exec_lo, s8
	s_cbranch_execz .LBB34_2066
; %bb.1853:
	v_bfe_u32 v5, v4, 5, 1
	s_mov_b32 s7, exec_lo
	s_delay_alu instid0(VALU_DEP_1) | instskip(NEXT) | instid1(VALU_DEP_1)
	v_add3_u32 v5, v6, v5, 0x88fffff
                                        ; implicit-def: $vgpr6
	v_lshrrev_b32_e32 v5, 21, v5
	s_and_not1_saveexec_b32 s8, s8
	s_cbranch_execnz .LBB34_2067
.LBB34_1854:
	s_or_b32 exec_lo, exec_lo, s8
	v_mov_b32_e32 v7, 0
	s_and_saveexec_b32 s8, s7
.LBB34_1855:
	v_lshrrev_b32_e32 v4, 8, v4
	s_delay_alu instid0(VALU_DEP_1)
	v_and_or_b32 v7, 0x80, v4, v5
.LBB34_1856:
	s_or_b32 exec_lo, exec_lo, s8
.LBB34_1857:
	s_delay_alu instid0(SALU_CYCLE_1)
	s_or_b32 exec_lo, exec_lo, s6
	s_mov_b32 s6, 0
	global_store_b8 v[2:3], v7, off
.LBB34_1858:
	s_and_b32 vcc_lo, exec_lo, s6
	s_cbranch_vccz .LBB34_1868
; %bb.1859:
	v_lshlrev_b32_e32 v6, 16, v1
	s_wait_xcnt 0x0
	v_and_b32_e32 v4, 0xffff, v1
	s_mov_b32 s6, exec_lo
                                        ; implicit-def: $vgpr5
	s_delay_alu instid0(VALU_DEP_2) | instskip(NEXT) | instid1(VALU_DEP_1)
	v_and_b32_e32 v7, 0x7fffffff, v6
	v_cmpx_gt_u32_e32 0x43f00000, v7
	s_xor_b32 s6, exec_lo, s6
	s_cbranch_execz .LBB34_1865
; %bb.1860:
	s_mov_b32 s7, exec_lo
                                        ; implicit-def: $vgpr5
	v_cmpx_lt_u32_e32 0x3c7fffff, v7
	s_xor_b32 s7, exec_lo, s7
; %bb.1861:
	v_bfe_u32 v5, v4, 4, 1
	s_delay_alu instid0(VALU_DEP_1) | instskip(NEXT) | instid1(VALU_DEP_1)
	v_add3_u32 v5, v6, v5, 0x407ffff
	v_and_b32_e32 v6, 0xff00000, v5
	v_lshrrev_b32_e32 v5, 20, v5
	s_delay_alu instid0(VALU_DEP_2) | instskip(NEXT) | instid1(VALU_DEP_2)
	v_cmp_ne_u32_e32 vcc_lo, 0x7f00000, v6
                                        ; implicit-def: $vgpr6
	v_cndmask_b32_e32 v5, 0x7e, v5, vcc_lo
; %bb.1862:
	s_and_not1_saveexec_b32 s7, s7
; %bb.1863:
	v_add_f32_e64 v5, 0x46800000, |v6|
; %bb.1864:
	s_or_b32 exec_lo, exec_lo, s7
                                        ; implicit-def: $vgpr7
.LBB34_1865:
	s_and_not1_saveexec_b32 s6, s6
; %bb.1866:
	v_mov_b32_e32 v5, 0x7f
	v_cmp_lt_u32_e32 vcc_lo, 0x7f800000, v7
	s_delay_alu instid0(VALU_DEP_2)
	v_cndmask_b32_e32 v5, 0x7e, v5, vcc_lo
; %bb.1867:
	s_or_b32 exec_lo, exec_lo, s6
	v_lshrrev_b32_e32 v4, 8, v4
	s_delay_alu instid0(VALU_DEP_1)
	v_and_or_b32 v4, 0x80, v4, v5
	global_store_b8 v[2:3], v4, off
.LBB34_1868:
	s_mov_b32 s6, 0
.LBB34_1869:
	s_delay_alu instid0(SALU_CYCLE_1)
	s_and_not1_b32 vcc_lo, exec_lo, s6
	s_cbranch_vccnz .LBB34_1879
; %bb.1870:
	v_lshlrev_b32_e32 v6, 16, v1
	s_wait_xcnt 0x0
	v_and_b32_e32 v4, 0xffff, v1
	s_mov_b32 s6, exec_lo
                                        ; implicit-def: $vgpr5
	s_delay_alu instid0(VALU_DEP_2) | instskip(NEXT) | instid1(VALU_DEP_1)
	v_and_b32_e32 v7, 0x7fffffff, v6
	v_cmpx_gt_u32_e32 0x47800000, v7
	s_xor_b32 s6, exec_lo, s6
	s_cbranch_execz .LBB34_1876
; %bb.1871:
	s_mov_b32 s7, exec_lo
                                        ; implicit-def: $vgpr5
	v_cmpx_lt_u32_e32 0x387fffff, v7
	s_xor_b32 s7, exec_lo, s7
; %bb.1872:
	v_bfe_u32 v5, v4, 5, 1
	s_delay_alu instid0(VALU_DEP_1) | instskip(NEXT) | instid1(VALU_DEP_1)
	v_add3_u32 v5, v6, v5, 0x80fffff
                                        ; implicit-def: $vgpr6
	v_lshrrev_b32_e32 v5, 21, v5
; %bb.1873:
	s_and_not1_saveexec_b32 s7, s7
; %bb.1874:
	v_add_f32_e64 v5, 0x43000000, |v6|
; %bb.1875:
	s_or_b32 exec_lo, exec_lo, s7
                                        ; implicit-def: $vgpr7
.LBB34_1876:
	s_and_not1_saveexec_b32 s6, s6
; %bb.1877:
	v_mov_b32_e32 v5, 0x7f
	v_cmp_lt_u32_e32 vcc_lo, 0x7f800000, v7
	s_delay_alu instid0(VALU_DEP_2)
	v_cndmask_b32_e32 v5, 0x7c, v5, vcc_lo
; %bb.1878:
	s_or_b32 exec_lo, exec_lo, s6
	v_lshrrev_b32_e32 v4, 8, v4
	s_delay_alu instid0(VALU_DEP_1)
	v_and_or_b32 v4, 0x80, v4, v5
	global_store_b8 v[2:3], v4, off
.LBB34_1879:
	s_mov_b32 s6, 0
	s_mov_b32 s7, -1
.LBB34_1880:
	s_and_not1_b32 vcc_lo, exec_lo, s6
	s_mov_b32 s6, 0
	s_cbranch_vccnz .LBB34_1887
; %bb.1881:
	s_cmp_gt_i32 s3, 14
	s_mov_b32 s6, -1
	s_cbranch_scc0 .LBB34_1885
; %bb.1882:
	s_cmp_eq_u32 s3, 15
	s_mov_b32 s0, -1
	s_cbranch_scc0 .LBB34_1884
; %bb.1883:
	s_mov_b32 s0, 0
	s_mov_b32 s7, -1
	global_store_b16 v[2:3], v1, off
.LBB34_1884:
	s_mov_b32 s6, 0
.LBB34_1885:
	s_delay_alu instid0(SALU_CYCLE_1)
	s_and_b32 vcc_lo, exec_lo, s6
	s_mov_b32 s6, 0
	s_cbranch_vccz .LBB34_1887
; %bb.1886:
	s_cmp_lg_u32 s3, 11
	s_mov_b32 s6, -1
	s_cselect_b32 s0, -1, 0
.LBB34_1887:
	s_delay_alu instid0(SALU_CYCLE_1)
	s_and_b32 vcc_lo, exec_lo, s0
	s_cbranch_vccnz .LBB34_2065
; %bb.1888:
	s_and_not1_b32 vcc_lo, exec_lo, s6
	s_cbranch_vccnz .LBB34_1890
.LBB34_1889:
	s_wait_xcnt 0x0
	v_and_b32_e32 v4, 0x7fff, v1
	s_mov_b32 s7, -1
	s_delay_alu instid0(VALU_DEP_1)
	v_cmp_ne_u16_e32 vcc_lo, 0, v4
	v_cndmask_b32_e64 v4, 0, 1, vcc_lo
	global_store_b8 v[2:3], v4, off
.LBB34_1890:
.LBB34_1891:
	s_and_not1_b32 vcc_lo, exec_lo, s7
	s_cbranch_vccnz .LBB34_2007
.LBB34_1892:
	s_wait_xcnt 0x0
	v_dual_mul_f32 v1, v19, v19 :: v_dual_bitop2_b32 v4, 1, v20 bitop3:0x40
	s_mov_b32 s0, 0xb94c1982
	v_add_nc_u32_e32 v0, s2, v0
	s_mov_b32 s3, 0x37d75334
	s_delay_alu instid0(VALU_DEP_2) | instskip(SKIP_3) | instid1(VALU_DEP_2)
	v_fmaak_f32 v2, s0, v1, 0x3c0881c4
	v_cmp_eq_u32_e32 vcc_lo, 0, v4
	s_cmp_lt_i32 s1, 11
	s_mov_b32 s0, -1
	v_fmaak_f32 v2, v1, v2, 0xbe2aaa9d
	v_fmaak_f32 v3, s3, v1, 0xbab64f3b
	s_mov_b32 s3, 0
	s_delay_alu instid0(VALU_DEP_1) | instskip(NEXT) | instid1(VALU_DEP_1)
	v_dual_mul_f32 v2, v1, v2 :: v_dual_fmaak_f32 v3, v1, v3, 0x3d2aabf7
	v_dual_fmac_f32 v19, v19, v2 :: v_dual_lshlrev_b32 v2, 30, v20
	s_delay_alu instid0(VALU_DEP_2) | instskip(NEXT) | instid1(VALU_DEP_2)
	v_fmaak_f32 v3, v1, v3, 0xbf000004
	v_bitop3_b32 v2, v18, v2, 0x80000000 bitop3:0x78
	s_delay_alu instid0(VALU_DEP_2) | instskip(NEXT) | instid1(VALU_DEP_1)
	v_fma_f32 v1, v1, v3, 1.0
	v_cndmask_b32_e32 v1, v1, v19, vcc_lo
	v_cmp_class_f32_e64 vcc_lo, v17, 0x1f8
	s_delay_alu instid0(VALU_DEP_2) | instskip(NEXT) | instid1(VALU_DEP_1)
	v_xor3_b32 v1, v2, v1, v17
	v_cndmask_b32_e32 v2, 0x7fc00000, v1, vcc_lo
	s_delay_alu instid0(VALU_DEP_1) | instskip(SKIP_1) | instid1(VALU_DEP_2)
	v_bfe_u32 v1, v2, 16, 1
	v_cmp_o_f32_e32 vcc_lo, v2, v2
	v_add3_u32 v3, v2, v1, 0x7fff
	s_delay_alu instid0(VALU_DEP_1) | instskip(NEXT) | instid1(VALU_DEP_1)
	v_dual_lshrrev_b32 v3, 16, v3 :: v_dual_ashrrev_i32 v1, 31, v0
	v_cndmask_b32_e32 v2, 0x7fc0, v3, vcc_lo
	s_delay_alu instid0(VALU_DEP_2)
	v_add_nc_u64_e32 v[0:1], s[4:5], v[0:1]
	s_cbranch_scc1 .LBB34_2008
; %bb.1893:
	s_and_b32 s2, 0xffff, s1
	s_mov_b32 s4, -1
	s_cmp_gt_i32 s2, 25
	s_mov_b32 s0, 0
	s_cbranch_scc0 .LBB34_1926
; %bb.1894:
	s_cmp_gt_i32 s2, 28
	s_cbranch_scc0 .LBB34_1910
; %bb.1895:
	s_cmp_gt_i32 s2, 43
	;; [unrolled: 3-line block ×3, first 2 shown]
	s_cbranch_scc0 .LBB34_1900
; %bb.1897:
	s_cmp_eq_u32 s2, 46
	s_mov_b32 s0, -1
	s_cbranch_scc0 .LBB34_1899
; %bb.1898:
	v_and_b32_e32 v3, 0xffff, v2
	s_mov_b32 s0, 0
	global_store_b32 v[0:1], v3, off
.LBB34_1899:
	s_mov_b32 s4, 0
.LBB34_1900:
	s_delay_alu instid0(SALU_CYCLE_1)
	s_and_b32 vcc_lo, exec_lo, s4
	s_cbranch_vccz .LBB34_1905
; %bb.1901:
	s_cmp_eq_u32 s2, 44
	s_mov_b32 s0, -1
	s_cbranch_scc0 .LBB34_1905
; %bb.1902:
	s_wait_xcnt 0x0
	v_and_b32_e32 v3, 0xffff, v2
	v_mov_b32_e32 v4, 0xff
	s_mov_b32 s4, exec_lo
	s_delay_alu instid0(VALU_DEP_2) | instskip(NEXT) | instid1(VALU_DEP_1)
	v_bfe_u32 v5, v3, 7, 8
	v_cmpx_ne_u32_e32 0xff, v5
	s_cbranch_execz .LBB34_1904
; %bb.1903:
	v_dual_lshlrev_b32 v4, 16, v3 :: v_dual_bitop2_b32 v6, 64, v3 bitop3:0x40
	v_lshrrev_b32_e32 v3, 7, v3
	s_delay_alu instid0(VALU_DEP_2) | instskip(NEXT) | instid1(VALU_DEP_3)
	v_and_or_b32 v4, 0x3f0000, v4, v5
	v_cmp_ne_u32_e32 vcc_lo, 0, v6
	s_delay_alu instid0(VALU_DEP_2) | instskip(SKIP_1) | instid1(SALU_CYCLE_1)
	v_cmp_ne_u32_e64 s0, 0, v4
	s_and_b32 s0, vcc_lo, s0
	v_cndmask_b32_e64 v4, 0, 1, s0
	s_delay_alu instid0(VALU_DEP_1)
	v_add_nc_u32_e32 v4, v3, v4
.LBB34_1904:
	s_or_b32 exec_lo, exec_lo, s4
	s_mov_b32 s0, 0
	global_store_b8 v[0:1], v4, off
.LBB34_1905:
	s_mov_b32 s4, 0
.LBB34_1906:
	s_delay_alu instid0(SALU_CYCLE_1)
	s_and_b32 vcc_lo, exec_lo, s4
	s_cbranch_vccz .LBB34_1909
; %bb.1907:
	s_cmp_eq_u32 s2, 29
	s_mov_b32 s0, -1
	s_cbranch_scc0 .LBB34_1909
; %bb.1908:
	s_wait_xcnt 0x0
	v_lshlrev_b32_e32 v3, 16, v2
	s_mov_b32 s0, 0
	s_delay_alu instid0(VALU_DEP_1) | instskip(NEXT) | instid1(VALU_DEP_1)
	v_trunc_f32_e32 v3, v3
	v_mul_f32_e32 v4, 0x2f800000, v3
	s_delay_alu instid0(VALU_DEP_1) | instskip(NEXT) | instid1(VALU_DEP_1)
	v_floor_f32_e32 v4, v4
	v_fmamk_f32 v3, v4, 0xcf800000, v3
	v_cvt_u32_f32_e32 v5, v4
	s_delay_alu instid0(VALU_DEP_2)
	v_cvt_u32_f32_e32 v4, v3
	global_store_b64 v[0:1], v[4:5], off
.LBB34_1909:
	s_mov_b32 s4, 0
.LBB34_1910:
	s_delay_alu instid0(SALU_CYCLE_1)
	s_and_b32 vcc_lo, exec_lo, s4
	s_cbranch_vccz .LBB34_1925
; %bb.1911:
	s_cmp_lt_i32 s2, 27
	s_mov_b32 s4, -1
	s_cbranch_scc1 .LBB34_1917
; %bb.1912:
	s_cmp_gt_i32 s2, 27
	s_cbranch_scc0 .LBB34_1914
; %bb.1913:
	s_wait_xcnt 0x0
	v_lshlrev_b32_e32 v3, 16, v2
	s_mov_b32 s4, 0
	s_delay_alu instid0(VALU_DEP_1)
	v_cvt_u32_f32_e32 v3, v3
	global_store_b32 v[0:1], v3, off
.LBB34_1914:
	s_and_not1_b32 vcc_lo, exec_lo, s4
	s_cbranch_vccnz .LBB34_1916
; %bb.1915:
	s_wait_xcnt 0x0
	v_lshlrev_b32_e32 v3, 16, v2
	s_delay_alu instid0(VALU_DEP_1)
	v_cvt_u32_f32_e32 v3, v3
	global_store_b16 v[0:1], v3, off
.LBB34_1916:
	s_mov_b32 s4, 0
.LBB34_1917:
	s_delay_alu instid0(SALU_CYCLE_1)
	s_and_not1_b32 vcc_lo, exec_lo, s4
	s_cbranch_vccnz .LBB34_1925
; %bb.1918:
	s_wait_xcnt 0x0
	v_dual_mov_b32 v6, 0x80 :: v_dual_lshlrev_b32 v5, 16, v2
	s_mov_b32 s4, exec_lo
	s_delay_alu instid0(VALU_DEP_1) | instskip(NEXT) | instid1(VALU_DEP_1)
	v_and_b32_e32 v4, 0x7fffffff, v5
	v_cmpx_gt_u32_e32 0x43800000, v4
	s_cbranch_execz .LBB34_1924
; %bb.1919:
	v_and_b32_e32 v3, 0xffff, v2
	v_cmp_lt_u32_e32 vcc_lo, 0x3bffffff, v4
	s_mov_b32 s5, 0
                                        ; implicit-def: $vgpr4
	s_and_saveexec_b32 s6, vcc_lo
	s_delay_alu instid0(SALU_CYCLE_1)
	s_xor_b32 s6, exec_lo, s6
	s_cbranch_execz .LBB34_2068
; %bb.1920:
	v_bfe_u32 v4, v3, 4, 1
	s_mov_b32 s5, exec_lo
	s_delay_alu instid0(VALU_DEP_1) | instskip(NEXT) | instid1(VALU_DEP_1)
	v_add3_u32 v4, v5, v4, 0x487ffff
                                        ; implicit-def: $vgpr5
	v_lshrrev_b32_e32 v4, 20, v4
	s_and_not1_saveexec_b32 s6, s6
	s_cbranch_execnz .LBB34_2069
.LBB34_1921:
	s_or_b32 exec_lo, exec_lo, s6
	v_mov_b32_e32 v6, 0
	s_and_saveexec_b32 s6, s5
.LBB34_1922:
	v_lshrrev_b32_e32 v3, 8, v3
	s_delay_alu instid0(VALU_DEP_1)
	v_and_or_b32 v6, 0x80, v3, v4
.LBB34_1923:
	s_or_b32 exec_lo, exec_lo, s6
.LBB34_1924:
	s_delay_alu instid0(SALU_CYCLE_1)
	s_or_b32 exec_lo, exec_lo, s4
	global_store_b8 v[0:1], v6, off
.LBB34_1925:
	s_mov_b32 s4, 0
.LBB34_1926:
	s_delay_alu instid0(SALU_CYCLE_1)
	s_and_b32 vcc_lo, exec_lo, s4
	s_cbranch_vccz .LBB34_1966
; %bb.1927:
	s_cmp_gt_i32 s2, 22
	s_mov_b32 s3, -1
	s_cbranch_scc0 .LBB34_1959
; %bb.1928:
	s_cmp_lt_i32 s2, 24
	s_cbranch_scc1 .LBB34_1948
; %bb.1929:
	s_cmp_gt_i32 s2, 24
	s_cbranch_scc0 .LBB34_1937
; %bb.1930:
	s_wait_xcnt 0x0
	v_dual_mov_b32 v6, 0x80 :: v_dual_lshlrev_b32 v5, 16, v2
	s_mov_b32 s3, exec_lo
	s_delay_alu instid0(VALU_DEP_1) | instskip(NEXT) | instid1(VALU_DEP_1)
	v_and_b32_e32 v4, 0x7fffffff, v5
	v_cmpx_gt_u32_e32 0x47800000, v4
	s_cbranch_execz .LBB34_1936
; %bb.1931:
	v_and_b32_e32 v3, 0xffff, v2
	v_cmp_lt_u32_e32 vcc_lo, 0x37ffffff, v4
	s_mov_b32 s4, 0
                                        ; implicit-def: $vgpr4
	s_and_saveexec_b32 s5, vcc_lo
	s_delay_alu instid0(SALU_CYCLE_1)
	s_xor_b32 s5, exec_lo, s5
	s_cbranch_execz .LBB34_2071
; %bb.1932:
	v_bfe_u32 v4, v3, 5, 1
	s_mov_b32 s4, exec_lo
	s_delay_alu instid0(VALU_DEP_1) | instskip(NEXT) | instid1(VALU_DEP_1)
	v_add3_u32 v4, v5, v4, 0x88fffff
                                        ; implicit-def: $vgpr5
	v_lshrrev_b32_e32 v4, 21, v4
	s_and_not1_saveexec_b32 s5, s5
	s_cbranch_execnz .LBB34_2072
.LBB34_1933:
	s_or_b32 exec_lo, exec_lo, s5
	v_mov_b32_e32 v6, 0
	s_and_saveexec_b32 s5, s4
.LBB34_1934:
	v_lshrrev_b32_e32 v3, 8, v3
	s_delay_alu instid0(VALU_DEP_1)
	v_and_or_b32 v6, 0x80, v3, v4
.LBB34_1935:
	s_or_b32 exec_lo, exec_lo, s5
.LBB34_1936:
	s_delay_alu instid0(SALU_CYCLE_1)
	s_or_b32 exec_lo, exec_lo, s3
	s_mov_b32 s3, 0
	global_store_b8 v[0:1], v6, off
.LBB34_1937:
	s_and_b32 vcc_lo, exec_lo, s3
	s_cbranch_vccz .LBB34_1947
; %bb.1938:
	s_wait_xcnt 0x0
	v_lshlrev_b32_e32 v5, 16, v2
	v_and_b32_e32 v3, 0xffff, v2
	s_mov_b32 s3, exec_lo
                                        ; implicit-def: $vgpr4
	s_delay_alu instid0(VALU_DEP_2) | instskip(NEXT) | instid1(VALU_DEP_1)
	v_and_b32_e32 v6, 0x7fffffff, v5
	v_cmpx_gt_u32_e32 0x43f00000, v6
	s_xor_b32 s3, exec_lo, s3
	s_cbranch_execz .LBB34_1944
; %bb.1939:
	s_mov_b32 s4, exec_lo
                                        ; implicit-def: $vgpr4
	v_cmpx_lt_u32_e32 0x3c7fffff, v6
	s_xor_b32 s4, exec_lo, s4
; %bb.1940:
	v_bfe_u32 v4, v3, 4, 1
	s_delay_alu instid0(VALU_DEP_1) | instskip(NEXT) | instid1(VALU_DEP_1)
	v_add3_u32 v4, v5, v4, 0x407ffff
	v_and_b32_e32 v5, 0xff00000, v4
	v_lshrrev_b32_e32 v4, 20, v4
	s_delay_alu instid0(VALU_DEP_2) | instskip(NEXT) | instid1(VALU_DEP_2)
	v_cmp_ne_u32_e32 vcc_lo, 0x7f00000, v5
                                        ; implicit-def: $vgpr5
	v_cndmask_b32_e32 v4, 0x7e, v4, vcc_lo
; %bb.1941:
	s_and_not1_saveexec_b32 s4, s4
; %bb.1942:
	v_add_f32_e64 v4, 0x46800000, |v5|
; %bb.1943:
	s_or_b32 exec_lo, exec_lo, s4
                                        ; implicit-def: $vgpr6
.LBB34_1944:
	s_and_not1_saveexec_b32 s3, s3
; %bb.1945:
	v_mov_b32_e32 v4, 0x7f
	v_cmp_lt_u32_e32 vcc_lo, 0x7f800000, v6
	s_delay_alu instid0(VALU_DEP_2)
	v_cndmask_b32_e32 v4, 0x7e, v4, vcc_lo
; %bb.1946:
	s_or_b32 exec_lo, exec_lo, s3
	v_lshrrev_b32_e32 v3, 8, v3
	s_delay_alu instid0(VALU_DEP_1)
	v_and_or_b32 v3, 0x80, v3, v4
	global_store_b8 v[0:1], v3, off
.LBB34_1947:
	s_mov_b32 s3, 0
.LBB34_1948:
	s_delay_alu instid0(SALU_CYCLE_1)
	s_and_not1_b32 vcc_lo, exec_lo, s3
	s_cbranch_vccnz .LBB34_1958
; %bb.1949:
	s_wait_xcnt 0x0
	v_lshlrev_b32_e32 v5, 16, v2
	v_and_b32_e32 v3, 0xffff, v2
	s_mov_b32 s3, exec_lo
                                        ; implicit-def: $vgpr4
	s_delay_alu instid0(VALU_DEP_2) | instskip(NEXT) | instid1(VALU_DEP_1)
	v_and_b32_e32 v6, 0x7fffffff, v5
	v_cmpx_gt_u32_e32 0x47800000, v6
	s_xor_b32 s3, exec_lo, s3
	s_cbranch_execz .LBB34_1955
; %bb.1950:
	s_mov_b32 s4, exec_lo
                                        ; implicit-def: $vgpr4
	v_cmpx_lt_u32_e32 0x387fffff, v6
	s_xor_b32 s4, exec_lo, s4
; %bb.1951:
	v_bfe_u32 v4, v3, 5, 1
	s_delay_alu instid0(VALU_DEP_1) | instskip(NEXT) | instid1(VALU_DEP_1)
	v_add3_u32 v4, v5, v4, 0x80fffff
                                        ; implicit-def: $vgpr5
	v_lshrrev_b32_e32 v4, 21, v4
; %bb.1952:
	s_and_not1_saveexec_b32 s4, s4
; %bb.1953:
	v_add_f32_e64 v4, 0x43000000, |v5|
; %bb.1954:
	s_or_b32 exec_lo, exec_lo, s4
                                        ; implicit-def: $vgpr6
.LBB34_1955:
	s_and_not1_saveexec_b32 s3, s3
; %bb.1956:
	v_mov_b32_e32 v4, 0x7f
	v_cmp_lt_u32_e32 vcc_lo, 0x7f800000, v6
	s_delay_alu instid0(VALU_DEP_2)
	v_cndmask_b32_e32 v4, 0x7c, v4, vcc_lo
; %bb.1957:
	s_or_b32 exec_lo, exec_lo, s3
	v_lshrrev_b32_e32 v3, 8, v3
	s_delay_alu instid0(VALU_DEP_1)
	v_and_or_b32 v3, 0x80, v3, v4
	global_store_b8 v[0:1], v3, off
.LBB34_1958:
	s_mov_b32 s3, 0
.LBB34_1959:
	s_delay_alu instid0(SALU_CYCLE_1)
	s_and_not1_b32 vcc_lo, exec_lo, s3
	s_mov_b32 s3, 0
	s_cbranch_vccnz .LBB34_1966
; %bb.1960:
	s_cmp_gt_i32 s2, 14
	s_mov_b32 s3, -1
	s_cbranch_scc0 .LBB34_1964
; %bb.1961:
	s_cmp_eq_u32 s2, 15
	s_mov_b32 s0, -1
	s_cbranch_scc0 .LBB34_1963
; %bb.1962:
	s_mov_b32 s0, 0
	global_store_b16 v[0:1], v2, off
.LBB34_1963:
	s_mov_b32 s3, 0
.LBB34_1964:
	s_delay_alu instid0(SALU_CYCLE_1)
	s_and_b32 vcc_lo, exec_lo, s3
	s_mov_b32 s3, 0
	s_cbranch_vccz .LBB34_1966
; %bb.1965:
	s_cmp_lg_u32 s2, 11
	s_mov_b32 s3, -1
	s_cselect_b32 s0, -1, 0
.LBB34_1966:
	s_delay_alu instid0(SALU_CYCLE_1)
	s_and_b32 vcc_lo, exec_lo, s0
	s_cbranch_vccnz .LBB34_2070
.LBB34_1967:
	s_mov_b32 s0, 0
	s_branch .LBB34_2008
.LBB34_1968:
	s_and_b32 vcc_lo, exec_lo, s0
	s_cbranch_vccz .LBB34_1891
; %bb.1969:
	s_and_b32 s0, 0xffff, s1
	s_mov_b32 s3, -1
	s_cmp_lt_i32 s0, 5
	s_cbranch_scc1 .LBB34_1990
; %bb.1970:
	s_cmp_lt_i32 s0, 8
	s_cbranch_scc1 .LBB34_1980
; %bb.1971:
	;; [unrolled: 3-line block ×3, first 2 shown]
	s_cmp_gt_i32 s0, 9
	s_cbranch_scc0 .LBB34_1974
; %bb.1973:
	s_wait_xcnt 0x0
	v_dual_lshlrev_b32 v4, 16, v1 :: v_dual_mov_b32 v6, 0
	s_mov_b32 s3, 0
	s_delay_alu instid0(VALU_DEP_1) | instskip(NEXT) | instid1(VALU_DEP_2)
	v_cvt_f64_f32_e32 v[4:5], v4
	v_mov_b32_e32 v7, v6
	global_store_b128 v[2:3], v[4:7], off
.LBB34_1974:
	s_and_not1_b32 vcc_lo, exec_lo, s3
	s_cbranch_vccnz .LBB34_1976
; %bb.1975:
	s_wait_xcnt 0x0
	v_dual_mov_b32 v5, 0 :: v_dual_lshlrev_b32 v4, 16, v1
	global_store_b64 v[2:3], v[4:5], off
.LBB34_1976:
	s_mov_b32 s3, 0
.LBB34_1977:
	s_delay_alu instid0(SALU_CYCLE_1)
	s_and_not1_b32 vcc_lo, exec_lo, s3
	s_cbranch_vccnz .LBB34_1979
; %bb.1978:
	s_wait_xcnt 0x0
	v_lshlrev_b32_e32 v4, 16, v1
	s_delay_alu instid0(VALU_DEP_1) | instskip(NEXT) | instid1(VALU_DEP_1)
	v_cvt_f16_f32_e32 v4, v4
	v_and_b32_e32 v4, 0xffff, v4
	global_store_b32 v[2:3], v4, off
.LBB34_1979:
	s_mov_b32 s3, 0
.LBB34_1980:
	s_delay_alu instid0(SALU_CYCLE_1)
	s_and_not1_b32 vcc_lo, exec_lo, s3
	s_cbranch_vccnz .LBB34_1989
; %bb.1981:
	s_cmp_lt_i32 s0, 6
	s_mov_b32 s3, -1
	s_cbranch_scc1 .LBB34_1987
; %bb.1982:
	s_cmp_gt_i32 s0, 6
	s_cbranch_scc0 .LBB34_1984
; %bb.1983:
	s_wait_xcnt 0x0
	v_lshlrev_b32_e32 v4, 16, v1
	s_mov_b32 s3, 0
	s_delay_alu instid0(VALU_DEP_1)
	v_cvt_f64_f32_e32 v[4:5], v4
	global_store_b64 v[2:3], v[4:5], off
.LBB34_1984:
	s_and_not1_b32 vcc_lo, exec_lo, s3
	s_cbranch_vccnz .LBB34_1986
; %bb.1985:
	s_wait_xcnt 0x0
	v_lshlrev_b32_e32 v4, 16, v1
	global_store_b32 v[2:3], v4, off
.LBB34_1986:
	s_mov_b32 s3, 0
.LBB34_1987:
	s_delay_alu instid0(SALU_CYCLE_1)
	s_and_not1_b32 vcc_lo, exec_lo, s3
	s_cbranch_vccnz .LBB34_1989
; %bb.1988:
	s_wait_xcnt 0x0
	v_lshlrev_b32_e32 v4, 16, v1
	s_delay_alu instid0(VALU_DEP_1)
	v_cvt_f16_f32_e32 v4, v4
	global_store_b16 v[2:3], v4, off
.LBB34_1989:
	s_mov_b32 s3, 0
.LBB34_1990:
	s_delay_alu instid0(SALU_CYCLE_1)
	s_and_not1_b32 vcc_lo, exec_lo, s3
	s_cbranch_vccnz .LBB34_2006
; %bb.1991:
	s_cmp_lt_i32 s0, 2
	s_mov_b32 s3, -1
	s_cbranch_scc1 .LBB34_2001
; %bb.1992:
	s_cmp_lt_i32 s0, 3
	s_cbranch_scc1 .LBB34_1998
; %bb.1993:
	s_cmp_gt_i32 s0, 3
	s_cbranch_scc0 .LBB34_1995
; %bb.1994:
	s_wait_xcnt 0x0
	v_lshlrev_b32_e32 v4, 16, v1
	s_mov_b32 s3, 0
	s_delay_alu instid0(VALU_DEP_1) | instskip(NEXT) | instid1(VALU_DEP_1)
	v_trunc_f32_e32 v4, v4
	v_mul_f32_e64 v5, 0x2f800000, |v4|
	s_delay_alu instid0(VALU_DEP_1) | instskip(NEXT) | instid1(VALU_DEP_1)
	v_floor_f32_e32 v5, v5
	v_fma_f32 v6, 0xcf800000, v5, |v4|
	v_ashrrev_i32_e32 v4, 31, v4
	v_cvt_u32_f32_e32 v7, v5
	s_delay_alu instid0(VALU_DEP_3) | instskip(NEXT) | instid1(VALU_DEP_2)
	v_cvt_u32_f32_e32 v6, v6
	v_dual_mov_b32 v5, v4 :: v_dual_bitop2_b32 v7, v7, v4 bitop3:0x14
	s_delay_alu instid0(VALU_DEP_2) | instskip(NEXT) | instid1(VALU_DEP_1)
	v_xor_b32_e32 v6, v6, v4
	v_sub_nc_u64_e32 v[4:5], v[6:7], v[4:5]
	global_store_b64 v[2:3], v[4:5], off
.LBB34_1995:
	s_and_not1_b32 vcc_lo, exec_lo, s3
	s_cbranch_vccnz .LBB34_1997
; %bb.1996:
	s_wait_xcnt 0x0
	v_lshlrev_b32_e32 v4, 16, v1
	s_delay_alu instid0(VALU_DEP_1)
	v_cvt_i32_f32_e32 v4, v4
	global_store_b32 v[2:3], v4, off
.LBB34_1997:
	s_mov_b32 s3, 0
.LBB34_1998:
	s_delay_alu instid0(SALU_CYCLE_1)
	s_and_not1_b32 vcc_lo, exec_lo, s3
	s_cbranch_vccnz .LBB34_2000
; %bb.1999:
	s_wait_xcnt 0x0
	v_lshlrev_b32_e32 v4, 16, v1
	s_delay_alu instid0(VALU_DEP_1)
	v_cvt_i32_f32_e32 v4, v4
	global_store_b16 v[2:3], v4, off
.LBB34_2000:
	s_mov_b32 s3, 0
.LBB34_2001:
	s_delay_alu instid0(SALU_CYCLE_1)
	s_and_not1_b32 vcc_lo, exec_lo, s3
	s_cbranch_vccnz .LBB34_2006
; %bb.2002:
	s_wait_xcnt 0x0
	v_lshlrev_b32_e32 v1, 16, v1
	s_cmp_gt_i32 s0, 0
	s_mov_b32 s0, -1
	s_cbranch_scc0 .LBB34_2004
; %bb.2003:
	s_delay_alu instid0(VALU_DEP_1)
	v_cvt_i32_f32_e32 v4, v1
	s_mov_b32 s0, 0
	global_store_b8 v[2:3], v4, off
.LBB34_2004:
	s_and_not1_b32 vcc_lo, exec_lo, s0
	s_cbranch_vccnz .LBB34_2006
; %bb.2005:
	v_trunc_f32_e32 v1, v1
	s_wait_xcnt 0x0
	s_delay_alu instid0(VALU_DEP_1) | instskip(NEXT) | instid1(VALU_DEP_1)
	v_mul_f32_e64 v4, 0x2f800000, |v1|
	v_floor_f32_e32 v4, v4
	s_delay_alu instid0(VALU_DEP_1) | instskip(SKIP_1) | instid1(VALU_DEP_2)
	v_fma_f32 v4, 0xcf800000, v4, |v1|
	v_ashrrev_i32_e32 v1, 31, v1
	v_cvt_u32_f32_e32 v4, v4
	s_delay_alu instid0(VALU_DEP_1) | instskip(NEXT) | instid1(VALU_DEP_1)
	v_xor_b32_e32 v4, v4, v1
	v_sub_nc_u32_e32 v1, v4, v1
	global_store_b8 v[2:3], v1, off
.LBB34_2006:
	s_branch .LBB34_1892
.LBB34_2007:
	s_mov_b32 s0, 0
	s_mov_b32 s3, 0
                                        ; implicit-def: $sgpr1
                                        ; implicit-def: $vgpr0_vgpr1
                                        ; implicit-def: $vgpr2
.LBB34_2008:
	s_and_not1_b32 s2, s12, exec_lo
	s_and_b32 s4, s9, exec_lo
	s_and_b32 s0, s0, exec_lo
	;; [unrolled: 1-line block ×3, first 2 shown]
	s_or_b32 s12, s2, s4
.LBB34_2009:
	s_wait_xcnt 0x0
	s_or_b32 exec_lo, exec_lo, s11
	s_and_saveexec_b32 s2, s12
	s_cbranch_execz .LBB34_2012
; %bb.2010:
	; divergent unreachable
	s_or_b32 exec_lo, exec_lo, s2
	s_and_saveexec_b32 s2, s9
	s_delay_alu instid0(SALU_CYCLE_1)
	s_xor_b32 s2, exec_lo, s2
	s_cbranch_execnz .LBB34_2013
.LBB34_2011:
	s_or_b32 exec_lo, exec_lo, s2
	s_and_saveexec_b32 s2, s0
	s_cbranch_execnz .LBB34_2014
	s_branch .LBB34_2051
.LBB34_2012:
	s_or_b32 exec_lo, exec_lo, s2
	s_and_saveexec_b32 s2, s9
	s_delay_alu instid0(SALU_CYCLE_1)
	s_xor_b32 s2, exec_lo, s2
	s_cbranch_execz .LBB34_2011
.LBB34_2013:
	s_wait_loadcnt 0x0
	v_and_b32_e32 v3, 0x7fff, v2
	s_delay_alu instid0(VALU_DEP_1)
	v_cmp_ne_u16_e32 vcc_lo, 0, v3
	v_cndmask_b32_e64 v3, 0, 1, vcc_lo
	global_store_b8 v[0:1], v3, off
	s_wait_xcnt 0x0
	s_or_b32 exec_lo, exec_lo, s2
	s_and_saveexec_b32 s2, s0
	s_cbranch_execz .LBB34_2051
.LBB34_2014:
	s_sext_i32_i16 s2, s1
	s_mov_b32 s0, -1
	s_cmp_lt_i32 s2, 5
	s_cbranch_scc1 .LBB34_2035
; %bb.2015:
	s_cmp_lt_i32 s2, 8
	s_cbranch_scc1 .LBB34_2025
; %bb.2016:
	;; [unrolled: 3-line block ×3, first 2 shown]
	s_cmp_gt_i32 s2, 9
	s_cbranch_scc0 .LBB34_2019
; %bb.2018:
	s_wait_loadcnt 0x0
	v_dual_mov_b32 v6, 0 :: v_dual_lshlrev_b32 v3, 16, v2
	s_mov_b32 s0, 0
	s_delay_alu instid0(VALU_DEP_1) | instskip(NEXT) | instid1(VALU_DEP_2)
	v_cvt_f64_f32_e32 v[4:5], v3
	v_mov_b32_e32 v7, v6
	global_store_b128 v[0:1], v[4:7], off
.LBB34_2019:
	s_and_not1_b32 vcc_lo, exec_lo, s0
	s_cbranch_vccnz .LBB34_2021
; %bb.2020:
	s_wait_loadcnt 0x0
	v_dual_mov_b32 v5, 0 :: v_dual_lshlrev_b32 v4, 16, v2
	global_store_b64 v[0:1], v[4:5], off
.LBB34_2021:
	s_mov_b32 s0, 0
.LBB34_2022:
	s_delay_alu instid0(SALU_CYCLE_1)
	s_and_not1_b32 vcc_lo, exec_lo, s0
	s_cbranch_vccnz .LBB34_2024
; %bb.2023:
	s_wait_loadcnt 0x0
	v_lshlrev_b32_e32 v3, 16, v2
	s_delay_alu instid0(VALU_DEP_1) | instskip(NEXT) | instid1(VALU_DEP_1)
	v_cvt_f16_f32_e32 v3, v3
	v_and_b32_e32 v3, 0xffff, v3
	global_store_b32 v[0:1], v3, off
.LBB34_2024:
	s_mov_b32 s0, 0
.LBB34_2025:
	s_delay_alu instid0(SALU_CYCLE_1)
	s_and_not1_b32 vcc_lo, exec_lo, s0
	s_cbranch_vccnz .LBB34_2034
; %bb.2026:
	s_sext_i32_i16 s2, s1
	s_mov_b32 s0, -1
	s_cmp_lt_i32 s2, 6
	s_cbranch_scc1 .LBB34_2032
; %bb.2027:
	s_cmp_gt_i32 s2, 6
	s_cbranch_scc0 .LBB34_2029
; %bb.2028:
	s_wait_loadcnt 0x0
	v_lshlrev_b32_e32 v3, 16, v2
	s_mov_b32 s0, 0
	s_delay_alu instid0(VALU_DEP_1)
	v_cvt_f64_f32_e32 v[4:5], v3
	global_store_b64 v[0:1], v[4:5], off
.LBB34_2029:
	s_and_not1_b32 vcc_lo, exec_lo, s0
	s_cbranch_vccnz .LBB34_2031
; %bb.2030:
	s_wait_loadcnt 0x0
	v_lshlrev_b32_e32 v3, 16, v2
	global_store_b32 v[0:1], v3, off
.LBB34_2031:
	s_mov_b32 s0, 0
.LBB34_2032:
	s_delay_alu instid0(SALU_CYCLE_1)
	s_and_not1_b32 vcc_lo, exec_lo, s0
	s_cbranch_vccnz .LBB34_2034
; %bb.2033:
	s_wait_loadcnt 0x0
	v_lshlrev_b32_e32 v3, 16, v2
	s_delay_alu instid0(VALU_DEP_1)
	v_cvt_f16_f32_e32 v3, v3
	global_store_b16 v[0:1], v3, off
.LBB34_2034:
	s_mov_b32 s0, 0
.LBB34_2035:
	s_delay_alu instid0(SALU_CYCLE_1)
	s_and_not1_b32 vcc_lo, exec_lo, s0
	s_cbranch_vccnz .LBB34_2051
; %bb.2036:
	s_sext_i32_i16 s2, s1
	s_mov_b32 s0, -1
	s_cmp_lt_i32 s2, 2
	s_cbranch_scc1 .LBB34_2046
; %bb.2037:
	s_cmp_lt_i32 s2, 3
	s_cbranch_scc1 .LBB34_2043
; %bb.2038:
	s_cmp_gt_i32 s2, 3
	s_cbranch_scc0 .LBB34_2040
; %bb.2039:
	s_wait_loadcnt 0x0
	v_lshlrev_b32_e32 v3, 16, v2
	s_mov_b32 s0, 0
	s_delay_alu instid0(VALU_DEP_1) | instskip(NEXT) | instid1(VALU_DEP_1)
	v_trunc_f32_e32 v3, v3
	v_mul_f32_e64 v4, 0x2f800000, |v3|
	s_delay_alu instid0(VALU_DEP_1) | instskip(SKIP_1) | instid1(VALU_DEP_2)
	v_floor_f32_e32 v5, v4
	v_ashrrev_i32_e32 v4, 31, v3
	v_fma_f32 v6, 0xcf800000, v5, |v3|
	v_cvt_u32_f32_e32 v3, v5
	s_delay_alu instid0(VALU_DEP_3) | instskip(NEXT) | instid1(VALU_DEP_3)
	v_mov_b32_e32 v5, v4
	v_cvt_u32_f32_e32 v6, v6
	s_delay_alu instid0(VALU_DEP_3) | instskip(NEXT) | instid1(VALU_DEP_2)
	v_xor_b32_e32 v7, v3, v4
	v_xor_b32_e32 v6, v6, v4
	s_delay_alu instid0(VALU_DEP_1)
	v_sub_nc_u64_e32 v[4:5], v[6:7], v[4:5]
	global_store_b64 v[0:1], v[4:5], off
.LBB34_2040:
	s_and_not1_b32 vcc_lo, exec_lo, s0
	s_cbranch_vccnz .LBB34_2042
; %bb.2041:
	s_wait_loadcnt 0x0
	v_lshlrev_b32_e32 v3, 16, v2
	s_delay_alu instid0(VALU_DEP_1)
	v_cvt_i32_f32_e32 v3, v3
	global_store_b32 v[0:1], v3, off
.LBB34_2042:
	s_mov_b32 s0, 0
.LBB34_2043:
	s_delay_alu instid0(SALU_CYCLE_1)
	s_and_not1_b32 vcc_lo, exec_lo, s0
	s_cbranch_vccnz .LBB34_2045
; %bb.2044:
	s_wait_loadcnt 0x0
	v_lshlrev_b32_e32 v3, 16, v2
	s_delay_alu instid0(VALU_DEP_1)
	v_cvt_i32_f32_e32 v3, v3
	global_store_b16 v[0:1], v3, off
.LBB34_2045:
	s_mov_b32 s0, 0
.LBB34_2046:
	s_delay_alu instid0(SALU_CYCLE_1)
	s_and_not1_b32 vcc_lo, exec_lo, s0
	s_cbranch_vccnz .LBB34_2051
; %bb.2047:
	s_wait_loadcnt 0x0
	v_lshlrev_b32_e32 v2, 16, v2
	s_sext_i32_i16 s0, s1
	s_delay_alu instid0(SALU_CYCLE_1)
	s_cmp_gt_i32 s0, 0
	s_mov_b32 s0, -1
	s_cbranch_scc0 .LBB34_2049
; %bb.2048:
	s_wait_xcnt 0x0
	v_cvt_i32_f32_e32 v3, v2
	s_mov_b32 s0, 0
	global_store_b8 v[0:1], v3, off
.LBB34_2049:
	s_and_not1_b32 vcc_lo, exec_lo, s0
	s_cbranch_vccnz .LBB34_2051
; %bb.2050:
	v_trunc_f32_e32 v2, v2
	s_wait_xcnt 0x0
	s_delay_alu instid0(VALU_DEP_1) | instskip(NEXT) | instid1(VALU_DEP_1)
	v_mul_f32_e64 v3, 0x2f800000, |v2|
	v_floor_f32_e32 v3, v3
	s_delay_alu instid0(VALU_DEP_1) | instskip(SKIP_1) | instid1(VALU_DEP_2)
	v_fma_f32 v3, 0xcf800000, v3, |v2|
	v_ashrrev_i32_e32 v2, 31, v2
	v_cvt_u32_f32_e32 v3, v3
	s_delay_alu instid0(VALU_DEP_1) | instskip(NEXT) | instid1(VALU_DEP_1)
	v_xor_b32_e32 v3, v3, v2
	v_sub_nc_u32_e32 v2, v3, v2
	global_store_b8 v[0:1], v2, off
	s_endpgm
.LBB34_2051:
	s_endpgm
.LBB34_2052:
	s_or_b32 s9, s9, exec_lo
	s_trap 2
	s_cbranch_execz .LBB34_1521
	s_branch .LBB34_1522
.LBB34_2053:
	s_and_not1_saveexec_b32 s10, s10
	s_cbranch_execz .LBB34_1605
.LBB34_2054:
	v_add_f32_e64 v5, 0x46000000, |v6|
	s_and_not1_b32 s8, s8, exec_lo
	s_delay_alu instid0(VALU_DEP_1) | instskip(NEXT) | instid1(VALU_DEP_1)
	v_and_b32_e32 v5, 0xff, v5
	v_cmp_ne_u32_e32 vcc_lo, 0, v5
	s_and_b32 s13, vcc_lo, exec_lo
	s_delay_alu instid0(SALU_CYCLE_1)
	s_or_b32 s8, s8, s13
	s_or_b32 exec_lo, exec_lo, s10
	v_mov_b32_e32 v7, 0
	s_and_saveexec_b32 s10, s8
	s_cbranch_execnz .LBB34_1606
	s_branch .LBB34_1607
.LBB34_2055:
	s_or_b32 s9, s9, exec_lo
	s_trap 2
	s_cbranch_execz .LBB34_1653
	s_branch .LBB34_1654
.LBB34_2056:
	s_and_not1_saveexec_b32 s8, s8
	s_cbranch_execz .LBB34_1618
.LBB34_2057:
	v_add_f32_e64 v5, 0x42800000, |v6|
	s_and_not1_b32 s7, s7, exec_lo
	s_delay_alu instid0(VALU_DEP_1) | instskip(NEXT) | instid1(VALU_DEP_1)
	v_and_b32_e32 v5, 0xff, v5
	v_cmp_ne_u32_e32 vcc_lo, 0, v5
	s_and_b32 s10, vcc_lo, exec_lo
	s_delay_alu instid0(SALU_CYCLE_1)
	s_or_b32 s7, s7, s10
	s_or_b32 exec_lo, exec_lo, s8
	v_mov_b32_e32 v7, 0
	s_and_saveexec_b32 s8, s7
	s_cbranch_execnz .LBB34_1619
	s_branch .LBB34_1620
.LBB34_2058:
	s_and_not1_saveexec_b32 s10, s10
	s_cbranch_execz .LBB34_1723
.LBB34_2059:
	v_add_f32_e64 v5, 0x46000000, |v6|
	s_and_not1_b32 s8, s8, exec_lo
	s_delay_alu instid0(VALU_DEP_1) | instskip(NEXT) | instid1(VALU_DEP_1)
	v_and_b32_e32 v5, 0xff, v5
	v_cmp_ne_u32_e32 vcc_lo, 0, v5
	s_and_b32 s13, vcc_lo, exec_lo
	s_delay_alu instid0(SALU_CYCLE_1)
	s_or_b32 s8, s8, s13
	s_or_b32 exec_lo, exec_lo, s10
	v_mov_b32_e32 v7, 0
	s_and_saveexec_b32 s10, s8
	s_cbranch_execnz .LBB34_1724
	s_branch .LBB34_1725
.LBB34_2060:
	s_or_b32 s9, s9, exec_lo
	s_trap 2
	s_cbranch_execz .LBB34_1771
	s_branch .LBB34_1772
.LBB34_2061:
	s_and_not1_saveexec_b32 s8, s8
	s_cbranch_execz .LBB34_1736
.LBB34_2062:
	v_add_f32_e64 v5, 0x42800000, |v6|
	s_and_not1_b32 s7, s7, exec_lo
	s_delay_alu instid0(VALU_DEP_1) | instskip(NEXT) | instid1(VALU_DEP_1)
	v_and_b32_e32 v5, 0xff, v5
	v_cmp_ne_u32_e32 vcc_lo, 0, v5
	s_and_b32 s10, vcc_lo, exec_lo
	s_delay_alu instid0(SALU_CYCLE_1)
	s_or_b32 s7, s7, s10
	s_or_b32 exec_lo, exec_lo, s8
	v_mov_b32_e32 v7, 0
	s_and_saveexec_b32 s8, s7
	s_cbranch_execnz .LBB34_1737
	s_branch .LBB34_1738
.LBB34_2063:
	s_and_not1_saveexec_b32 s10, s10
	s_cbranch_execz .LBB34_1841
.LBB34_2064:
	v_add_f32_e64 v5, 0x46000000, |v6|
	s_and_not1_b32 s8, s8, exec_lo
	s_delay_alu instid0(VALU_DEP_1) | instskip(NEXT) | instid1(VALU_DEP_1)
	v_and_b32_e32 v5, 0xff, v5
	v_cmp_ne_u32_e32 vcc_lo, 0, v5
	s_and_b32 s13, vcc_lo, exec_lo
	s_delay_alu instid0(SALU_CYCLE_1)
	s_or_b32 s8, s8, s13
	s_or_b32 exec_lo, exec_lo, s10
	v_mov_b32_e32 v7, 0
	s_and_saveexec_b32 s10, s8
	s_cbranch_execnz .LBB34_1842
	s_branch .LBB34_1843
.LBB34_2065:
	s_or_b32 s9, s9, exec_lo
	s_trap 2
	s_cbranch_execz .LBB34_1889
	s_branch .LBB34_1890
.LBB34_2066:
	s_and_not1_saveexec_b32 s8, s8
	s_cbranch_execz .LBB34_1854
.LBB34_2067:
	v_add_f32_e64 v5, 0x42800000, |v6|
	s_and_not1_b32 s7, s7, exec_lo
	s_delay_alu instid0(VALU_DEP_1) | instskip(NEXT) | instid1(VALU_DEP_1)
	v_and_b32_e32 v5, 0xff, v5
	v_cmp_ne_u32_e32 vcc_lo, 0, v5
	s_and_b32 s10, vcc_lo, exec_lo
	s_delay_alu instid0(SALU_CYCLE_1)
	s_or_b32 s7, s7, s10
	s_or_b32 exec_lo, exec_lo, s8
	v_mov_b32_e32 v7, 0
	s_and_saveexec_b32 s8, s7
	s_cbranch_execnz .LBB34_1855
	s_branch .LBB34_1856
.LBB34_2068:
	s_and_not1_saveexec_b32 s6, s6
	s_cbranch_execz .LBB34_1921
.LBB34_2069:
	v_add_f32_e64 v4, 0x46000000, |v5|
	s_and_not1_b32 s5, s5, exec_lo
	s_delay_alu instid0(VALU_DEP_1) | instskip(NEXT) | instid1(VALU_DEP_1)
	v_and_b32_e32 v4, 0xff, v4
	v_cmp_ne_u32_e32 vcc_lo, 0, v4
	s_and_b32 s7, vcc_lo, exec_lo
	s_delay_alu instid0(SALU_CYCLE_1)
	s_or_b32 s5, s5, s7
	s_or_b32 exec_lo, exec_lo, s6
	v_mov_b32_e32 v6, 0
	s_and_saveexec_b32 s6, s5
	s_cbranch_execnz .LBB34_1922
	s_branch .LBB34_1923
.LBB34_2070:
	s_mov_b32 s3, 0
	s_or_b32 s9, s9, exec_lo
	s_trap 2
	s_branch .LBB34_1967
.LBB34_2071:
	s_and_not1_saveexec_b32 s5, s5
	s_cbranch_execz .LBB34_1933
.LBB34_2072:
	v_add_f32_e64 v4, 0x42800000, |v5|
	s_and_not1_b32 s4, s4, exec_lo
	s_delay_alu instid0(VALU_DEP_1) | instskip(NEXT) | instid1(VALU_DEP_1)
	v_and_b32_e32 v4, 0xff, v4
	v_cmp_ne_u32_e32 vcc_lo, 0, v4
	s_and_b32 s6, vcc_lo, exec_lo
	s_delay_alu instid0(SALU_CYCLE_1)
	s_or_b32 s4, s4, s6
	s_or_b32 exec_lo, exec_lo, s5
	v_mov_b32_e32 v6, 0
	s_and_saveexec_b32 s5, s4
	s_cbranch_execnz .LBB34_1934
	s_branch .LBB34_1935
	.section	.rodata,"a",@progbits
	.p2align	6, 0x0
	.amdhsa_kernel _ZN2at6native32elementwise_kernel_manual_unrollILi128ELi4EZNS0_15gpu_kernel_implIZZZNS0_15sin_kernel_cudaERNS_18TensorIteratorBaseEENKUlvE0_clEvENKUlvE2_clEvEUlN3c108BFloat16EE_EEvS4_RKT_EUlibE_EEviT1_
		.amdhsa_group_segment_fixed_size 0
		.amdhsa_private_segment_fixed_size 0
		.amdhsa_kernarg_size 40
		.amdhsa_user_sgpr_count 2
		.amdhsa_user_sgpr_dispatch_ptr 0
		.amdhsa_user_sgpr_queue_ptr 0
		.amdhsa_user_sgpr_kernarg_segment_ptr 1
		.amdhsa_user_sgpr_dispatch_id 0
		.amdhsa_user_sgpr_kernarg_preload_length 0
		.amdhsa_user_sgpr_kernarg_preload_offset 0
		.amdhsa_user_sgpr_private_segment_size 0
		.amdhsa_wavefront_size32 1
		.amdhsa_uses_dynamic_stack 0
		.amdhsa_enable_private_segment 0
		.amdhsa_system_sgpr_workgroup_id_x 1
		.amdhsa_system_sgpr_workgroup_id_y 0
		.amdhsa_system_sgpr_workgroup_id_z 0
		.amdhsa_system_sgpr_workgroup_info 0
		.amdhsa_system_vgpr_workitem_id 0
		.amdhsa_next_free_vgpr 32
		.amdhsa_next_free_sgpr 26
		.amdhsa_named_barrier_count 0
		.amdhsa_reserve_vcc 1
		.amdhsa_float_round_mode_32 0
		.amdhsa_float_round_mode_16_64 0
		.amdhsa_float_denorm_mode_32 3
		.amdhsa_float_denorm_mode_16_64 3
		.amdhsa_fp16_overflow 0
		.amdhsa_memory_ordered 1
		.amdhsa_forward_progress 1
		.amdhsa_inst_pref_size 255
		.amdhsa_round_robin_scheduling 0
		.amdhsa_exception_fp_ieee_invalid_op 0
		.amdhsa_exception_fp_denorm_src 0
		.amdhsa_exception_fp_ieee_div_zero 0
		.amdhsa_exception_fp_ieee_overflow 0
		.amdhsa_exception_fp_ieee_underflow 0
		.amdhsa_exception_fp_ieee_inexact 0
		.amdhsa_exception_int_div_zero 0
	.end_amdhsa_kernel
	.section	.text._ZN2at6native32elementwise_kernel_manual_unrollILi128ELi4EZNS0_15gpu_kernel_implIZZZNS0_15sin_kernel_cudaERNS_18TensorIteratorBaseEENKUlvE0_clEvENKUlvE2_clEvEUlN3c108BFloat16EE_EEvS4_RKT_EUlibE_EEviT1_,"axG",@progbits,_ZN2at6native32elementwise_kernel_manual_unrollILi128ELi4EZNS0_15gpu_kernel_implIZZZNS0_15sin_kernel_cudaERNS_18TensorIteratorBaseEENKUlvE0_clEvENKUlvE2_clEvEUlN3c108BFloat16EE_EEvS4_RKT_EUlibE_EEviT1_,comdat
.Lfunc_end34:
	.size	_ZN2at6native32elementwise_kernel_manual_unrollILi128ELi4EZNS0_15gpu_kernel_implIZZZNS0_15sin_kernel_cudaERNS_18TensorIteratorBaseEENKUlvE0_clEvENKUlvE2_clEvEUlN3c108BFloat16EE_EEvS4_RKT_EUlibE_EEviT1_, .Lfunc_end34-_ZN2at6native32elementwise_kernel_manual_unrollILi128ELi4EZNS0_15gpu_kernel_implIZZZNS0_15sin_kernel_cudaERNS_18TensorIteratorBaseEENKUlvE0_clEvENKUlvE2_clEvEUlN3c108BFloat16EE_EEvS4_RKT_EUlibE_EEviT1_
                                        ; -- End function
	.set _ZN2at6native32elementwise_kernel_manual_unrollILi128ELi4EZNS0_15gpu_kernel_implIZZZNS0_15sin_kernel_cudaERNS_18TensorIteratorBaseEENKUlvE0_clEvENKUlvE2_clEvEUlN3c108BFloat16EE_EEvS4_RKT_EUlibE_EEviT1_.num_vgpr, 32
	.set _ZN2at6native32elementwise_kernel_manual_unrollILi128ELi4EZNS0_15gpu_kernel_implIZZZNS0_15sin_kernel_cudaERNS_18TensorIteratorBaseEENKUlvE0_clEvENKUlvE2_clEvEUlN3c108BFloat16EE_EEvS4_RKT_EUlibE_EEviT1_.num_agpr, 0
	.set _ZN2at6native32elementwise_kernel_manual_unrollILi128ELi4EZNS0_15gpu_kernel_implIZZZNS0_15sin_kernel_cudaERNS_18TensorIteratorBaseEENKUlvE0_clEvENKUlvE2_clEvEUlN3c108BFloat16EE_EEvS4_RKT_EUlibE_EEviT1_.numbered_sgpr, 26
	.set _ZN2at6native32elementwise_kernel_manual_unrollILi128ELi4EZNS0_15gpu_kernel_implIZZZNS0_15sin_kernel_cudaERNS_18TensorIteratorBaseEENKUlvE0_clEvENKUlvE2_clEvEUlN3c108BFloat16EE_EEvS4_RKT_EUlibE_EEviT1_.num_named_barrier, 0
	.set _ZN2at6native32elementwise_kernel_manual_unrollILi128ELi4EZNS0_15gpu_kernel_implIZZZNS0_15sin_kernel_cudaERNS_18TensorIteratorBaseEENKUlvE0_clEvENKUlvE2_clEvEUlN3c108BFloat16EE_EEvS4_RKT_EUlibE_EEviT1_.private_seg_size, 0
	.set _ZN2at6native32elementwise_kernel_manual_unrollILi128ELi4EZNS0_15gpu_kernel_implIZZZNS0_15sin_kernel_cudaERNS_18TensorIteratorBaseEENKUlvE0_clEvENKUlvE2_clEvEUlN3c108BFloat16EE_EEvS4_RKT_EUlibE_EEviT1_.uses_vcc, 1
	.set _ZN2at6native32elementwise_kernel_manual_unrollILi128ELi4EZNS0_15gpu_kernel_implIZZZNS0_15sin_kernel_cudaERNS_18TensorIteratorBaseEENKUlvE0_clEvENKUlvE2_clEvEUlN3c108BFloat16EE_EEvS4_RKT_EUlibE_EEviT1_.uses_flat_scratch, 0
	.set _ZN2at6native32elementwise_kernel_manual_unrollILi128ELi4EZNS0_15gpu_kernel_implIZZZNS0_15sin_kernel_cudaERNS_18TensorIteratorBaseEENKUlvE0_clEvENKUlvE2_clEvEUlN3c108BFloat16EE_EEvS4_RKT_EUlibE_EEviT1_.has_dyn_sized_stack, 0
	.set _ZN2at6native32elementwise_kernel_manual_unrollILi128ELi4EZNS0_15gpu_kernel_implIZZZNS0_15sin_kernel_cudaERNS_18TensorIteratorBaseEENKUlvE0_clEvENKUlvE2_clEvEUlN3c108BFloat16EE_EEvS4_RKT_EUlibE_EEviT1_.has_recursion, 0
	.set _ZN2at6native32elementwise_kernel_manual_unrollILi128ELi4EZNS0_15gpu_kernel_implIZZZNS0_15sin_kernel_cudaERNS_18TensorIteratorBaseEENKUlvE0_clEvENKUlvE2_clEvEUlN3c108BFloat16EE_EEvS4_RKT_EUlibE_EEviT1_.has_indirect_call, 0
	.section	.AMDGPU.csdata,"",@progbits
; Kernel info:
; codeLenInByte = 52152
; TotalNumSgprs: 28
; NumVgprs: 32
; ScratchSize: 0
; MemoryBound: 0
; FloatMode: 240
; IeeeMode: 1
; LDSByteSize: 0 bytes/workgroup (compile time only)
; SGPRBlocks: 0
; VGPRBlocks: 1
; NumSGPRsForWavesPerEU: 28
; NumVGPRsForWavesPerEU: 32
; NamedBarCnt: 0
; Occupancy: 16
; WaveLimiterHint : 0
; COMPUTE_PGM_RSRC2:SCRATCH_EN: 0
; COMPUTE_PGM_RSRC2:USER_SGPR: 2
; COMPUTE_PGM_RSRC2:TRAP_HANDLER: 0
; COMPUTE_PGM_RSRC2:TGID_X_EN: 1
; COMPUTE_PGM_RSRC2:TGID_Y_EN: 0
; COMPUTE_PGM_RSRC2:TGID_Z_EN: 0
; COMPUTE_PGM_RSRC2:TIDIG_COMP_CNT: 0
	.section	.text._ZN2at6native32elementwise_kernel_manual_unrollILi128ELi4EZNS0_15gpu_kernel_implIZZZNS0_15sin_kernel_cudaERNS_18TensorIteratorBaseEENKUlvE0_clEvENKUlvE2_clEvEUlN3c108BFloat16EE_EEvS4_RKT_EUlibE0_EEviT1_,"axG",@progbits,_ZN2at6native32elementwise_kernel_manual_unrollILi128ELi4EZNS0_15gpu_kernel_implIZZZNS0_15sin_kernel_cudaERNS_18TensorIteratorBaseEENKUlvE0_clEvENKUlvE2_clEvEUlN3c108BFloat16EE_EEvS4_RKT_EUlibE0_EEviT1_,comdat
	.globl	_ZN2at6native32elementwise_kernel_manual_unrollILi128ELi4EZNS0_15gpu_kernel_implIZZZNS0_15sin_kernel_cudaERNS_18TensorIteratorBaseEENKUlvE0_clEvENKUlvE2_clEvEUlN3c108BFloat16EE_EEvS4_RKT_EUlibE0_EEviT1_ ; -- Begin function _ZN2at6native32elementwise_kernel_manual_unrollILi128ELi4EZNS0_15gpu_kernel_implIZZZNS0_15sin_kernel_cudaERNS_18TensorIteratorBaseEENKUlvE0_clEvENKUlvE2_clEvEUlN3c108BFloat16EE_EEvS4_RKT_EUlibE0_EEviT1_
	.p2align	8
	.type	_ZN2at6native32elementwise_kernel_manual_unrollILi128ELi4EZNS0_15gpu_kernel_implIZZZNS0_15sin_kernel_cudaERNS_18TensorIteratorBaseEENKUlvE0_clEvENKUlvE2_clEvEUlN3c108BFloat16EE_EEvS4_RKT_EUlibE0_EEviT1_,@function
_ZN2at6native32elementwise_kernel_manual_unrollILi128ELi4EZNS0_15gpu_kernel_implIZZZNS0_15sin_kernel_cudaERNS_18TensorIteratorBaseEENKUlvE0_clEvENKUlvE2_clEvEUlN3c108BFloat16EE_EEvS4_RKT_EUlibE0_EEviT1_: ; @_ZN2at6native32elementwise_kernel_manual_unrollILi128ELi4EZNS0_15gpu_kernel_implIZZZNS0_15sin_kernel_cudaERNS_18TensorIteratorBaseEENKUlvE0_clEvENKUlvE2_clEvEUlN3c108BFloat16EE_EEvS4_RKT_EUlibE0_EEviT1_
; %bb.0:
	s_clause 0x1
	s_load_b32 s28, s[0:1], 0x8
	s_load_b32 s36, s[0:1], 0x0
	s_bfe_u32 s2, ttmp6, 0x4000c
	s_and_b32 s3, ttmp6, 15
	s_add_co_i32 s2, s2, 1
	s_getreg_b32 s4, hwreg(HW_REG_IB_STS2, 6, 4)
	s_mul_i32 s2, ttmp9, s2
	s_mov_b32 s30, 0
	s_add_co_i32 s3, s3, s2
	s_cmp_eq_u32 s4, 0
	s_mov_b32 s24, -1
	s_cselect_b32 s2, ttmp9, s3
	s_mov_b32 s8, 0
	v_lshl_or_b32 v0, s2, 9, v0
	s_add_nc_u64 s[2:3], s[0:1], 8
	s_wait_xcnt 0x0
	s_mov_b32 s0, exec_lo
	s_delay_alu instid0(VALU_DEP_1) | instskip(SKIP_2) | instid1(SALU_CYCLE_1)
	v_or_b32_e32 v9, 0x180, v0
	s_wait_kmcnt 0x0
	s_add_co_i32 s29, s28, -1
	s_cmp_gt_u32 s29, 1
	s_cselect_b32 s31, -1, 0
	v_cmpx_le_i32_e64 s36, v9
	s_xor_b32 s33, exec_lo, s0
	s_cbranch_execz .LBB35_1109
; %bb.1:
	v_mov_b32_e32 v1, 0
	s_clause 0x3
	s_load_b128 s[12:15], s[2:3], 0x4
	s_load_b64 s[18:19], s[2:3], 0x14
	s_load_b128 s[8:11], s[2:3], 0xc4
	s_load_b128 s[4:7], s[2:3], 0x148
	s_cmp_lg_u32 s28, 0
	s_mov_b32 s17, 0
	s_cselect_b32 s38, -1, 0
	global_load_u16 v1, v1, s[2:3] offset:345
	s_min_u32 s37, s29, 15
	s_cmp_gt_u32 s28, 1
	s_add_nc_u64 s[22:23], s[2:3], 0xc4
	s_cselect_b32 s35, -1, 0
	s_mov_b32 s21, s17
	s_mov_b32 s39, s17
	s_mov_b32 s40, exec_lo
	s_wait_kmcnt 0x0
	s_mov_b32 s16, s13
	s_mov_b32 s20, s18
	;; [unrolled: 1-line block ×3, first 2 shown]
	s_wait_loadcnt 0x0
	v_readfirstlane_b32 s34, v1
	s_and_b32 s0, 0xffff, s34
	s_delay_alu instid0(SALU_CYCLE_1)
	s_lshr_b32 s13, s0, 8
	v_cmpx_gt_i32_e64 s36, v0
	s_cbranch_execz .LBB35_271
; %bb.2:
	s_and_not1_b32 vcc_lo, exec_lo, s31
	s_cbranch_vccnz .LBB35_8
; %bb.3:
	s_and_not1_b32 vcc_lo, exec_lo, s38
	s_cbranch_vccnz .LBB35_9
; %bb.4:
	s_add_co_i32 s1, s37, 1
	s_cmp_eq_u32 s29, 2
	s_cbranch_scc1 .LBB35_10
; %bb.5:
	v_dual_mov_b32 v2, 0 :: v_dual_mov_b32 v4, 0
	v_mov_b32_e32 v1, v0
	s_and_b32 s0, s1, 28
	s_mov_b32 s18, 0
	s_mov_b64 s[24:25], s[2:3]
	s_mov_b64 s[26:27], s[22:23]
.LBB35_6:                               ; =>This Inner Loop Header: Depth=1
	s_clause 0x1
	s_load_b256 s[44:51], s[24:25], 0x4
	s_load_b128 s[60:63], s[24:25], 0x24
	s_load_b256 s[52:59], s[26:27], 0x0
	s_add_co_i32 s18, s18, 4
	s_wait_xcnt 0x0
	s_add_nc_u64 s[24:25], s[24:25], 48
	s_cmp_lg_u32 s0, s18
	s_add_nc_u64 s[26:27], s[26:27], 32
	s_wait_kmcnt 0x0
	v_mul_hi_u32 v3, s45, v1
	s_delay_alu instid0(VALU_DEP_1) | instskip(NEXT) | instid1(VALU_DEP_1)
	v_add_nc_u32_e32 v3, v1, v3
	v_lshrrev_b32_e32 v3, s46, v3
	s_delay_alu instid0(VALU_DEP_1) | instskip(NEXT) | instid1(VALU_DEP_1)
	v_mul_hi_u32 v5, s48, v3
	v_add_nc_u32_e32 v5, v3, v5
	s_delay_alu instid0(VALU_DEP_1) | instskip(NEXT) | instid1(VALU_DEP_1)
	v_lshrrev_b32_e32 v5, s49, v5
	v_mul_hi_u32 v6, s51, v5
	s_delay_alu instid0(VALU_DEP_1) | instskip(SKIP_1) | instid1(VALU_DEP_1)
	v_add_nc_u32_e32 v6, v5, v6
	v_mul_lo_u32 v7, v3, s44
	v_sub_nc_u32_e32 v1, v1, v7
	v_mul_lo_u32 v7, v5, s47
	s_delay_alu instid0(VALU_DEP_4) | instskip(NEXT) | instid1(VALU_DEP_3)
	v_lshrrev_b32_e32 v6, s60, v6
	v_mad_u32 v4, v1, s53, v4
	v_mad_u32 v1, v1, s52, v2
	s_delay_alu instid0(VALU_DEP_4) | instskip(NEXT) | instid1(VALU_DEP_4)
	v_sub_nc_u32_e32 v2, v3, v7
	v_mul_hi_u32 v8, s62, v6
	v_mul_lo_u32 v3, v6, s50
	s_delay_alu instid0(VALU_DEP_3) | instskip(SKIP_1) | instid1(VALU_DEP_3)
	v_mad_u32 v4, v2, s55, v4
	v_mad_u32 v2, v2, s54, v1
	v_dual_add_nc_u32 v7, v6, v8 :: v_dual_sub_nc_u32 v3, v5, v3
	s_delay_alu instid0(VALU_DEP_1) | instskip(NEXT) | instid1(VALU_DEP_2)
	v_lshrrev_b32_e32 v1, s63, v7
	v_mad_u32 v4, v3, s57, v4
	s_delay_alu instid0(VALU_DEP_4) | instskip(NEXT) | instid1(VALU_DEP_3)
	v_mad_u32 v2, v3, s56, v2
	v_mul_lo_u32 v5, v1, s61
	s_delay_alu instid0(VALU_DEP_1) | instskip(NEXT) | instid1(VALU_DEP_1)
	v_sub_nc_u32_e32 v3, v6, v5
	v_mad_u32 v4, v3, s59, v4
	s_delay_alu instid0(VALU_DEP_4)
	v_mad_u32 v2, v3, s58, v2
	s_cbranch_scc1 .LBB35_6
; %bb.7:
	s_delay_alu instid0(VALU_DEP_2)
	v_mov_b32_e32 v3, v4
	s_and_b32 s18, s1, 3
	s_mov_b32 s1, 0
	s_cmp_eq_u32 s18, 0
	s_cbranch_scc0 .LBB35_11
	s_branch .LBB35_14
.LBB35_8:
                                        ; implicit-def: $vgpr4
                                        ; implicit-def: $vgpr2
	s_branch .LBB35_15
.LBB35_9:
	v_dual_mov_b32 v4, 0 :: v_dual_mov_b32 v2, 0
	s_branch .LBB35_14
.LBB35_10:
	v_mov_b64_e32 v[2:3], 0
	v_mov_b32_e32 v1, v0
	s_mov_b32 s0, 0
                                        ; implicit-def: $vgpr4
	s_and_b32 s18, s1, 3
	s_mov_b32 s1, 0
	s_cmp_eq_u32 s18, 0
	s_cbranch_scc1 .LBB35_14
.LBB35_11:
	s_lshl_b32 s24, s0, 3
	s_mov_b32 s25, s1
	s_mul_u64 s[26:27], s[0:1], 12
	s_add_nc_u64 s[24:25], s[2:3], s[24:25]
	s_delay_alu instid0(SALU_CYCLE_1)
	s_add_nc_u64 s[0:1], s[24:25], 0xc4
	s_add_nc_u64 s[24:25], s[2:3], s[26:27]
.LBB35_12:                              ; =>This Inner Loop Header: Depth=1
	s_load_b96 s[44:46], s[24:25], 0x4
	s_load_b64 s[26:27], s[0:1], 0x0
	s_add_co_i32 s18, s18, -1
	s_wait_xcnt 0x0
	s_add_nc_u64 s[24:25], s[24:25], 12
	s_cmp_lg_u32 s18, 0
	s_add_nc_u64 s[0:1], s[0:1], 8
	s_wait_kmcnt 0x0
	v_mul_hi_u32 v4, s45, v1
	s_delay_alu instid0(VALU_DEP_1) | instskip(NEXT) | instid1(VALU_DEP_1)
	v_add_nc_u32_e32 v4, v1, v4
	v_lshrrev_b32_e32 v4, s46, v4
	s_delay_alu instid0(VALU_DEP_1) | instskip(NEXT) | instid1(VALU_DEP_1)
	v_mul_lo_u32 v5, v4, s44
	v_sub_nc_u32_e32 v1, v1, v5
	s_delay_alu instid0(VALU_DEP_1)
	v_mad_u32 v3, v1, s27, v3
	v_mad_u32 v2, v1, s26, v2
	v_mov_b32_e32 v1, v4
	s_cbranch_scc1 .LBB35_12
; %bb.13:
	s_delay_alu instid0(VALU_DEP_3)
	v_mov_b32_e32 v4, v3
.LBB35_14:
	s_cbranch_execnz .LBB35_17
.LBB35_15:
	v_mov_b32_e32 v1, 0
	s_and_not1_b32 vcc_lo, exec_lo, s35
	s_delay_alu instid0(VALU_DEP_1) | instskip(NEXT) | instid1(VALU_DEP_1)
	v_mul_u64_e32 v[2:3], s[16:17], v[0:1]
	v_add_nc_u32_e32 v2, v0, v3
	s_delay_alu instid0(VALU_DEP_1) | instskip(NEXT) | instid1(VALU_DEP_1)
	v_lshrrev_b32_e32 v6, s14, v2
	v_mul_lo_u32 v2, v6, s12
	s_delay_alu instid0(VALU_DEP_1) | instskip(NEXT) | instid1(VALU_DEP_1)
	v_sub_nc_u32_e32 v2, v0, v2
	v_mul_lo_u32 v4, v2, s9
	v_mul_lo_u32 v2, v2, s8
	s_cbranch_vccnz .LBB35_17
; %bb.16:
	v_mov_b32_e32 v7, v1
	s_delay_alu instid0(VALU_DEP_1) | instskip(NEXT) | instid1(VALU_DEP_1)
	v_mul_u64_e32 v[8:9], s[20:21], v[6:7]
	v_add_nc_u32_e32 v1, v6, v9
	s_delay_alu instid0(VALU_DEP_1) | instskip(NEXT) | instid1(VALU_DEP_1)
	v_lshrrev_b32_e32 v1, s19, v1
	v_mul_lo_u32 v1, v1, s15
	s_delay_alu instid0(VALU_DEP_1) | instskip(NEXT) | instid1(VALU_DEP_1)
	v_sub_nc_u32_e32 v1, v6, v1
	v_mad_u32 v2, v1, s10, v2
	v_mad_u32 v4, v1, s11, v4
.LBB35_17:
	v_mov_b32_e32 v5, 0
	s_and_b32 s0, 0xffff, s13
	s_delay_alu instid0(SALU_CYCLE_1) | instskip(NEXT) | instid1(VALU_DEP_1)
	s_cmp_lt_i32 s0, 11
	v_add_nc_u64_e32 v[4:5], s[6:7], v[4:5]
	s_cbranch_scc1 .LBB35_24
; %bb.18:
	s_cmp_gt_i32 s0, 25
	s_cbranch_scc0 .LBB35_76
; %bb.19:
	s_cmp_gt_i32 s0, 28
	s_cbranch_scc0 .LBB35_77
	;; [unrolled: 3-line block ×4, first 2 shown]
; %bb.22:
	s_cmp_eq_u32 s0, 46
	s_mov_b32 s18, 0
	s_cbranch_scc0 .LBB35_83
; %bb.23:
	global_load_b32 v1, v[4:5], off
	s_mov_b32 s1, -1
	s_mov_b32 s24, 0
	s_branch .LBB35_85
.LBB35_24:
	s_mov_b32 s24, 0
	s_mov_b32 s1, 0
                                        ; implicit-def: $vgpr1
	s_cbranch_execnz .LBB35_221
.LBB35_25:
	s_and_not1_b32 vcc_lo, exec_lo, s1
	s_cbranch_vccnz .LBB35_268
.LBB35_26:
	s_wait_loadcnt 0x0
	s_delay_alu instid0(VALU_DEP_1) | instskip(SKIP_1) | instid1(VALU_DEP_1)
	v_lshlrev_b32_e32 v1, 16, v1
                                        ; implicit-def: $vgpr5
                                        ; implicit-def: $vgpr4
	s_mov_b32 s1, exec_lo
	v_and_b32_e32 v3, 0x7fffffff, v1
	v_cmpx_ngt_f32_e64 0x48000000, |v1|
	s_xor_b32 s18, exec_lo, s1
	s_cbranch_execz .LBB35_28
; %bb.27:
	s_mov_b32 s0, 0x7fffff
	v_mov_b32_e32 v5, 0
	v_and_or_b32 v4, v3, s0, 0x800000
	s_mov_b64 s[0:1], 0xfe5163ab
	s_delay_alu instid0(VALU_DEP_1) | instid1(SALU_CYCLE_1)
	v_mul_u64_e32 v[6:7], s[0:1], v[4:5]
	s_delay_alu instid0(VALU_DEP_1) | instskip(SKIP_2) | instid1(VALU_DEP_3)
	v_dual_mov_b32 v8, v7 :: v_dual_mov_b32 v9, v5
	v_dual_mov_b32 v11, v5 :: v_dual_mov_b32 v13, v5
	v_dual_mov_b32 v15, v5 :: v_dual_lshrrev_b32 v7, 23, v3
	v_mad_nc_u64_u32 v[8:9], 0x3c439041, v4, v[8:9]
	s_delay_alu instid0(VALU_DEP_1) | instskip(NEXT) | instid1(VALU_DEP_1)
	v_mov_b32_e32 v10, v9
	v_mad_nc_u64_u32 v[10:11], 0xdb629599, v4, v[10:11]
	s_delay_alu instid0(VALU_DEP_1) | instskip(NEXT) | instid1(VALU_DEP_1)
	v_mov_b32_e32 v12, v11
	;; [unrolled: 3-line block ×3, first 2 shown]
	v_mad_nc_u64_u32 v[14:15], 0xfc2757d1, v4, v[14:15]
	s_delay_alu instid0(VALU_DEP_1) | instskip(NEXT) | instid1(VALU_DEP_1)
	v_dual_mov_b32 v17, v5 :: v_dual_mov_b32 v16, v15
	v_mad_nc_u64_u32 v[16:17], 0x4e441529, v4, v[16:17]
	s_delay_alu instid0(VALU_DEP_1) | instskip(NEXT) | instid1(VALU_DEP_1)
	v_dual_mov_b32 v18, v17 :: v_dual_add_nc_u32 v7, 0xffffff88, v7
	v_cmp_lt_u32_e32 vcc_lo, 63, v7
	v_mov_b32_e32 v19, v5
	v_cndmask_b32_e64 v9, 0, 0xffffffc0, vcc_lo
	s_delay_alu instid0(VALU_DEP_2) | instskip(SKIP_1) | instid1(VALU_DEP_3)
	v_mad_nc_u64_u32 v[4:5], 0xa2f9836e, v4, v[18:19]
	v_dual_cndmask_b32 v11, v16, v12, vcc_lo :: v_dual_cndmask_b32 v13, v14, v10, vcc_lo
	v_dual_cndmask_b32 v8, v12, v8 :: v_dual_add_nc_u32 v7, v9, v7
	v_cndmask_b32_e32 v6, v10, v6, vcc_lo
	s_delay_alu instid0(VALU_DEP_2) | instskip(SKIP_1) | instid1(VALU_DEP_2)
	v_cmp_lt_u32_e64 s0, 31, v7
	v_dual_cndmask_b32 v4, v4, v14 :: v_dual_cndmask_b32 v5, v5, v16
	v_cndmask_b32_e64 v9, 0, 0xffffffe0, s0
	s_delay_alu instid0(VALU_DEP_4) | instskip(NEXT) | instid1(VALU_DEP_2)
	v_dual_cndmask_b32 v12, v13, v8, s0 :: v_dual_cndmask_b32 v6, v8, v6, s0
	v_add_nc_u32_e32 v7, v9, v7
	s_delay_alu instid0(VALU_DEP_1) | instskip(NEXT) | instid1(VALU_DEP_1)
	v_cmp_lt_u32_e64 s1, 31, v7
	v_cndmask_b32_e64 v9, 0, 0xffffffe0, s1
	s_delay_alu instid0(VALU_DEP_1) | instskip(SKIP_1) | instid1(VALU_DEP_2)
	v_dual_cndmask_b32 v6, v12, v6, s1 :: v_dual_add_nc_u32 v7, v9, v7
	v_dual_cndmask_b32 v9, v4, v11, s0 :: v_dual_cndmask_b32 v4, v5, v4, s0
	v_dual_cndmask_b32 v5, v11, v13, s0 :: v_dual_sub_nc_u32 v11, 32, v7
	v_cmp_eq_u32_e32 vcc_lo, 0, v7
	s_delay_alu instid0(VALU_DEP_3) | instskip(NEXT) | instid1(VALU_DEP_3)
	v_cndmask_b32_e64 v4, v4, v9, s1
	v_cndmask_b32_e64 v9, v9, v5, s1
	;; [unrolled: 1-line block ×3, first 2 shown]
	s_delay_alu instid0(VALU_DEP_2) | instskip(NEXT) | instid1(VALU_DEP_2)
	v_alignbit_b32 v13, v4, v9, v11
	v_alignbit_b32 v10, v9, v5, v11
	;; [unrolled: 1-line block ×3, first 2 shown]
	s_delay_alu instid0(VALU_DEP_2) | instskip(NEXT) | instid1(VALU_DEP_2)
	v_dual_cndmask_b32 v4, v13, v4 :: v_dual_cndmask_b32 v7, v10, v9
	v_cndmask_b32_e32 v5, v11, v5, vcc_lo
	s_delay_alu instid0(VALU_DEP_2) | instskip(NEXT) | instid1(VALU_DEP_3)
	v_bfe_u32 v8, v4, 29, 1
	v_alignbit_b32 v9, v4, v7, 30
	s_delay_alu instid0(VALU_DEP_3) | instskip(SKIP_1) | instid1(VALU_DEP_4)
	v_alignbit_b32 v7, v7, v5, 30
	v_alignbit_b32 v5, v5, v6, 30
	v_sub_nc_u32_e32 v10, 0, v8
	s_delay_alu instid0(VALU_DEP_1) | instskip(NEXT) | instid1(VALU_DEP_4)
	v_xor_b32_e32 v9, v9, v10
	v_xor_b32_e32 v6, v7, v10
	s_delay_alu instid0(VALU_DEP_4) | instskip(NEXT) | instid1(VALU_DEP_3)
	v_dual_lshrrev_b32 v10, 29, v4 :: v_dual_bitop2_b32 v5, v5, v10 bitop3:0x14
	v_clz_i32_u32_e32 v11, v9
	s_delay_alu instid0(VALU_DEP_1) | instskip(NEXT) | instid1(VALU_DEP_1)
	v_min_u32_e32 v11, 32, v11
	v_dual_sub_nc_u32 v7, 31, v11 :: v_dual_lshlrev_b32 v12, 23, v11
	s_delay_alu instid0(VALU_DEP_1) | instskip(SKIP_2) | instid1(VALU_DEP_2)
	v_alignbit_b32 v9, v9, v6, v7
	v_alignbit_b32 v5, v6, v5, v7
	v_lshlrev_b32_e32 v6, 31, v10
	v_alignbit_b32 v7, v9, v5, 9
	s_delay_alu instid0(VALU_DEP_2) | instskip(SKIP_1) | instid1(VALU_DEP_3)
	v_dual_lshrrev_b32 v9, 9, v9 :: v_dual_bitop2_b32 v10, 0.5, v6 bitop3:0x54
	v_or_b32_e32 v6, 0x33000000, v6
	v_clz_i32_u32_e32 v13, v7
	s_delay_alu instid0(VALU_DEP_3) | instskip(NEXT) | instid1(VALU_DEP_2)
	v_sub_nc_u32_e32 v10, v10, v12
	v_min_u32_e32 v12, 32, v13
	s_delay_alu instid0(VALU_DEP_1) | instskip(NEXT) | instid1(VALU_DEP_3)
	v_add_lshl_u32 v11, v12, v11, 23
	v_or_b32_e32 v9, v9, v10
	v_not_b32_e32 v10, v12
	s_delay_alu instid0(VALU_DEP_2) | instskip(NEXT) | instid1(VALU_DEP_2)
	v_dual_mul_f32 v13, 0x3fc90fda, v9 :: v_dual_sub_nc_u32 v6, v6, v11
	v_alignbit_b32 v5, v7, v5, v10
	s_delay_alu instid0(VALU_DEP_2) | instskip(NEXT) | instid1(VALU_DEP_2)
	v_fma_f32 v7, 0x3fc90fda, v9, -v13
	v_lshrrev_b32_e32 v5, 9, v5
	s_delay_alu instid0(VALU_DEP_2) | instskip(NEXT) | instid1(VALU_DEP_2)
	v_fmamk_f32 v7, v9, 0x33a22168, v7
	v_or_b32_e32 v5, v6, v5
	s_delay_alu instid0(VALU_DEP_1) | instskip(NEXT) | instid1(VALU_DEP_1)
	v_fmac_f32_e32 v7, 0x3fc90fda, v5
	v_dual_add_f32 v4, v13, v7 :: v_dual_lshrrev_b32 v5, 30, v4
	s_delay_alu instid0(VALU_DEP_1)
	v_add_nc_u32_e32 v5, v8, v5
.LBB35_28:
	s_and_not1_saveexec_b32 s0, s18
; %bb.29:
	v_mul_f32_e64 v4, 0x3f22f983, |v1|
	s_delay_alu instid0(VALU_DEP_1) | instskip(NEXT) | instid1(VALU_DEP_1)
	v_rndne_f32_e32 v5, v4
	v_fma_f32 v4, 0xbfc90fda, v5, |v1|
	s_delay_alu instid0(VALU_DEP_1) | instskip(NEXT) | instid1(VALU_DEP_1)
	v_fmamk_f32 v4, v5, 0xb3a22168, v4
	v_fmamk_f32 v4, v5, 0xa7c234c4, v4
	v_cvt_i32_f32_e32 v5, v5
; %bb.30:
	s_or_b32 exec_lo, exec_lo, s0
	s_delay_alu instid0(VALU_DEP_1) | instskip(SKIP_3) | instid1(VALU_DEP_1)
	v_dual_mul_f32 v6, v4, v4 :: v_dual_bitop2_b32 v9, 1, v5 bitop3:0x40
	s_mov_b32 s0, 0xb94c1982
	s_mov_b32 s1, 0x37d75334
	s_mov_b32 s18, -1
	v_fmaak_f32 v7, s0, v6, 0x3c0881c4
	v_cmp_eq_u32_e32 vcc_lo, 0, v9
	s_mov_b32 s0, 0
	s_mov_b32 s25, 0
	v_lshlrev_b32_e32 v5, 30, v5
	v_fmaak_f32 v7, v6, v7, 0xbe2aaa9d
	v_fmaak_f32 v8, s1, v6, 0xbab64f3b
	s_and_b32 s1, s34, 0xff
	s_delay_alu instid0(SALU_CYCLE_1) | instskip(NEXT) | instid1(VALU_DEP_1)
	s_cmp_lt_i32 s1, 11
	v_dual_mul_f32 v7, v6, v7 :: v_dual_fmaak_f32 v8, v6, v8, 0x3d2aabf7
	v_bitop3_b32 v3, v3, v5, 0x80000000 bitop3:0x78
	s_delay_alu instid0(VALU_DEP_2) | instskip(NEXT) | instid1(VALU_DEP_3)
	v_fmac_f32_e32 v4, v4, v7
	v_fmaak_f32 v8, v6, v8, 0xbf000004
	s_delay_alu instid0(VALU_DEP_1) | instskip(NEXT) | instid1(VALU_DEP_1)
	v_fma_f32 v6, v6, v8, 1.0
	v_cndmask_b32_e32 v4, v6, v4, vcc_lo
	v_cmp_class_f32_e64 vcc_lo, v1, 0x1f8
	s_delay_alu instid0(VALU_DEP_2) | instskip(NEXT) | instid1(VALU_DEP_1)
	v_xor3_b32 v3, v3, v4, v1
	v_cndmask_b32_e32 v1, 0x7fc00000, v3, vcc_lo
	s_delay_alu instid0(VALU_DEP_1) | instskip(SKIP_1) | instid1(VALU_DEP_2)
	v_bfe_u32 v3, v1, 16, 1
	v_cmp_o_f32_e32 vcc_lo, v1, v1
	v_add3_u32 v4, v1, v3, 0x7fff
	s_delay_alu instid0(VALU_DEP_1) | instskip(NEXT) | instid1(VALU_DEP_1)
	v_dual_mov_b32 v3, 0 :: v_dual_lshrrev_b32 v4, 16, v4
	v_add_nc_u64_e32 v[2:3], s[4:5], v[2:3]
	s_delay_alu instid0(VALU_DEP_2)
	v_cndmask_b32_e32 v1, 0x7fc0, v4, vcc_lo
	s_cbranch_scc1 .LBB35_37
; %bb.31:
	s_and_b32 s18, 0xffff, s1
	s_delay_alu instid0(SALU_CYCLE_1)
	s_cmp_gt_i32 s18, 25
	s_cbranch_scc0 .LBB35_78
; %bb.32:
	s_cmp_gt_i32 s18, 28
	s_cbranch_scc0 .LBB35_80
; %bb.33:
	;; [unrolled: 3-line block ×4, first 2 shown]
	s_mov_b32 s26, 0
	s_mov_b32 s0, -1
	s_cmp_eq_u32 s18, 46
	s_cbranch_scc0 .LBB35_89
; %bb.36:
	v_and_b32_e32 v4, 0xffff, v1
	s_mov_b32 s25, -1
	s_mov_b32 s0, 0
	global_store_b32 v[2:3], v4, off
	s_branch .LBB35_89
.LBB35_37:
	s_and_b32 vcc_lo, exec_lo, s18
	s_cbranch_vccz .LBB35_158
; %bb.38:
	s_and_b32 s1, 0xffff, s1
	s_mov_b32 s18, -1
	s_cmp_lt_i32 s1, 5
	s_cbranch_scc1 .LBB35_59
; %bb.39:
	s_cmp_lt_i32 s1, 8
	s_cbranch_scc1 .LBB35_49
; %bb.40:
	;; [unrolled: 3-line block ×3, first 2 shown]
	s_cmp_gt_i32 s1, 9
	s_cbranch_scc0 .LBB35_43
; %bb.42:
	s_wait_xcnt 0x0
	v_dual_lshlrev_b32 v4, 16, v1 :: v_dual_mov_b32 v6, 0
	s_mov_b32 s18, 0
	s_delay_alu instid0(VALU_DEP_1) | instskip(NEXT) | instid1(VALU_DEP_2)
	v_cvt_f64_f32_e32 v[4:5], v4
	v_mov_b32_e32 v7, v6
	global_store_b128 v[2:3], v[4:7], off
.LBB35_43:
	s_and_not1_b32 vcc_lo, exec_lo, s18
	s_cbranch_vccnz .LBB35_45
; %bb.44:
	s_wait_xcnt 0x0
	v_dual_mov_b32 v5, 0 :: v_dual_lshlrev_b32 v4, 16, v1
	global_store_b64 v[2:3], v[4:5], off
.LBB35_45:
	s_mov_b32 s18, 0
.LBB35_46:
	s_delay_alu instid0(SALU_CYCLE_1)
	s_and_not1_b32 vcc_lo, exec_lo, s18
	s_cbranch_vccnz .LBB35_48
; %bb.47:
	s_wait_xcnt 0x0
	v_lshlrev_b32_e32 v4, 16, v1
	s_delay_alu instid0(VALU_DEP_1) | instskip(NEXT) | instid1(VALU_DEP_1)
	v_cvt_f16_f32_e32 v4, v4
	v_and_b32_e32 v4, 0xffff, v4
	global_store_b32 v[2:3], v4, off
.LBB35_48:
	s_mov_b32 s18, 0
.LBB35_49:
	s_delay_alu instid0(SALU_CYCLE_1)
	s_and_not1_b32 vcc_lo, exec_lo, s18
	s_cbranch_vccnz .LBB35_58
; %bb.50:
	s_cmp_lt_i32 s1, 6
	s_mov_b32 s18, -1
	s_cbranch_scc1 .LBB35_56
; %bb.51:
	s_cmp_gt_i32 s1, 6
	s_cbranch_scc0 .LBB35_53
; %bb.52:
	s_wait_xcnt 0x0
	v_lshlrev_b32_e32 v4, 16, v1
	s_mov_b32 s18, 0
	s_delay_alu instid0(VALU_DEP_1)
	v_cvt_f64_f32_e32 v[4:5], v4
	global_store_b64 v[2:3], v[4:5], off
.LBB35_53:
	s_and_not1_b32 vcc_lo, exec_lo, s18
	s_cbranch_vccnz .LBB35_55
; %bb.54:
	s_wait_xcnt 0x0
	v_lshlrev_b32_e32 v4, 16, v1
	global_store_b32 v[2:3], v4, off
.LBB35_55:
	s_mov_b32 s18, 0
.LBB35_56:
	s_delay_alu instid0(SALU_CYCLE_1)
	s_and_not1_b32 vcc_lo, exec_lo, s18
	s_cbranch_vccnz .LBB35_58
; %bb.57:
	s_wait_xcnt 0x0
	v_lshlrev_b32_e32 v4, 16, v1
	s_delay_alu instid0(VALU_DEP_1)
	v_cvt_f16_f32_e32 v4, v4
	global_store_b16 v[2:3], v4, off
.LBB35_58:
	s_mov_b32 s18, 0
.LBB35_59:
	s_delay_alu instid0(SALU_CYCLE_1)
	s_and_not1_b32 vcc_lo, exec_lo, s18
	s_cbranch_vccnz .LBB35_75
; %bb.60:
	s_cmp_lt_i32 s1, 2
	s_mov_b32 s18, -1
	s_cbranch_scc1 .LBB35_70
; %bb.61:
	s_cmp_lt_i32 s1, 3
	s_cbranch_scc1 .LBB35_67
; %bb.62:
	s_cmp_gt_i32 s1, 3
	s_cbranch_scc0 .LBB35_64
; %bb.63:
	s_wait_xcnt 0x0
	v_lshlrev_b32_e32 v4, 16, v1
	s_mov_b32 s18, 0
	s_delay_alu instid0(VALU_DEP_1) | instskip(NEXT) | instid1(VALU_DEP_1)
	v_trunc_f32_e32 v4, v4
	v_mul_f32_e64 v5, 0x2f800000, |v4|
	s_delay_alu instid0(VALU_DEP_1) | instskip(NEXT) | instid1(VALU_DEP_1)
	v_floor_f32_e32 v5, v5
	v_fma_f32 v6, 0xcf800000, v5, |v4|
	v_ashrrev_i32_e32 v4, 31, v4
	v_cvt_u32_f32_e32 v7, v5
	s_delay_alu instid0(VALU_DEP_3) | instskip(NEXT) | instid1(VALU_DEP_2)
	v_cvt_u32_f32_e32 v6, v6
	v_dual_mov_b32 v5, v4 :: v_dual_bitop2_b32 v7, v7, v4 bitop3:0x14
	s_delay_alu instid0(VALU_DEP_2) | instskip(NEXT) | instid1(VALU_DEP_1)
	v_xor_b32_e32 v6, v6, v4
	v_sub_nc_u64_e32 v[4:5], v[6:7], v[4:5]
	global_store_b64 v[2:3], v[4:5], off
.LBB35_64:
	s_and_not1_b32 vcc_lo, exec_lo, s18
	s_cbranch_vccnz .LBB35_66
; %bb.65:
	s_wait_xcnt 0x0
	v_lshlrev_b32_e32 v4, 16, v1
	s_delay_alu instid0(VALU_DEP_1)
	v_cvt_i32_f32_e32 v4, v4
	global_store_b32 v[2:3], v4, off
.LBB35_66:
	s_mov_b32 s18, 0
.LBB35_67:
	s_delay_alu instid0(SALU_CYCLE_1)
	s_and_not1_b32 vcc_lo, exec_lo, s18
	s_cbranch_vccnz .LBB35_69
; %bb.68:
	s_wait_xcnt 0x0
	v_lshlrev_b32_e32 v4, 16, v1
	s_delay_alu instid0(VALU_DEP_1)
	v_cvt_i32_f32_e32 v4, v4
	global_store_b16 v[2:3], v4, off
.LBB35_69:
	s_mov_b32 s18, 0
.LBB35_70:
	s_delay_alu instid0(SALU_CYCLE_1)
	s_and_not1_b32 vcc_lo, exec_lo, s18
	s_cbranch_vccnz .LBB35_75
; %bb.71:
	s_cmp_gt_i32 s1, 0
	s_mov_b32 s1, -1
	s_cbranch_scc0 .LBB35_73
; %bb.72:
	s_wait_xcnt 0x0
	v_lshlrev_b32_e32 v4, 16, v1
	s_mov_b32 s1, 0
	s_delay_alu instid0(VALU_DEP_1)
	v_cvt_i32_f32_e32 v4, v4
	global_store_b8 v[2:3], v4, off
.LBB35_73:
	s_and_not1_b32 vcc_lo, exec_lo, s1
	s_cbranch_vccnz .LBB35_75
; %bb.74:
	s_wait_xcnt 0x0
	v_lshlrev_b32_e32 v1, 16, v1
	s_delay_alu instid0(VALU_DEP_1) | instskip(NEXT) | instid1(VALU_DEP_1)
	v_trunc_f32_e32 v1, v1
	v_mul_f32_e64 v4, 0x2f800000, |v1|
	s_delay_alu instid0(VALU_DEP_1) | instskip(NEXT) | instid1(VALU_DEP_1)
	v_floor_f32_e32 v4, v4
	v_fma_f32 v4, 0xcf800000, v4, |v1|
	v_ashrrev_i32_e32 v1, 31, v1
	s_delay_alu instid0(VALU_DEP_2) | instskip(NEXT) | instid1(VALU_DEP_1)
	v_cvt_u32_f32_e32 v4, v4
	v_xor_b32_e32 v4, v4, v1
	s_delay_alu instid0(VALU_DEP_1)
	v_sub_nc_u32_e32 v1, v4, v1
	global_store_b8 v[2:3], v1, off
.LBB35_75:
	s_branch .LBB35_159
.LBB35_76:
	s_mov_b32 s24, 0
	s_mov_b32 s1, 0
                                        ; implicit-def: $vgpr1
	s_cbranch_execnz .LBB35_186
	s_branch .LBB35_220
.LBB35_77:
	s_mov_b32 s18, -1
	s_mov_b32 s24, 0
	s_mov_b32 s1, 0
                                        ; implicit-def: $vgpr1
	s_branch .LBB35_167
.LBB35_78:
	s_mov_b32 s26, -1
	s_branch .LBB35_116
.LBB35_79:
	s_mov_b32 s18, -1
	s_mov_b32 s24, 0
	s_mov_b32 s1, 0
                                        ; implicit-def: $vgpr1
	s_branch .LBB35_162
.LBB35_80:
	s_mov_b32 s26, -1
	s_branch .LBB35_99
.LBB35_81:
	s_mov_b32 s18, -1
	s_mov_b32 s24, 0
	s_branch .LBB35_84
.LBB35_82:
	s_mov_b32 s26, -1
	s_branch .LBB35_95
.LBB35_83:
	s_mov_b32 s24, -1
.LBB35_84:
	s_mov_b32 s1, 0
                                        ; implicit-def: $vgpr1
.LBB35_85:
	s_and_b32 vcc_lo, exec_lo, s18
	s_cbranch_vccz .LBB35_161
; %bb.86:
	s_cmp_eq_u32 s0, 44
	s_cbranch_scc0 .LBB35_160
; %bb.87:
	s_wait_loadcnt 0x0
	global_load_u8 v1, v[4:5], off
	s_mov_b32 s24, 0
	s_mov_b32 s1, -1
	s_wait_loadcnt 0x0
	v_lshlrev_b32_e32 v3, 23, v1
	v_cmp_ne_u32_e32 vcc_lo, 0xff, v1
	s_delay_alu instid0(VALU_DEP_2) | instskip(SKIP_1) | instid1(VALU_DEP_2)
	v_cndmask_b32_e32 v3, 0x7f800001, v3, vcc_lo
	v_cmp_ne_u32_e32 vcc_lo, 0, v1
	v_cndmask_b32_e32 v1, 0x400000, v3, vcc_lo
	s_delay_alu instid0(VALU_DEP_1) | instskip(SKIP_1) | instid1(VALU_DEP_2)
	v_add_nc_u32_e32 v3, 0x7fff, v1
	v_cmp_o_f32_e32 vcc_lo, v1, v1
	v_lshrrev_b32_e32 v3, 16, v3
	s_delay_alu instid0(VALU_DEP_1)
	v_cndmask_b32_e32 v1, 0x7fc0, v3, vcc_lo
	s_branch .LBB35_161
.LBB35_88:
	s_mov_b32 s26, -1
.LBB35_89:
	s_delay_alu instid0(SALU_CYCLE_1)
	s_and_b32 vcc_lo, exec_lo, s26
	s_cbranch_vccz .LBB35_94
; %bb.90:
	s_cmp_eq_u32 s18, 44
	s_mov_b32 s0, -1
	s_cbranch_scc0 .LBB35_94
; %bb.91:
	s_wait_xcnt 0x0
	v_and_b32_e32 v4, 0xffff, v1
	v_mov_b32_e32 v5, 0xff
	s_mov_b32 s25, exec_lo
	s_delay_alu instid0(VALU_DEP_2) | instskip(NEXT) | instid1(VALU_DEP_1)
	v_bfe_u32 v6, v4, 7, 8
	v_cmpx_ne_u32_e32 0xff, v6
	s_cbranch_execz .LBB35_93
; %bb.92:
	v_dual_lshlrev_b32 v5, 16, v4 :: v_dual_bitop2_b32 v7, 64, v4 bitop3:0x40
	v_lshrrev_b32_e32 v4, 7, v4
	s_delay_alu instid0(VALU_DEP_2) | instskip(NEXT) | instid1(VALU_DEP_3)
	v_and_or_b32 v5, 0x3f0000, v5, v6
	v_cmp_ne_u32_e32 vcc_lo, 0, v7
	s_delay_alu instid0(VALU_DEP_2) | instskip(SKIP_1) | instid1(SALU_CYCLE_1)
	v_cmp_ne_u32_e64 s0, 0, v5
	s_and_b32 s0, vcc_lo, s0
	v_cndmask_b32_e64 v5, 0, 1, s0
	s_delay_alu instid0(VALU_DEP_1)
	v_add_nc_u32_e32 v5, v4, v5
.LBB35_93:
	s_or_b32 exec_lo, exec_lo, s25
	s_mov_b32 s25, -1
	s_mov_b32 s0, 0
	global_store_b8 v[2:3], v5, off
.LBB35_94:
	s_mov_b32 s26, 0
.LBB35_95:
	s_delay_alu instid0(SALU_CYCLE_1)
	s_and_b32 vcc_lo, exec_lo, s26
	s_cbranch_vccz .LBB35_98
; %bb.96:
	s_cmp_eq_u32 s18, 29
	s_mov_b32 s0, -1
	s_cbranch_scc0 .LBB35_98
; %bb.97:
	s_wait_xcnt 0x0
	v_lshlrev_b32_e32 v4, 16, v1
	s_mov_b32 s25, -1
	s_mov_b32 s0, 0
	s_mov_b32 s26, 0
	s_delay_alu instid0(VALU_DEP_1) | instskip(NEXT) | instid1(VALU_DEP_1)
	v_trunc_f32_e32 v4, v4
	v_mul_f32_e32 v5, 0x2f800000, v4
	s_delay_alu instid0(VALU_DEP_1) | instskip(NEXT) | instid1(VALU_DEP_1)
	v_floor_f32_e32 v5, v5
	v_fmamk_f32 v4, v5, 0xcf800000, v4
	v_cvt_u32_f32_e32 v5, v5
	s_delay_alu instid0(VALU_DEP_2)
	v_cvt_u32_f32_e32 v4, v4
	global_store_b64 v[2:3], v[4:5], off
	s_branch .LBB35_99
.LBB35_98:
	s_mov_b32 s26, 0
.LBB35_99:
	s_delay_alu instid0(SALU_CYCLE_1)
	s_and_b32 vcc_lo, exec_lo, s26
	s_cbranch_vccz .LBB35_115
; %bb.100:
	s_cmp_lt_i32 s18, 27
	s_mov_b32 s25, -1
	s_cbranch_scc1 .LBB35_106
; %bb.101:
	s_cmp_gt_i32 s18, 27
	s_cbranch_scc0 .LBB35_103
; %bb.102:
	s_wait_xcnt 0x0
	v_lshlrev_b32_e32 v4, 16, v1
	s_mov_b32 s25, 0
	s_delay_alu instid0(VALU_DEP_1)
	v_cvt_u32_f32_e32 v4, v4
	global_store_b32 v[2:3], v4, off
.LBB35_103:
	s_and_not1_b32 vcc_lo, exec_lo, s25
	s_cbranch_vccnz .LBB35_105
; %bb.104:
	s_wait_xcnt 0x0
	v_lshlrev_b32_e32 v4, 16, v1
	s_delay_alu instid0(VALU_DEP_1)
	v_cvt_u32_f32_e32 v4, v4
	global_store_b16 v[2:3], v4, off
.LBB35_105:
	s_mov_b32 s25, 0
.LBB35_106:
	s_delay_alu instid0(SALU_CYCLE_1)
	s_and_not1_b32 vcc_lo, exec_lo, s25
	s_cbranch_vccnz .LBB35_114
; %bb.107:
	v_dual_mov_b32 v7, 0x80 :: v_dual_lshlrev_b32 v6, 16, v1
	s_mov_b32 s25, exec_lo
	s_wait_xcnt 0x0
	s_delay_alu instid0(VALU_DEP_1) | instskip(NEXT) | instid1(VALU_DEP_1)
	v_and_b32_e32 v5, 0x7fffffff, v6
	v_cmpx_gt_u32_e32 0x43800000, v5
	s_cbranch_execz .LBB35_113
; %bb.108:
	v_and_b32_e32 v4, 0xffff, v1
	v_cmp_lt_u32_e32 vcc_lo, 0x3bffffff, v5
	s_mov_b32 s26, 0
                                        ; implicit-def: $vgpr5
	s_and_saveexec_b32 s27, vcc_lo
	s_delay_alu instid0(SALU_CYCLE_1)
	s_xor_b32 s27, exec_lo, s27
	s_cbranch_execz .LBB35_357
; %bb.109:
	v_bfe_u32 v5, v4, 4, 1
	s_mov_b32 s26, exec_lo
	s_delay_alu instid0(VALU_DEP_1) | instskip(NEXT) | instid1(VALU_DEP_1)
	v_add3_u32 v5, v6, v5, 0x487ffff
                                        ; implicit-def: $vgpr6
	v_lshrrev_b32_e32 v5, 20, v5
	s_and_not1_saveexec_b32 s27, s27
	s_cbranch_execnz .LBB35_358
.LBB35_110:
	s_or_b32 exec_lo, exec_lo, s27
	v_mov_b32_e32 v7, 0
	s_and_saveexec_b32 s27, s26
.LBB35_111:
	v_lshrrev_b32_e32 v4, 8, v4
	s_delay_alu instid0(VALU_DEP_1)
	v_and_or_b32 v7, 0x80, v4, v5
.LBB35_112:
	s_or_b32 exec_lo, exec_lo, s27
.LBB35_113:
	s_delay_alu instid0(SALU_CYCLE_1)
	s_or_b32 exec_lo, exec_lo, s25
	global_store_b8 v[2:3], v7, off
.LBB35_114:
	s_mov_b32 s25, -1
.LBB35_115:
	s_mov_b32 s26, 0
.LBB35_116:
	s_delay_alu instid0(SALU_CYCLE_1)
	s_and_b32 vcc_lo, exec_lo, s26
	s_cbranch_vccz .LBB35_157
; %bb.117:
	s_cmp_gt_i32 s18, 22
	s_mov_b32 s26, -1
	s_cbranch_scc0 .LBB35_149
; %bb.118:
	s_cmp_lt_i32 s18, 24
	s_mov_b32 s25, -1
	s_cbranch_scc1 .LBB35_138
; %bb.119:
	s_cmp_gt_i32 s18, 24
	s_cbranch_scc0 .LBB35_127
; %bb.120:
	s_wait_xcnt 0x0
	v_dual_mov_b32 v7, 0x80 :: v_dual_lshlrev_b32 v6, 16, v1
	s_mov_b32 s25, exec_lo
	s_delay_alu instid0(VALU_DEP_1) | instskip(NEXT) | instid1(VALU_DEP_1)
	v_and_b32_e32 v5, 0x7fffffff, v6
	v_cmpx_gt_u32_e32 0x47800000, v5
	s_cbranch_execz .LBB35_126
; %bb.121:
	v_and_b32_e32 v4, 0xffff, v1
	v_cmp_lt_u32_e32 vcc_lo, 0x37ffffff, v5
	s_mov_b32 s26, 0
                                        ; implicit-def: $vgpr5
	s_and_saveexec_b32 s27, vcc_lo
	s_delay_alu instid0(SALU_CYCLE_1)
	s_xor_b32 s27, exec_lo, s27
	s_cbranch_execz .LBB35_361
; %bb.122:
	v_bfe_u32 v5, v4, 5, 1
	s_mov_b32 s26, exec_lo
	s_delay_alu instid0(VALU_DEP_1) | instskip(NEXT) | instid1(VALU_DEP_1)
	v_add3_u32 v5, v6, v5, 0x88fffff
                                        ; implicit-def: $vgpr6
	v_lshrrev_b32_e32 v5, 21, v5
	s_and_not1_saveexec_b32 s27, s27
	s_cbranch_execnz .LBB35_362
.LBB35_123:
	s_or_b32 exec_lo, exec_lo, s27
	v_mov_b32_e32 v7, 0
	s_and_saveexec_b32 s27, s26
.LBB35_124:
	v_lshrrev_b32_e32 v4, 8, v4
	s_delay_alu instid0(VALU_DEP_1)
	v_and_or_b32 v7, 0x80, v4, v5
.LBB35_125:
	s_or_b32 exec_lo, exec_lo, s27
.LBB35_126:
	s_delay_alu instid0(SALU_CYCLE_1)
	s_or_b32 exec_lo, exec_lo, s25
	s_mov_b32 s25, 0
	global_store_b8 v[2:3], v7, off
.LBB35_127:
	s_and_b32 vcc_lo, exec_lo, s25
	s_cbranch_vccz .LBB35_137
; %bb.128:
	v_lshlrev_b32_e32 v6, 16, v1
	s_wait_xcnt 0x0
	v_and_b32_e32 v4, 0xffff, v1
	s_mov_b32 s25, exec_lo
                                        ; implicit-def: $vgpr5
	s_delay_alu instid0(VALU_DEP_2) | instskip(NEXT) | instid1(VALU_DEP_1)
	v_and_b32_e32 v7, 0x7fffffff, v6
	v_cmpx_gt_u32_e32 0x43f00000, v7
	s_xor_b32 s25, exec_lo, s25
	s_cbranch_execz .LBB35_134
; %bb.129:
	s_mov_b32 s26, exec_lo
                                        ; implicit-def: $vgpr5
	v_cmpx_lt_u32_e32 0x3c7fffff, v7
	s_xor_b32 s26, exec_lo, s26
; %bb.130:
	v_bfe_u32 v5, v4, 4, 1
	s_delay_alu instid0(VALU_DEP_1) | instskip(NEXT) | instid1(VALU_DEP_1)
	v_add3_u32 v5, v6, v5, 0x407ffff
	v_and_b32_e32 v6, 0xff00000, v5
	v_lshrrev_b32_e32 v5, 20, v5
	s_delay_alu instid0(VALU_DEP_2) | instskip(NEXT) | instid1(VALU_DEP_2)
	v_cmp_ne_u32_e32 vcc_lo, 0x7f00000, v6
                                        ; implicit-def: $vgpr6
	v_cndmask_b32_e32 v5, 0x7e, v5, vcc_lo
; %bb.131:
	s_and_not1_saveexec_b32 s26, s26
; %bb.132:
	v_add_f32_e64 v5, 0x46800000, |v6|
; %bb.133:
	s_or_b32 exec_lo, exec_lo, s26
                                        ; implicit-def: $vgpr7
.LBB35_134:
	s_and_not1_saveexec_b32 s25, s25
; %bb.135:
	v_mov_b32_e32 v5, 0x7f
	v_cmp_lt_u32_e32 vcc_lo, 0x7f800000, v7
	s_delay_alu instid0(VALU_DEP_2)
	v_cndmask_b32_e32 v5, 0x7e, v5, vcc_lo
; %bb.136:
	s_or_b32 exec_lo, exec_lo, s25
	v_lshrrev_b32_e32 v4, 8, v4
	s_delay_alu instid0(VALU_DEP_1)
	v_and_or_b32 v4, 0x80, v4, v5
	global_store_b8 v[2:3], v4, off
.LBB35_137:
	s_mov_b32 s25, 0
.LBB35_138:
	s_delay_alu instid0(SALU_CYCLE_1)
	s_and_not1_b32 vcc_lo, exec_lo, s25
	s_cbranch_vccnz .LBB35_148
; %bb.139:
	v_lshlrev_b32_e32 v6, 16, v1
	s_wait_xcnt 0x0
	v_and_b32_e32 v4, 0xffff, v1
	s_mov_b32 s25, exec_lo
                                        ; implicit-def: $vgpr5
	s_delay_alu instid0(VALU_DEP_2) | instskip(NEXT) | instid1(VALU_DEP_1)
	v_and_b32_e32 v7, 0x7fffffff, v6
	v_cmpx_gt_u32_e32 0x47800000, v7
	s_xor_b32 s25, exec_lo, s25
	s_cbranch_execz .LBB35_145
; %bb.140:
	s_mov_b32 s26, exec_lo
                                        ; implicit-def: $vgpr5
	v_cmpx_lt_u32_e32 0x387fffff, v7
	s_xor_b32 s26, exec_lo, s26
; %bb.141:
	v_bfe_u32 v5, v4, 5, 1
	s_delay_alu instid0(VALU_DEP_1) | instskip(NEXT) | instid1(VALU_DEP_1)
	v_add3_u32 v5, v6, v5, 0x80fffff
                                        ; implicit-def: $vgpr6
	v_lshrrev_b32_e32 v5, 21, v5
; %bb.142:
	s_and_not1_saveexec_b32 s26, s26
; %bb.143:
	v_add_f32_e64 v5, 0x43000000, |v6|
; %bb.144:
	s_or_b32 exec_lo, exec_lo, s26
                                        ; implicit-def: $vgpr7
.LBB35_145:
	s_and_not1_saveexec_b32 s25, s25
; %bb.146:
	v_mov_b32_e32 v5, 0x7f
	v_cmp_lt_u32_e32 vcc_lo, 0x7f800000, v7
	s_delay_alu instid0(VALU_DEP_2)
	v_cndmask_b32_e32 v5, 0x7c, v5, vcc_lo
; %bb.147:
	s_or_b32 exec_lo, exec_lo, s25
	v_lshrrev_b32_e32 v4, 8, v4
	s_delay_alu instid0(VALU_DEP_1)
	v_and_or_b32 v4, 0x80, v4, v5
	global_store_b8 v[2:3], v4, off
.LBB35_148:
	s_mov_b32 s26, 0
	s_mov_b32 s25, -1
.LBB35_149:
	s_and_not1_b32 vcc_lo, exec_lo, s26
	s_cbranch_vccnz .LBB35_157
; %bb.150:
	s_cmp_gt_i32 s18, 14
	s_mov_b32 s26, -1
	s_cbranch_scc0 .LBB35_154
; %bb.151:
	s_cmp_eq_u32 s18, 15
	s_mov_b32 s0, -1
	s_cbranch_scc0 .LBB35_153
; %bb.152:
	s_mov_b32 s25, -1
	s_mov_b32 s0, 0
	global_store_b16 v[2:3], v1, off
.LBB35_153:
	s_mov_b32 s26, 0
.LBB35_154:
	s_delay_alu instid0(SALU_CYCLE_1)
	s_and_b32 vcc_lo, exec_lo, s26
	s_cbranch_vccz .LBB35_157
; %bb.155:
	s_cmp_eq_u32 s18, 11
	s_mov_b32 s0, -1
	s_cbranch_scc0 .LBB35_157
; %bb.156:
	s_wait_xcnt 0x0
	v_and_b32_e32 v4, 0x7fff, v1
	s_mov_b32 s0, 0
	s_mov_b32 s25, -1
	s_delay_alu instid0(VALU_DEP_1)
	v_cmp_ne_u16_e32 vcc_lo, 0, v4
	v_cndmask_b32_e64 v4, 0, 1, vcc_lo
	global_store_b8 v[2:3], v4, off
.LBB35_157:
.LBB35_158:
	s_and_not1_b32 vcc_lo, exec_lo, s25
	s_cbranch_vccnz .LBB35_269
.LBB35_159:
	v_add_nc_u32_e32 v0, 0x80, v0
	s_mov_b32 s1, -1
	s_branch .LBB35_270
.LBB35_160:
	s_mov_b32 s24, -1
                                        ; implicit-def: $vgpr1
.LBB35_161:
	s_mov_b32 s18, 0
.LBB35_162:
	s_delay_alu instid0(SALU_CYCLE_1)
	s_and_b32 vcc_lo, exec_lo, s18
	s_cbranch_vccz .LBB35_166
; %bb.163:
	s_cmp_eq_u32 s0, 29
	s_cbranch_scc0 .LBB35_165
; %bb.164:
	global_load_b64 v[6:7], v[4:5], off
	s_mov_b32 s1, -1
	s_mov_b32 s24, 0
	s_mov_b32 s18, 0
	s_wait_loadcnt 0x0
	v_clz_i32_u32_e32 v1, v7
	s_delay_alu instid0(VALU_DEP_1) | instskip(NEXT) | instid1(VALU_DEP_1)
	v_min_u32_e32 v1, 32, v1
	v_lshlrev_b64_e32 v[6:7], v1, v[6:7]
	v_sub_nc_u32_e32 v1, 32, v1
	s_delay_alu instid0(VALU_DEP_2) | instskip(NEXT) | instid1(VALU_DEP_1)
	v_min_u32_e32 v3, 1, v6
	v_or_b32_e32 v3, v7, v3
	s_delay_alu instid0(VALU_DEP_1) | instskip(NEXT) | instid1(VALU_DEP_1)
	v_cvt_f32_u32_e32 v3, v3
	v_ldexp_f32 v1, v3, v1
	s_delay_alu instid0(VALU_DEP_1) | instskip(NEXT) | instid1(VALU_DEP_1)
	v_bfe_u32 v3, v1, 16, 1
	v_add3_u32 v1, v1, v3, 0x7fff
	s_delay_alu instid0(VALU_DEP_1)
	v_lshrrev_b32_e32 v1, 16, v1
	s_branch .LBB35_167
.LBB35_165:
	s_mov_b32 s24, -1
                                        ; implicit-def: $vgpr1
.LBB35_166:
	s_mov_b32 s18, 0
.LBB35_167:
	s_delay_alu instid0(SALU_CYCLE_1)
	s_and_b32 vcc_lo, exec_lo, s18
	s_cbranch_vccz .LBB35_185
; %bb.168:
	s_cmp_lt_i32 s0, 27
	s_cbranch_scc1 .LBB35_171
; %bb.169:
	s_cmp_gt_i32 s0, 27
	s_cbranch_scc0 .LBB35_172
; %bb.170:
	s_wait_loadcnt 0x0
	global_load_b32 v1, v[4:5], off
	s_mov_b32 s1, 0
	s_wait_loadcnt 0x0
	v_cvt_f32_u32_e32 v1, v1
	s_delay_alu instid0(VALU_DEP_1) | instskip(NEXT) | instid1(VALU_DEP_1)
	v_bfe_u32 v3, v1, 16, 1
	v_add3_u32 v1, v1, v3, 0x7fff
	s_delay_alu instid0(VALU_DEP_1)
	v_lshrrev_b32_e32 v1, 16, v1
	s_branch .LBB35_173
.LBB35_171:
	s_mov_b32 s1, -1
                                        ; implicit-def: $vgpr1
	s_branch .LBB35_176
.LBB35_172:
	s_mov_b32 s1, -1
                                        ; implicit-def: $vgpr1
.LBB35_173:
	s_delay_alu instid0(SALU_CYCLE_1)
	s_and_not1_b32 vcc_lo, exec_lo, s1
	s_cbranch_vccnz .LBB35_175
; %bb.174:
	s_wait_loadcnt 0x0
	global_load_u16 v1, v[4:5], off
	s_wait_loadcnt 0x0
	v_cvt_f32_u32_e32 v1, v1
	s_delay_alu instid0(VALU_DEP_1) | instskip(NEXT) | instid1(VALU_DEP_1)
	v_bfe_u32 v3, v1, 16, 1
	v_add3_u32 v1, v1, v3, 0x7fff
	s_delay_alu instid0(VALU_DEP_1)
	v_lshrrev_b32_e32 v1, 16, v1
.LBB35_175:
	s_mov_b32 s1, 0
.LBB35_176:
	s_delay_alu instid0(SALU_CYCLE_1)
	s_and_not1_b32 vcc_lo, exec_lo, s1
	s_cbranch_vccnz .LBB35_184
; %bb.177:
	s_wait_loadcnt 0x0
	global_load_u8 v1, v[4:5], off
	s_mov_b32 s1, 0
	s_mov_b32 s18, exec_lo
	s_wait_loadcnt 0x0
	v_cmpx_lt_i16_e32 0x7f, v1
	s_xor_b32 s18, exec_lo, s18
	s_cbranch_execz .LBB35_197
; %bb.178:
	s_mov_b32 s1, -1
	s_mov_b32 s25, exec_lo
	v_cmpx_eq_u16_e32 0x80, v1
; %bb.179:
	s_xor_b32 s1, exec_lo, -1
; %bb.180:
	s_or_b32 exec_lo, exec_lo, s25
	s_delay_alu instid0(SALU_CYCLE_1)
	s_and_b32 s1, s1, exec_lo
	s_or_saveexec_b32 s18, s18
	v_mov_b32_e32 v3, 0x7f800001
	s_xor_b32 exec_lo, exec_lo, s18
	s_cbranch_execnz .LBB35_198
.LBB35_181:
	s_or_b32 exec_lo, exec_lo, s18
	s_and_saveexec_b32 s18, s1
	s_cbranch_execz .LBB35_183
.LBB35_182:
	v_and_b32_e32 v3, 0xffff, v1
	s_delay_alu instid0(VALU_DEP_1) | instskip(SKIP_1) | instid1(VALU_DEP_2)
	v_dual_lshlrev_b32 v1, 24, v1 :: v_dual_bitop2_b32 v6, 7, v3 bitop3:0x40
	v_bfe_u32 v9, v3, 3, 4
	v_and_b32_e32 v1, 0x80000000, v1
	s_delay_alu instid0(VALU_DEP_3) | instskip(NEXT) | instid1(VALU_DEP_3)
	v_clz_i32_u32_e32 v7, v6
	v_cmp_eq_u32_e32 vcc_lo, 0, v9
	s_delay_alu instid0(VALU_DEP_2) | instskip(NEXT) | instid1(VALU_DEP_1)
	v_min_u32_e32 v7, 32, v7
	v_subrev_nc_u32_e32 v8, 28, v7
	v_sub_nc_u32_e32 v7, 29, v7
	s_delay_alu instid0(VALU_DEP_2) | instskip(NEXT) | instid1(VALU_DEP_2)
	v_lshlrev_b32_e32 v3, v8, v3
	v_cndmask_b32_e32 v7, v9, v7, vcc_lo
	s_delay_alu instid0(VALU_DEP_2) | instskip(NEXT) | instid1(VALU_DEP_1)
	v_and_b32_e32 v3, 7, v3
	v_cndmask_b32_e32 v3, v6, v3, vcc_lo
	s_delay_alu instid0(VALU_DEP_3) | instskip(NEXT) | instid1(VALU_DEP_2)
	v_lshl_add_u32 v6, v7, 23, 0x3b800000
	v_lshlrev_b32_e32 v3, 20, v3
	s_delay_alu instid0(VALU_DEP_1)
	v_or3_b32 v3, v1, v6, v3
.LBB35_183:
	s_or_b32 exec_lo, exec_lo, s18
	s_delay_alu instid0(VALU_DEP_1) | instskip(SKIP_1) | instid1(VALU_DEP_2)
	v_bfe_u32 v1, v3, 16, 1
	v_cmp_o_f32_e32 vcc_lo, v3, v3
	v_add3_u32 v1, v3, v1, 0x7fff
	s_delay_alu instid0(VALU_DEP_1) | instskip(NEXT) | instid1(VALU_DEP_1)
	v_lshrrev_b32_e32 v1, 16, v1
	v_cndmask_b32_e32 v1, 0x7fc0, v1, vcc_lo
.LBB35_184:
	s_mov_b32 s1, -1
.LBB35_185:
	s_branch .LBB35_220
.LBB35_186:
	s_cmp_gt_i32 s0, 22
	s_cbranch_scc0 .LBB35_196
; %bb.187:
	s_cmp_lt_i32 s0, 24
	s_cbranch_scc1 .LBB35_199
; %bb.188:
	s_cmp_gt_i32 s0, 24
	s_cbranch_scc0 .LBB35_200
; %bb.189:
	s_wait_loadcnt 0x0
	global_load_u8 v1, v[4:5], off
	s_mov_b32 s1, 0
	s_mov_b32 s18, exec_lo
	s_wait_loadcnt 0x0
	v_cmpx_lt_i16_e32 0x7f, v1
	s_xor_b32 s18, exec_lo, s18
	s_cbranch_execz .LBB35_212
; %bb.190:
	s_mov_b32 s1, -1
	s_mov_b32 s25, exec_lo
	v_cmpx_eq_u16_e32 0x80, v1
; %bb.191:
	s_xor_b32 s1, exec_lo, -1
; %bb.192:
	s_or_b32 exec_lo, exec_lo, s25
	s_delay_alu instid0(SALU_CYCLE_1)
	s_and_b32 s1, s1, exec_lo
	s_or_saveexec_b32 s18, s18
	v_mov_b32_e32 v3, 0x7f800001
	s_xor_b32 exec_lo, exec_lo, s18
	s_cbranch_execnz .LBB35_213
.LBB35_193:
	s_or_b32 exec_lo, exec_lo, s18
	s_and_saveexec_b32 s18, s1
	s_cbranch_execz .LBB35_195
.LBB35_194:
	v_and_b32_e32 v3, 0xffff, v1
	s_delay_alu instid0(VALU_DEP_1) | instskip(SKIP_1) | instid1(VALU_DEP_2)
	v_dual_lshlrev_b32 v1, 24, v1 :: v_dual_bitop2_b32 v6, 3, v3 bitop3:0x40
	v_bfe_u32 v9, v3, 2, 5
	v_and_b32_e32 v1, 0x80000000, v1
	s_delay_alu instid0(VALU_DEP_3) | instskip(NEXT) | instid1(VALU_DEP_3)
	v_clz_i32_u32_e32 v7, v6
	v_cmp_eq_u32_e32 vcc_lo, 0, v9
	s_delay_alu instid0(VALU_DEP_2) | instskip(NEXT) | instid1(VALU_DEP_1)
	v_min_u32_e32 v7, 32, v7
	v_subrev_nc_u32_e32 v8, 29, v7
	v_sub_nc_u32_e32 v7, 30, v7
	s_delay_alu instid0(VALU_DEP_2) | instskip(NEXT) | instid1(VALU_DEP_2)
	v_lshlrev_b32_e32 v3, v8, v3
	v_cndmask_b32_e32 v7, v9, v7, vcc_lo
	s_delay_alu instid0(VALU_DEP_2) | instskip(NEXT) | instid1(VALU_DEP_1)
	v_and_b32_e32 v3, 3, v3
	v_cndmask_b32_e32 v3, v6, v3, vcc_lo
	s_delay_alu instid0(VALU_DEP_3) | instskip(NEXT) | instid1(VALU_DEP_2)
	v_lshl_add_u32 v6, v7, 23, 0x37800000
	v_lshlrev_b32_e32 v3, 21, v3
	s_delay_alu instid0(VALU_DEP_1)
	v_or3_b32 v3, v1, v6, v3
.LBB35_195:
	s_or_b32 exec_lo, exec_lo, s18
	s_delay_alu instid0(VALU_DEP_1) | instskip(SKIP_2) | instid1(VALU_DEP_2)
	v_bfe_u32 v1, v3, 16, 1
	v_cmp_o_f32_e32 vcc_lo, v3, v3
	s_mov_b32 s1, 0
	v_add3_u32 v1, v3, v1, 0x7fff
	s_delay_alu instid0(VALU_DEP_1) | instskip(NEXT) | instid1(VALU_DEP_1)
	v_lshrrev_b32_e32 v1, 16, v1
	v_cndmask_b32_e32 v1, 0x7fc0, v1, vcc_lo
	s_branch .LBB35_201
.LBB35_196:
	s_mov_b32 s18, -1
                                        ; implicit-def: $vgpr1
	s_branch .LBB35_207
.LBB35_197:
	s_or_saveexec_b32 s18, s18
	v_mov_b32_e32 v3, 0x7f800001
	s_xor_b32 exec_lo, exec_lo, s18
	s_cbranch_execz .LBB35_181
.LBB35_198:
	v_cmp_ne_u16_e32 vcc_lo, 0, v1
	v_mov_b32_e32 v3, 0
	s_and_not1_b32 s1, s1, exec_lo
	s_and_b32 s25, vcc_lo, exec_lo
	s_delay_alu instid0(SALU_CYCLE_1)
	s_or_b32 s1, s1, s25
	s_or_b32 exec_lo, exec_lo, s18
	s_and_saveexec_b32 s18, s1
	s_cbranch_execnz .LBB35_182
	s_branch .LBB35_183
.LBB35_199:
	s_mov_b32 s1, -1
                                        ; implicit-def: $vgpr1
	s_branch .LBB35_204
.LBB35_200:
	s_mov_b32 s1, -1
                                        ; implicit-def: $vgpr1
.LBB35_201:
	s_delay_alu instid0(SALU_CYCLE_1)
	s_and_b32 vcc_lo, exec_lo, s1
	s_cbranch_vccz .LBB35_203
; %bb.202:
	s_wait_loadcnt 0x0
	global_load_u8 v1, v[4:5], off
	s_wait_loadcnt 0x0
	v_lshlrev_b32_e32 v1, 24, v1
	s_delay_alu instid0(VALU_DEP_1) | instskip(NEXT) | instid1(VALU_DEP_1)
	v_and_b32_e32 v3, 0x7f000000, v1
	v_clz_i32_u32_e32 v6, v3
	v_cmp_ne_u32_e32 vcc_lo, 0, v3
	v_add_nc_u32_e32 v8, 0x1000000, v3
	s_delay_alu instid0(VALU_DEP_3) | instskip(NEXT) | instid1(VALU_DEP_1)
	v_min_u32_e32 v6, 32, v6
	v_sub_nc_u32_e64 v6, v6, 4 clamp
	s_delay_alu instid0(VALU_DEP_1) | instskip(NEXT) | instid1(VALU_DEP_1)
	v_dual_lshlrev_b32 v7, v6, v3 :: v_dual_lshlrev_b32 v6, 23, v6
	v_lshrrev_b32_e32 v7, 4, v7
	s_delay_alu instid0(VALU_DEP_1) | instskip(NEXT) | instid1(VALU_DEP_1)
	v_dual_sub_nc_u32 v6, v7, v6 :: v_dual_ashrrev_i32 v7, 8, v8
	v_add_nc_u32_e32 v6, 0x3c000000, v6
	s_delay_alu instid0(VALU_DEP_1) | instskip(NEXT) | instid1(VALU_DEP_1)
	v_and_or_b32 v6, 0x7f800000, v7, v6
	v_cndmask_b32_e32 v3, 0, v6, vcc_lo
	s_delay_alu instid0(VALU_DEP_1) | instskip(SKIP_1) | instid1(VALU_DEP_2)
	v_and_or_b32 v1, 0x80000000, v1, v3
	v_bfe_u32 v3, v3, 16, 1
	v_cmp_o_f32_e32 vcc_lo, v1, v1
	s_delay_alu instid0(VALU_DEP_2) | instskip(NEXT) | instid1(VALU_DEP_1)
	v_add3_u32 v3, v1, v3, 0x7fff
	v_lshrrev_b32_e32 v3, 16, v3
	s_delay_alu instid0(VALU_DEP_1)
	v_cndmask_b32_e32 v1, 0x7fc0, v3, vcc_lo
.LBB35_203:
	s_mov_b32 s1, 0
.LBB35_204:
	s_delay_alu instid0(SALU_CYCLE_1)
	s_and_not1_b32 vcc_lo, exec_lo, s1
	s_cbranch_vccnz .LBB35_206
; %bb.205:
	s_wait_loadcnt 0x0
	global_load_u8 v1, v[4:5], off
	s_wait_loadcnt 0x0
	v_lshlrev_b32_e32 v3, 25, v1
	v_lshlrev_b16 v1, 8, v1
	s_delay_alu instid0(VALU_DEP_1) | instskip(SKIP_1) | instid1(VALU_DEP_2)
	v_and_or_b32 v7, 0x7f00, v1, 0.5
	v_bfe_i32 v1, v1, 0, 16
	v_add_f32_e32 v7, -0.5, v7
	v_lshrrev_b32_e32 v6, 4, v3
	v_cmp_gt_u32_e32 vcc_lo, 0x8000000, v3
	s_delay_alu instid0(VALU_DEP_2) | instskip(NEXT) | instid1(VALU_DEP_1)
	v_or_b32_e32 v6, 0x70000000, v6
	v_mul_f32_e32 v6, 0x7800000, v6
	s_delay_alu instid0(VALU_DEP_1) | instskip(NEXT) | instid1(VALU_DEP_1)
	v_cndmask_b32_e32 v3, v6, v7, vcc_lo
	v_and_or_b32 v1, 0x80000000, v1, v3
	v_bfe_u32 v3, v3, 16, 1
	s_delay_alu instid0(VALU_DEP_2) | instskip(NEXT) | instid1(VALU_DEP_2)
	v_cmp_o_f32_e32 vcc_lo, v1, v1
	v_add3_u32 v3, v1, v3, 0x7fff
	s_delay_alu instid0(VALU_DEP_1) | instskip(NEXT) | instid1(VALU_DEP_1)
	v_lshrrev_b32_e32 v3, 16, v3
	v_cndmask_b32_e32 v1, 0x7fc0, v3, vcc_lo
.LBB35_206:
	s_mov_b32 s18, 0
	s_mov_b32 s1, -1
.LBB35_207:
	s_and_not1_b32 vcc_lo, exec_lo, s18
	s_cbranch_vccnz .LBB35_220
; %bb.208:
	s_cmp_gt_i32 s0, 14
	s_cbranch_scc0 .LBB35_211
; %bb.209:
	s_cmp_eq_u32 s0, 15
	s_cbranch_scc0 .LBB35_214
; %bb.210:
	s_wait_loadcnt 0x0
	global_load_u16 v1, v[4:5], off
	s_mov_b32 s1, -1
	s_mov_b32 s24, 0
	s_branch .LBB35_215
.LBB35_211:
	s_mov_b32 s18, -1
                                        ; implicit-def: $vgpr1
	s_branch .LBB35_216
.LBB35_212:
	s_or_saveexec_b32 s18, s18
	v_mov_b32_e32 v3, 0x7f800001
	s_xor_b32 exec_lo, exec_lo, s18
	s_cbranch_execz .LBB35_193
.LBB35_213:
	v_cmp_ne_u16_e32 vcc_lo, 0, v1
	v_mov_b32_e32 v3, 0
	s_and_not1_b32 s1, s1, exec_lo
	s_and_b32 s25, vcc_lo, exec_lo
	s_delay_alu instid0(SALU_CYCLE_1)
	s_or_b32 s1, s1, s25
	s_or_b32 exec_lo, exec_lo, s18
	s_and_saveexec_b32 s18, s1
	s_cbranch_execnz .LBB35_194
	s_branch .LBB35_195
.LBB35_214:
	s_mov_b32 s24, -1
                                        ; implicit-def: $vgpr1
.LBB35_215:
	s_mov_b32 s18, 0
.LBB35_216:
	s_delay_alu instid0(SALU_CYCLE_1)
	s_and_b32 vcc_lo, exec_lo, s18
	s_cbranch_vccz .LBB35_220
; %bb.217:
	s_cmp_eq_u32 s0, 11
	s_cbranch_scc0 .LBB35_219
; %bb.218:
	s_wait_loadcnt 0x0
	global_load_u8 v1, v[4:5], off
	s_mov_b32 s24, 0
	s_mov_b32 s1, -1
	s_wait_loadcnt 0x0
	v_cmp_ne_u16_e32 vcc_lo, 0, v1
	v_cndmask_b32_e64 v1, 0, 1.0, vcc_lo
	s_delay_alu instid0(VALU_DEP_1)
	v_lshrrev_b32_e32 v1, 16, v1
	s_branch .LBB35_220
.LBB35_219:
	s_mov_b32 s24, -1
                                        ; implicit-def: $vgpr1
.LBB35_220:
	s_branch .LBB35_25
.LBB35_221:
	s_cmp_lt_i32 s0, 5
	s_cbranch_scc1 .LBB35_226
; %bb.222:
	s_cmp_lt_i32 s0, 8
	s_cbranch_scc1 .LBB35_227
; %bb.223:
	;; [unrolled: 3-line block ×3, first 2 shown]
	s_cmp_gt_i32 s0, 9
	s_cbranch_scc0 .LBB35_229
; %bb.225:
	global_load_b64 v[6:7], v[4:5], off
	s_mov_b32 s1, 0
	s_wait_loadcnt 0x0
	v_cvt_f32_f64_e32 v1, v[6:7]
	s_delay_alu instid0(VALU_DEP_1) | instskip(SKIP_1) | instid1(VALU_DEP_2)
	v_bfe_u32 v3, v1, 16, 1
	v_cmp_o_f32_e32 vcc_lo, v1, v1
	v_add3_u32 v3, v1, v3, 0x7fff
	s_delay_alu instid0(VALU_DEP_1) | instskip(NEXT) | instid1(VALU_DEP_1)
	v_lshrrev_b32_e32 v3, 16, v3
	v_cndmask_b32_e32 v1, 0x7fc0, v3, vcc_lo
	s_branch .LBB35_230
.LBB35_226:
                                        ; implicit-def: $vgpr1
	s_branch .LBB35_248
.LBB35_227:
	s_mov_b32 s1, -1
                                        ; implicit-def: $vgpr1
	s_branch .LBB35_236
.LBB35_228:
	s_mov_b32 s1, -1
                                        ; implicit-def: $vgpr1
	s_branch .LBB35_233
.LBB35_229:
	s_mov_b32 s1, -1
                                        ; implicit-def: $vgpr1
.LBB35_230:
	s_delay_alu instid0(SALU_CYCLE_1)
	s_and_not1_b32 vcc_lo, exec_lo, s1
	s_cbranch_vccnz .LBB35_232
; %bb.231:
	s_wait_loadcnt 0x0
	global_load_b32 v1, v[4:5], off
	s_wait_loadcnt 0x0
	v_bfe_u32 v3, v1, 16, 1
	v_cmp_o_f32_e32 vcc_lo, v1, v1
	s_delay_alu instid0(VALU_DEP_2) | instskip(NEXT) | instid1(VALU_DEP_1)
	v_add3_u32 v3, v1, v3, 0x7fff
	v_lshrrev_b32_e32 v3, 16, v3
	s_delay_alu instid0(VALU_DEP_1)
	v_cndmask_b32_e32 v1, 0x7fc0, v3, vcc_lo
.LBB35_232:
	s_mov_b32 s1, 0
.LBB35_233:
	s_delay_alu instid0(SALU_CYCLE_1)
	s_and_not1_b32 vcc_lo, exec_lo, s1
	s_cbranch_vccnz .LBB35_235
; %bb.234:
	s_wait_loadcnt 0x0
	global_load_b32 v1, v[4:5], off
	s_wait_loadcnt 0x0
	v_cvt_f32_f16_e32 v3, v1
	v_cmp_o_f16_e32 vcc_lo, v1, v1
	s_delay_alu instid0(VALU_DEP_2) | instskip(NEXT) | instid1(VALU_DEP_1)
	v_bfe_u32 v6, v3, 16, 1
	v_add3_u32 v3, v3, v6, 0x7fff
	s_delay_alu instid0(VALU_DEP_1) | instskip(NEXT) | instid1(VALU_DEP_1)
	v_lshrrev_b32_e32 v3, 16, v3
	v_cndmask_b32_e32 v1, 0x7fc0, v3, vcc_lo
.LBB35_235:
	s_mov_b32 s1, 0
.LBB35_236:
	s_delay_alu instid0(SALU_CYCLE_1)
	s_and_not1_b32 vcc_lo, exec_lo, s1
	s_cbranch_vccnz .LBB35_247
; %bb.237:
	s_cmp_lt_i32 s0, 6
	s_cbranch_scc1 .LBB35_240
; %bb.238:
	s_cmp_gt_i32 s0, 6
	s_cbranch_scc0 .LBB35_241
; %bb.239:
	global_load_b64 v[6:7], v[4:5], off
	s_mov_b32 s1, 0
	s_wait_loadcnt 0x0
	v_cvt_f32_f64_e32 v1, v[6:7]
	s_delay_alu instid0(VALU_DEP_1) | instskip(SKIP_1) | instid1(VALU_DEP_2)
	v_bfe_u32 v3, v1, 16, 1
	v_cmp_o_f32_e32 vcc_lo, v1, v1
	v_add3_u32 v3, v1, v3, 0x7fff
	s_delay_alu instid0(VALU_DEP_1) | instskip(NEXT) | instid1(VALU_DEP_1)
	v_lshrrev_b32_e32 v3, 16, v3
	v_cndmask_b32_e32 v1, 0x7fc0, v3, vcc_lo
	s_branch .LBB35_242
.LBB35_240:
	s_mov_b32 s1, -1
                                        ; implicit-def: $vgpr1
	s_branch .LBB35_245
.LBB35_241:
	s_mov_b32 s1, -1
                                        ; implicit-def: $vgpr1
.LBB35_242:
	s_delay_alu instid0(SALU_CYCLE_1)
	s_and_not1_b32 vcc_lo, exec_lo, s1
	s_cbranch_vccnz .LBB35_244
; %bb.243:
	s_wait_loadcnt 0x0
	global_load_b32 v1, v[4:5], off
	s_wait_loadcnt 0x0
	v_bfe_u32 v3, v1, 16, 1
	v_cmp_o_f32_e32 vcc_lo, v1, v1
	s_delay_alu instid0(VALU_DEP_2) | instskip(NEXT) | instid1(VALU_DEP_1)
	v_add3_u32 v3, v1, v3, 0x7fff
	v_lshrrev_b32_e32 v3, 16, v3
	s_delay_alu instid0(VALU_DEP_1)
	v_cndmask_b32_e32 v1, 0x7fc0, v3, vcc_lo
.LBB35_244:
	s_mov_b32 s1, 0
.LBB35_245:
	s_delay_alu instid0(SALU_CYCLE_1)
	s_and_not1_b32 vcc_lo, exec_lo, s1
	s_cbranch_vccnz .LBB35_247
; %bb.246:
	s_wait_loadcnt 0x0
	global_load_u16 v1, v[4:5], off
	s_wait_loadcnt 0x0
	v_cvt_f32_f16_e32 v3, v1
	v_cmp_o_f16_e32 vcc_lo, v1, v1
	s_delay_alu instid0(VALU_DEP_2) | instskip(NEXT) | instid1(VALU_DEP_1)
	v_bfe_u32 v6, v3, 16, 1
	v_add3_u32 v3, v3, v6, 0x7fff
	s_delay_alu instid0(VALU_DEP_1) | instskip(NEXT) | instid1(VALU_DEP_1)
	v_lshrrev_b32_e32 v3, 16, v3
	v_cndmask_b32_e32 v1, 0x7fc0, v3, vcc_lo
.LBB35_247:
	s_cbranch_execnz .LBB35_267
.LBB35_248:
	s_cmp_lt_i32 s0, 2
	s_cbranch_scc1 .LBB35_252
; %bb.249:
	s_cmp_lt_i32 s0, 3
	s_cbranch_scc1 .LBB35_253
; %bb.250:
	s_cmp_gt_i32 s0, 3
	s_cbranch_scc0 .LBB35_254
; %bb.251:
	global_load_b64 v[6:7], v[4:5], off
	s_mov_b32 s1, 0
	s_wait_loadcnt 0x0
	v_xor_b32_e32 v1, v6, v7
	v_cls_i32_e32 v3, v7
	s_delay_alu instid0(VALU_DEP_2) | instskip(NEXT) | instid1(VALU_DEP_1)
	v_ashrrev_i32_e32 v1, 31, v1
	v_add_nc_u32_e32 v1, 32, v1
	s_delay_alu instid0(VALU_DEP_1) | instskip(NEXT) | instid1(VALU_DEP_1)
	v_add_min_u32_e64 v1, v3, -1, v1
	v_lshlrev_b64_e32 v[6:7], v1, v[6:7]
	v_sub_nc_u32_e32 v1, 32, v1
	s_delay_alu instid0(VALU_DEP_2) | instskip(NEXT) | instid1(VALU_DEP_1)
	v_min_u32_e32 v3, 1, v6
	v_or_b32_e32 v3, v7, v3
	s_delay_alu instid0(VALU_DEP_1) | instskip(NEXT) | instid1(VALU_DEP_1)
	v_cvt_f32_i32_e32 v3, v3
	v_ldexp_f32 v1, v3, v1
	s_delay_alu instid0(VALU_DEP_1) | instskip(NEXT) | instid1(VALU_DEP_1)
	v_bfe_u32 v3, v1, 16, 1
	v_add3_u32 v1, v1, v3, 0x7fff
	s_delay_alu instid0(VALU_DEP_1)
	v_lshrrev_b32_e32 v1, 16, v1
	s_branch .LBB35_255
.LBB35_252:
	s_mov_b32 s1, -1
                                        ; implicit-def: $vgpr1
	s_branch .LBB35_261
.LBB35_253:
	s_mov_b32 s1, -1
                                        ; implicit-def: $vgpr1
	s_branch .LBB35_258
.LBB35_254:
	s_mov_b32 s1, -1
                                        ; implicit-def: $vgpr1
.LBB35_255:
	s_delay_alu instid0(SALU_CYCLE_1)
	s_and_not1_b32 vcc_lo, exec_lo, s1
	s_cbranch_vccnz .LBB35_257
; %bb.256:
	s_wait_loadcnt 0x0
	global_load_b32 v1, v[4:5], off
	s_wait_loadcnt 0x0
	v_cvt_f32_i32_e32 v1, v1
	s_delay_alu instid0(VALU_DEP_1) | instskip(NEXT) | instid1(VALU_DEP_1)
	v_bfe_u32 v3, v1, 16, 1
	v_add3_u32 v1, v1, v3, 0x7fff
	s_delay_alu instid0(VALU_DEP_1)
	v_lshrrev_b32_e32 v1, 16, v1
.LBB35_257:
	s_mov_b32 s1, 0
.LBB35_258:
	s_delay_alu instid0(SALU_CYCLE_1)
	s_and_not1_b32 vcc_lo, exec_lo, s1
	s_cbranch_vccnz .LBB35_260
; %bb.259:
	s_wait_loadcnt 0x0
	global_load_i16 v1, v[4:5], off
	s_wait_loadcnt 0x0
	v_cvt_f32_i32_e32 v1, v1
	s_delay_alu instid0(VALU_DEP_1) | instskip(NEXT) | instid1(VALU_DEP_1)
	v_bfe_u32 v3, v1, 16, 1
	v_add3_u32 v1, v1, v3, 0x7fff
	s_delay_alu instid0(VALU_DEP_1)
	v_lshrrev_b32_e32 v1, 16, v1
.LBB35_260:
	s_mov_b32 s1, 0
.LBB35_261:
	s_delay_alu instid0(SALU_CYCLE_1)
	s_and_not1_b32 vcc_lo, exec_lo, s1
	s_cbranch_vccnz .LBB35_267
; %bb.262:
	s_cmp_gt_i32 s0, 0
	s_mov_b32 s0, 0
	s_cbranch_scc0 .LBB35_264
; %bb.263:
	s_wait_loadcnt 0x0
	global_load_i8 v1, v[4:5], off
	s_wait_loadcnt 0x0
	v_cvt_f32_i32_e32 v1, v1
	s_delay_alu instid0(VALU_DEP_1) | instskip(NEXT) | instid1(VALU_DEP_1)
	v_bfe_u32 v3, v1, 16, 1
	v_add3_u32 v1, v1, v3, 0x7fff
	s_delay_alu instid0(VALU_DEP_1)
	v_lshrrev_b32_e32 v1, 16, v1
	s_branch .LBB35_265
.LBB35_264:
	s_mov_b32 s0, -1
                                        ; implicit-def: $vgpr1
.LBB35_265:
	s_delay_alu instid0(SALU_CYCLE_1)
	s_and_not1_b32 vcc_lo, exec_lo, s0
	s_cbranch_vccnz .LBB35_267
; %bb.266:
	s_wait_loadcnt 0x0
	global_load_u8 v1, v[4:5], off
	s_wait_loadcnt 0x0
	v_cvt_f32_ubyte0_e32 v1, v1
	s_delay_alu instid0(VALU_DEP_1) | instskip(NEXT) | instid1(VALU_DEP_1)
	v_bfe_u32 v3, v1, 16, 1
	v_add3_u32 v1, v1, v3, 0x7fff
	s_delay_alu instid0(VALU_DEP_1)
	v_lshrrev_b32_e32 v1, 16, v1
.LBB35_267:
	s_branch .LBB35_26
.LBB35_268:
	s_mov_b32 s0, 0
.LBB35_269:
	s_mov_b32 s1, 0
                                        ; implicit-def: $vgpr0
.LBB35_270:
	s_and_b32 s18, s0, exec_lo
	s_and_b32 s39, s24, exec_lo
	s_or_not1_b32 s24, s1, exec_lo
.LBB35_271:
	s_wait_xcnt 0x0
	s_or_b32 exec_lo, exec_lo, s40
	s_mov_b32 s25, 0
	s_mov_b32 s0, 0
                                        ; implicit-def: $vgpr4_vgpr5
                                        ; implicit-def: $vgpr2
                                        ; implicit-def: $vgpr6
	s_and_saveexec_b32 s40, s24
	s_cbranch_execz .LBB35_279
; %bb.272:
	s_mov_b32 s0, -1
	s_mov_b32 s41, s39
	s_mov_b32 s42, s18
	s_mov_b32 s43, exec_lo
	v_cmpx_gt_i32_e64 s36, v0
	s_cbranch_execz .LBB35_553
; %bb.273:
	s_and_not1_b32 vcc_lo, exec_lo, s31
	s_cbranch_vccnz .LBB35_282
; %bb.274:
	s_and_not1_b32 vcc_lo, exec_lo, s38
	s_cbranch_vccnz .LBB35_283
; %bb.275:
	s_add_co_i32 s1, s37, 1
	s_cmp_eq_u32 s29, 2
	s_cbranch_scc1 .LBB35_284
; %bb.276:
	v_dual_mov_b32 v2, 0 :: v_dual_mov_b32 v4, 0
	s_wait_loadcnt 0x0
	v_mov_b32_e32 v1, v0
	s_and_b32 s0, s1, 28
	s_mov_b32 s41, 0
	s_mov_b64 s[24:25], s[2:3]
	s_mov_b64 s[26:27], s[22:23]
.LBB35_277:                             ; =>This Inner Loop Header: Depth=1
	s_clause 0x1
	s_load_b256 s[44:51], s[24:25], 0x4
	s_load_b128 s[60:63], s[24:25], 0x24
	s_load_b256 s[52:59], s[26:27], 0x0
	s_add_co_i32 s41, s41, 4
	s_wait_xcnt 0x0
	s_add_nc_u64 s[24:25], s[24:25], 48
	s_cmp_eq_u32 s0, s41
	s_add_nc_u64 s[26:27], s[26:27], 32
	s_wait_kmcnt 0x0
	v_mul_hi_u32 v3, s45, v1
	s_delay_alu instid0(VALU_DEP_1) | instskip(NEXT) | instid1(VALU_DEP_1)
	v_add_nc_u32_e32 v3, v1, v3
	v_lshrrev_b32_e32 v3, s46, v3
	s_delay_alu instid0(VALU_DEP_1) | instskip(NEXT) | instid1(VALU_DEP_1)
	v_mul_hi_u32 v5, s48, v3
	v_add_nc_u32_e32 v5, v3, v5
	s_delay_alu instid0(VALU_DEP_1) | instskip(NEXT) | instid1(VALU_DEP_1)
	v_lshrrev_b32_e32 v5, s49, v5
	v_mul_hi_u32 v6, s51, v5
	s_delay_alu instid0(VALU_DEP_1) | instskip(SKIP_1) | instid1(VALU_DEP_1)
	v_add_nc_u32_e32 v6, v5, v6
	v_mul_lo_u32 v7, v3, s44
	v_sub_nc_u32_e32 v1, v1, v7
	v_mul_lo_u32 v7, v5, s47
	s_delay_alu instid0(VALU_DEP_4) | instskip(NEXT) | instid1(VALU_DEP_3)
	v_lshrrev_b32_e32 v6, s60, v6
	v_mad_u32 v4, v1, s53, v4
	v_mad_u32 v1, v1, s52, v2
	s_delay_alu instid0(VALU_DEP_4) | instskip(NEXT) | instid1(VALU_DEP_4)
	v_sub_nc_u32_e32 v2, v3, v7
	v_mul_hi_u32 v8, s62, v6
	v_mul_lo_u32 v3, v6, s50
	s_delay_alu instid0(VALU_DEP_3) | instskip(SKIP_1) | instid1(VALU_DEP_3)
	v_mad_u32 v4, v2, s55, v4
	v_mad_u32 v2, v2, s54, v1
	v_dual_add_nc_u32 v7, v6, v8 :: v_dual_sub_nc_u32 v3, v5, v3
	s_delay_alu instid0(VALU_DEP_1) | instskip(NEXT) | instid1(VALU_DEP_2)
	v_lshrrev_b32_e32 v1, s63, v7
	v_mad_u32 v4, v3, s57, v4
	s_delay_alu instid0(VALU_DEP_4) | instskip(NEXT) | instid1(VALU_DEP_3)
	v_mad_u32 v2, v3, s56, v2
	v_mul_lo_u32 v5, v1, s61
	s_delay_alu instid0(VALU_DEP_1) | instskip(NEXT) | instid1(VALU_DEP_1)
	v_sub_nc_u32_e32 v3, v6, v5
	v_mad_u32 v4, v3, s59, v4
	s_delay_alu instid0(VALU_DEP_4)
	v_mad_u32 v2, v3, s58, v2
	s_cbranch_scc0 .LBB35_277
; %bb.278:
	s_delay_alu instid0(VALU_DEP_2)
	v_mov_b32_e32 v3, v4
	s_branch .LBB35_285
.LBB35_279:
	s_or_b32 exec_lo, exec_lo, s40
	s_mov_b32 s6, 0
	s_and_saveexec_b32 s1, s39
	s_cbranch_execnz .LBB35_938
.LBB35_280:
	s_or_b32 exec_lo, exec_lo, s1
	s_and_saveexec_b32 s1, s17
	s_delay_alu instid0(SALU_CYCLE_1)
	s_xor_b32 s1, exec_lo, s1
	s_cbranch_execz .LBB35_939
.LBB35_281:
	global_load_u8 v0, v[4:5], off
	s_or_b32 s0, s0, exec_lo
	s_wait_loadcnt 0x0
	v_cmp_ne_u16_e32 vcc_lo, 0, v0
	v_cndmask_b32_e64 v0, 0, 1.0, vcc_lo
	s_delay_alu instid0(VALU_DEP_1)
	v_lshrrev_b32_e32 v6, 16, v0
	s_wait_xcnt 0x0
	s_or_b32 exec_lo, exec_lo, s1
	s_and_saveexec_b32 s1, s25
	s_cbranch_execz .LBB35_985
	s_branch .LBB35_940
.LBB35_282:
                                        ; implicit-def: $vgpr4
                                        ; implicit-def: $vgpr2
	s_and_not1_b32 vcc_lo, exec_lo, s0
	s_cbranch_vccnz .LBB35_292
	s_branch .LBB35_290
.LBB35_283:
	v_dual_mov_b32 v4, 0 :: v_dual_mov_b32 v2, 0
	s_branch .LBB35_289
.LBB35_284:
	v_mov_b64_e32 v[2:3], 0
	s_wait_loadcnt 0x0
	v_mov_b32_e32 v1, v0
	s_mov_b32 s0, 0
                                        ; implicit-def: $vgpr4
.LBB35_285:
	s_and_b32 s26, s1, 3
	s_mov_b32 s1, 0
	s_cmp_eq_u32 s26, 0
	s_cbranch_scc1 .LBB35_289
; %bb.286:
	s_lshl_b32 s24, s0, 3
	s_mov_b32 s25, s1
	s_mul_u64 s[44:45], s[0:1], 12
	s_add_nc_u64 s[24:25], s[2:3], s[24:25]
	s_delay_alu instid0(SALU_CYCLE_1)
	s_add_nc_u64 s[0:1], s[24:25], 0xc4
	s_add_nc_u64 s[24:25], s[2:3], s[44:45]
.LBB35_287:                             ; =>This Inner Loop Header: Depth=1
	s_load_b96 s[44:46], s[24:25], 0x4
	s_add_co_i32 s26, s26, -1
	s_wait_xcnt 0x0
	s_add_nc_u64 s[24:25], s[24:25], 12
	s_cmp_lg_u32 s26, 0
	s_wait_kmcnt 0x0
	v_mul_hi_u32 v4, s45, v1
	s_delay_alu instid0(VALU_DEP_1) | instskip(NEXT) | instid1(VALU_DEP_1)
	v_add_nc_u32_e32 v4, v1, v4
	v_lshrrev_b32_e32 v4, s46, v4
	s_load_b64 s[46:47], s[0:1], 0x0
	s_wait_xcnt 0x0
	s_add_nc_u64 s[0:1], s[0:1], 8
	s_delay_alu instid0(VALU_DEP_1) | instskip(NEXT) | instid1(VALU_DEP_1)
	v_mul_lo_u32 v5, v4, s44
	v_sub_nc_u32_e32 v1, v1, v5
	s_wait_kmcnt 0x0
	s_delay_alu instid0(VALU_DEP_1)
	v_mad_u32 v3, v1, s47, v3
	v_mad_u32 v2, v1, s46, v2
	v_mov_b32_e32 v1, v4
	s_cbranch_scc1 .LBB35_287
; %bb.288:
	s_delay_alu instid0(VALU_DEP_3)
	v_mov_b32_e32 v4, v3
.LBB35_289:
	s_cbranch_execnz .LBB35_292
.LBB35_290:
	s_wait_loadcnt 0x0
	v_mov_b32_e32 v1, 0
	s_and_not1_b32 vcc_lo, exec_lo, s35
	s_delay_alu instid0(VALU_DEP_1) | instskip(NEXT) | instid1(VALU_DEP_1)
	v_mul_u64_e32 v[2:3], s[16:17], v[0:1]
	v_add_nc_u32_e32 v2, v0, v3
	s_delay_alu instid0(VALU_DEP_1) | instskip(NEXT) | instid1(VALU_DEP_1)
	v_lshrrev_b32_e32 v6, s14, v2
	v_mul_lo_u32 v2, v6, s12
	s_delay_alu instid0(VALU_DEP_1) | instskip(NEXT) | instid1(VALU_DEP_1)
	v_sub_nc_u32_e32 v2, v0, v2
	v_mul_lo_u32 v4, v2, s9
	v_mul_lo_u32 v2, v2, s8
	s_cbranch_vccnz .LBB35_292
; %bb.291:
	v_mov_b32_e32 v7, v1
	s_delay_alu instid0(VALU_DEP_1) | instskip(NEXT) | instid1(VALU_DEP_1)
	v_mul_u64_e32 v[8:9], s[20:21], v[6:7]
	v_add_nc_u32_e32 v1, v6, v9
	s_delay_alu instid0(VALU_DEP_1) | instskip(NEXT) | instid1(VALU_DEP_1)
	v_lshrrev_b32_e32 v1, s19, v1
	v_mul_lo_u32 v1, v1, s15
	s_delay_alu instid0(VALU_DEP_1) | instskip(NEXT) | instid1(VALU_DEP_1)
	v_sub_nc_u32_e32 v1, v6, v1
	v_mad_u32 v2, v1, s10, v2
	v_mad_u32 v4, v1, s11, v4
.LBB35_292:
	v_mov_b32_e32 v5, 0
	s_and_b32 s0, 0xffff, s13
	s_delay_alu instid0(SALU_CYCLE_1) | instskip(NEXT) | instid1(VALU_DEP_1)
	s_cmp_lt_i32 s0, 11
	v_add_nc_u64_e32 v[4:5], s[6:7], v[4:5]
	s_cbranch_scc1 .LBB35_299
; %bb.293:
	s_cmp_gt_i32 s0, 25
	s_cbranch_scc0 .LBB35_352
; %bb.294:
	s_cmp_gt_i32 s0, 28
	s_cbranch_scc0 .LBB35_353
	;; [unrolled: 3-line block ×4, first 2 shown]
; %bb.297:
	s_cmp_eq_u32 s0, 46
	s_mov_b32 s25, 0
	s_cbranch_scc0 .LBB35_363
; %bb.298:
	s_wait_loadcnt 0x0
	global_load_b32 v1, v[4:5], off
	s_mov_b32 s1, -1
	s_mov_b32 s24, 0
	s_branch .LBB35_365
.LBB35_299:
	s_mov_b32 s1, 0
	s_mov_b32 s24, s39
                                        ; implicit-def: $vgpr1
	s_cbranch_execnz .LBB35_502
.LBB35_300:
	s_and_not1_b32 vcc_lo, exec_lo, s1
	s_cbranch_vccnz .LBB35_550
.LBB35_301:
	s_wait_loadcnt 0x0
	s_delay_alu instid0(VALU_DEP_1) | instskip(SKIP_1) | instid1(VALU_DEP_1)
	v_lshlrev_b32_e32 v1, 16, v1
                                        ; implicit-def: $vgpr5
                                        ; implicit-def: $vgpr4
	s_mov_b32 s1, exec_lo
	v_and_b32_e32 v3, 0x7fffffff, v1
	s_wait_xcnt 0x0
	v_cmpx_ngt_f32_e64 0x48000000, |v1|
	s_xor_b32 s25, exec_lo, s1
	s_cbranch_execz .LBB35_303
; %bb.302:
	s_mov_b32 s0, 0x7fffff
	v_mov_b32_e32 v5, 0
	v_and_or_b32 v4, v3, s0, 0x800000
	s_mov_b64 s[0:1], 0xfe5163ab
	s_delay_alu instid0(VALU_DEP_1) | instid1(SALU_CYCLE_1)
	v_mul_u64_e32 v[6:7], s[0:1], v[4:5]
	s_delay_alu instid0(VALU_DEP_1) | instskip(SKIP_2) | instid1(VALU_DEP_3)
	v_dual_mov_b32 v8, v7 :: v_dual_mov_b32 v9, v5
	v_dual_mov_b32 v11, v5 :: v_dual_mov_b32 v13, v5
	v_dual_mov_b32 v15, v5 :: v_dual_lshrrev_b32 v7, 23, v3
	v_mad_nc_u64_u32 v[8:9], 0x3c439041, v4, v[8:9]
	s_delay_alu instid0(VALU_DEP_1) | instskip(NEXT) | instid1(VALU_DEP_1)
	v_mov_b32_e32 v10, v9
	v_mad_nc_u64_u32 v[10:11], 0xdb629599, v4, v[10:11]
	s_delay_alu instid0(VALU_DEP_1) | instskip(NEXT) | instid1(VALU_DEP_1)
	v_mov_b32_e32 v12, v11
	;; [unrolled: 3-line block ×3, first 2 shown]
	v_mad_nc_u64_u32 v[14:15], 0xfc2757d1, v4, v[14:15]
	s_delay_alu instid0(VALU_DEP_1) | instskip(NEXT) | instid1(VALU_DEP_1)
	v_dual_mov_b32 v17, v5 :: v_dual_mov_b32 v16, v15
	v_mad_nc_u64_u32 v[16:17], 0x4e441529, v4, v[16:17]
	s_delay_alu instid0(VALU_DEP_1) | instskip(NEXT) | instid1(VALU_DEP_1)
	v_dual_mov_b32 v18, v17 :: v_dual_add_nc_u32 v7, 0xffffff88, v7
	v_cmp_lt_u32_e32 vcc_lo, 63, v7
	v_mov_b32_e32 v19, v5
	v_cndmask_b32_e64 v9, 0, 0xffffffc0, vcc_lo
	s_delay_alu instid0(VALU_DEP_2) | instskip(SKIP_1) | instid1(VALU_DEP_3)
	v_mad_nc_u64_u32 v[4:5], 0xa2f9836e, v4, v[18:19]
	v_dual_cndmask_b32 v11, v16, v12, vcc_lo :: v_dual_cndmask_b32 v13, v14, v10, vcc_lo
	v_dual_cndmask_b32 v8, v12, v8 :: v_dual_add_nc_u32 v7, v9, v7
	v_cndmask_b32_e32 v6, v10, v6, vcc_lo
	s_delay_alu instid0(VALU_DEP_2) | instskip(SKIP_1) | instid1(VALU_DEP_2)
	v_cmp_lt_u32_e64 s0, 31, v7
	v_dual_cndmask_b32 v4, v4, v14 :: v_dual_cndmask_b32 v5, v5, v16
	v_cndmask_b32_e64 v9, 0, 0xffffffe0, s0
	s_delay_alu instid0(VALU_DEP_4) | instskip(NEXT) | instid1(VALU_DEP_2)
	v_dual_cndmask_b32 v12, v13, v8, s0 :: v_dual_cndmask_b32 v6, v8, v6, s0
	v_add_nc_u32_e32 v7, v9, v7
	s_delay_alu instid0(VALU_DEP_1) | instskip(NEXT) | instid1(VALU_DEP_1)
	v_cmp_lt_u32_e64 s1, 31, v7
	v_cndmask_b32_e64 v9, 0, 0xffffffe0, s1
	s_delay_alu instid0(VALU_DEP_1) | instskip(SKIP_1) | instid1(VALU_DEP_2)
	v_dual_cndmask_b32 v6, v12, v6, s1 :: v_dual_add_nc_u32 v7, v9, v7
	v_dual_cndmask_b32 v9, v4, v11, s0 :: v_dual_cndmask_b32 v4, v5, v4, s0
	v_dual_cndmask_b32 v5, v11, v13, s0 :: v_dual_sub_nc_u32 v11, 32, v7
	v_cmp_eq_u32_e32 vcc_lo, 0, v7
	s_delay_alu instid0(VALU_DEP_3) | instskip(NEXT) | instid1(VALU_DEP_3)
	v_cndmask_b32_e64 v4, v4, v9, s1
	v_cndmask_b32_e64 v9, v9, v5, s1
	v_cndmask_b32_e64 v5, v5, v12, s1
	s_delay_alu instid0(VALU_DEP_2) | instskip(NEXT) | instid1(VALU_DEP_2)
	v_alignbit_b32 v13, v4, v9, v11
	v_alignbit_b32 v10, v9, v5, v11
	;; [unrolled: 1-line block ×3, first 2 shown]
	s_delay_alu instid0(VALU_DEP_2) | instskip(NEXT) | instid1(VALU_DEP_2)
	v_dual_cndmask_b32 v4, v13, v4 :: v_dual_cndmask_b32 v7, v10, v9
	v_cndmask_b32_e32 v5, v11, v5, vcc_lo
	s_delay_alu instid0(VALU_DEP_2) | instskip(NEXT) | instid1(VALU_DEP_3)
	v_bfe_u32 v8, v4, 29, 1
	v_alignbit_b32 v9, v4, v7, 30
	s_delay_alu instid0(VALU_DEP_3) | instskip(SKIP_1) | instid1(VALU_DEP_4)
	v_alignbit_b32 v7, v7, v5, 30
	v_alignbit_b32 v5, v5, v6, 30
	v_sub_nc_u32_e32 v10, 0, v8
	s_delay_alu instid0(VALU_DEP_1) | instskip(NEXT) | instid1(VALU_DEP_4)
	v_xor_b32_e32 v9, v9, v10
	v_xor_b32_e32 v6, v7, v10
	s_delay_alu instid0(VALU_DEP_4) | instskip(NEXT) | instid1(VALU_DEP_3)
	v_dual_lshrrev_b32 v10, 29, v4 :: v_dual_bitop2_b32 v5, v5, v10 bitop3:0x14
	v_clz_i32_u32_e32 v11, v9
	s_delay_alu instid0(VALU_DEP_1) | instskip(NEXT) | instid1(VALU_DEP_1)
	v_min_u32_e32 v11, 32, v11
	v_dual_sub_nc_u32 v7, 31, v11 :: v_dual_lshlrev_b32 v12, 23, v11
	s_delay_alu instid0(VALU_DEP_1) | instskip(SKIP_2) | instid1(VALU_DEP_2)
	v_alignbit_b32 v9, v9, v6, v7
	v_alignbit_b32 v5, v6, v5, v7
	v_lshlrev_b32_e32 v6, 31, v10
	v_alignbit_b32 v7, v9, v5, 9
	s_delay_alu instid0(VALU_DEP_2) | instskip(SKIP_1) | instid1(VALU_DEP_3)
	v_dual_lshrrev_b32 v9, 9, v9 :: v_dual_bitop2_b32 v10, 0.5, v6 bitop3:0x54
	v_or_b32_e32 v6, 0x33000000, v6
	v_clz_i32_u32_e32 v13, v7
	s_delay_alu instid0(VALU_DEP_3) | instskip(NEXT) | instid1(VALU_DEP_2)
	v_sub_nc_u32_e32 v10, v10, v12
	v_min_u32_e32 v12, 32, v13
	s_delay_alu instid0(VALU_DEP_1) | instskip(NEXT) | instid1(VALU_DEP_3)
	v_add_lshl_u32 v11, v12, v11, 23
	v_or_b32_e32 v9, v9, v10
	v_not_b32_e32 v10, v12
	s_delay_alu instid0(VALU_DEP_2) | instskip(NEXT) | instid1(VALU_DEP_2)
	v_dual_mul_f32 v13, 0x3fc90fda, v9 :: v_dual_sub_nc_u32 v6, v6, v11
	v_alignbit_b32 v5, v7, v5, v10
	s_delay_alu instid0(VALU_DEP_2) | instskip(NEXT) | instid1(VALU_DEP_2)
	v_fma_f32 v7, 0x3fc90fda, v9, -v13
	v_lshrrev_b32_e32 v5, 9, v5
	s_delay_alu instid0(VALU_DEP_2) | instskip(NEXT) | instid1(VALU_DEP_2)
	v_fmamk_f32 v7, v9, 0x33a22168, v7
	v_or_b32_e32 v5, v6, v5
	s_delay_alu instid0(VALU_DEP_1) | instskip(NEXT) | instid1(VALU_DEP_1)
	v_fmac_f32_e32 v7, 0x3fc90fda, v5
	v_dual_add_f32 v4, v13, v7 :: v_dual_lshrrev_b32 v5, 30, v4
	s_delay_alu instid0(VALU_DEP_1)
	v_add_nc_u32_e32 v5, v8, v5
.LBB35_303:
	s_and_not1_saveexec_b32 s0, s25
; %bb.304:
	v_mul_f32_e64 v4, 0x3f22f983, |v1|
	s_delay_alu instid0(VALU_DEP_1) | instskip(NEXT) | instid1(VALU_DEP_1)
	v_rndne_f32_e32 v5, v4
	v_fma_f32 v4, 0xbfc90fda, v5, |v1|
	s_delay_alu instid0(VALU_DEP_1) | instskip(NEXT) | instid1(VALU_DEP_1)
	v_fmamk_f32 v4, v5, 0xb3a22168, v4
	v_fmamk_f32 v4, v5, 0xa7c234c4, v4
	v_cvt_i32_f32_e32 v5, v5
; %bb.305:
	s_or_b32 exec_lo, exec_lo, s0
	s_delay_alu instid0(VALU_DEP_1) | instskip(SKIP_3) | instid1(VALU_DEP_1)
	v_dual_mul_f32 v6, v4, v4 :: v_dual_bitop2_b32 v9, 1, v5 bitop3:0x40
	s_mov_b32 s0, 0xb94c1982
	s_mov_b32 s1, 0x37d75334
	;; [unrolled: 1-line block ×3, first 2 shown]
	v_fmaak_f32 v7, s0, v6, 0x3c0881c4
	v_cmp_eq_u32_e32 vcc_lo, 0, v9
	s_mov_b32 s25, -1
	s_mov_b32 s0, s18
	v_lshlrev_b32_e32 v5, 30, v5
	v_fmaak_f32 v7, v6, v7, 0xbe2aaa9d
	v_fmaak_f32 v8, s1, v6, 0xbab64f3b
	s_and_b32 s1, s34, 0xff
	s_delay_alu instid0(SALU_CYCLE_1) | instskip(NEXT) | instid1(VALU_DEP_1)
	s_cmp_lt_i32 s1, 11
	v_dual_mul_f32 v7, v6, v7 :: v_dual_fmaak_f32 v8, v6, v8, 0x3d2aabf7
	v_bitop3_b32 v3, v3, v5, 0x80000000 bitop3:0x78
	s_delay_alu instid0(VALU_DEP_2) | instskip(NEXT) | instid1(VALU_DEP_3)
	v_fmac_f32_e32 v4, v4, v7
	v_fmaak_f32 v8, v6, v8, 0xbf000004
	s_delay_alu instid0(VALU_DEP_1) | instskip(NEXT) | instid1(VALU_DEP_1)
	v_fma_f32 v6, v6, v8, 1.0
	v_cndmask_b32_e32 v4, v6, v4, vcc_lo
	v_cmp_class_f32_e64 vcc_lo, v1, 0x1f8
	s_delay_alu instid0(VALU_DEP_2) | instskip(NEXT) | instid1(VALU_DEP_1)
	v_xor3_b32 v3, v3, v4, v1
	v_cndmask_b32_e32 v1, 0x7fc00000, v3, vcc_lo
	s_delay_alu instid0(VALU_DEP_1) | instskip(SKIP_1) | instid1(VALU_DEP_2)
	v_bfe_u32 v3, v1, 16, 1
	v_cmp_o_f32_e32 vcc_lo, v1, v1
	v_add3_u32 v4, v1, v3, 0x7fff
	s_delay_alu instid0(VALU_DEP_1) | instskip(NEXT) | instid1(VALU_DEP_1)
	v_dual_mov_b32 v3, 0 :: v_dual_lshrrev_b32 v4, 16, v4
	v_add_nc_u64_e32 v[2:3], s[4:5], v[2:3]
	s_delay_alu instid0(VALU_DEP_2)
	v_cndmask_b32_e32 v1, 0x7fc0, v4, vcc_lo
	s_cbranch_scc1 .LBB35_312
; %bb.306:
	s_and_b32 s25, 0xffff, s1
	s_delay_alu instid0(SALU_CYCLE_1)
	s_cmp_gt_i32 s25, 25
	s_cbranch_scc0 .LBB35_354
; %bb.307:
	s_cmp_gt_i32 s25, 28
	s_cbranch_scc0 .LBB35_356
; %bb.308:
	;; [unrolled: 3-line block ×4, first 2 shown]
	s_mov_b32 s27, 0
	s_mov_b32 s0, -1
	s_cmp_eq_u32 s25, 46
	s_cbranch_scc0 .LBB35_369
; %bb.311:
	v_and_b32_e32 v4, 0xffff, v1
	s_mov_b32 s26, -1
	s_mov_b32 s0, 0
	global_store_b32 v[2:3], v4, off
	s_branch .LBB35_369
.LBB35_312:
	s_and_b32 vcc_lo, exec_lo, s25
	s_cbranch_vccz .LBB35_438
; %bb.313:
	s_and_b32 s1, 0xffff, s1
	s_mov_b32 s25, -1
	s_cmp_lt_i32 s1, 5
	s_cbranch_scc1 .LBB35_334
; %bb.314:
	s_cmp_lt_i32 s1, 8
	s_cbranch_scc1 .LBB35_324
; %bb.315:
	;; [unrolled: 3-line block ×3, first 2 shown]
	s_cmp_gt_i32 s1, 9
	s_cbranch_scc0 .LBB35_318
; %bb.317:
	s_wait_xcnt 0x0
	v_dual_lshlrev_b32 v4, 16, v1 :: v_dual_mov_b32 v6, 0
	s_mov_b32 s25, 0
	s_delay_alu instid0(VALU_DEP_1) | instskip(NEXT) | instid1(VALU_DEP_2)
	v_cvt_f64_f32_e32 v[4:5], v4
	v_mov_b32_e32 v7, v6
	global_store_b128 v[2:3], v[4:7], off
.LBB35_318:
	s_and_not1_b32 vcc_lo, exec_lo, s25
	s_cbranch_vccnz .LBB35_320
; %bb.319:
	s_wait_xcnt 0x0
	v_dual_mov_b32 v5, 0 :: v_dual_lshlrev_b32 v4, 16, v1
	global_store_b64 v[2:3], v[4:5], off
.LBB35_320:
	s_mov_b32 s25, 0
.LBB35_321:
	s_delay_alu instid0(SALU_CYCLE_1)
	s_and_not1_b32 vcc_lo, exec_lo, s25
	s_cbranch_vccnz .LBB35_323
; %bb.322:
	s_wait_xcnt 0x0
	v_lshlrev_b32_e32 v4, 16, v1
	s_delay_alu instid0(VALU_DEP_1) | instskip(NEXT) | instid1(VALU_DEP_1)
	v_cvt_f16_f32_e32 v4, v4
	v_and_b32_e32 v4, 0xffff, v4
	global_store_b32 v[2:3], v4, off
.LBB35_323:
	s_mov_b32 s25, 0
.LBB35_324:
	s_delay_alu instid0(SALU_CYCLE_1)
	s_and_not1_b32 vcc_lo, exec_lo, s25
	s_cbranch_vccnz .LBB35_333
; %bb.325:
	s_cmp_lt_i32 s1, 6
	s_mov_b32 s25, -1
	s_cbranch_scc1 .LBB35_331
; %bb.326:
	s_cmp_gt_i32 s1, 6
	s_cbranch_scc0 .LBB35_328
; %bb.327:
	s_wait_xcnt 0x0
	v_lshlrev_b32_e32 v4, 16, v1
	s_mov_b32 s25, 0
	s_delay_alu instid0(VALU_DEP_1)
	v_cvt_f64_f32_e32 v[4:5], v4
	global_store_b64 v[2:3], v[4:5], off
.LBB35_328:
	s_and_not1_b32 vcc_lo, exec_lo, s25
	s_cbranch_vccnz .LBB35_330
; %bb.329:
	s_wait_xcnt 0x0
	v_lshlrev_b32_e32 v4, 16, v1
	global_store_b32 v[2:3], v4, off
.LBB35_330:
	s_mov_b32 s25, 0
.LBB35_331:
	s_delay_alu instid0(SALU_CYCLE_1)
	s_and_not1_b32 vcc_lo, exec_lo, s25
	s_cbranch_vccnz .LBB35_333
; %bb.332:
	s_wait_xcnt 0x0
	v_lshlrev_b32_e32 v4, 16, v1
	s_delay_alu instid0(VALU_DEP_1)
	v_cvt_f16_f32_e32 v4, v4
	global_store_b16 v[2:3], v4, off
.LBB35_333:
	s_mov_b32 s25, 0
.LBB35_334:
	s_delay_alu instid0(SALU_CYCLE_1)
	s_and_not1_b32 vcc_lo, exec_lo, s25
	s_cbranch_vccnz .LBB35_350
; %bb.335:
	s_cmp_lt_i32 s1, 2
	s_mov_b32 s25, -1
	s_cbranch_scc1 .LBB35_345
; %bb.336:
	s_cmp_lt_i32 s1, 3
	s_cbranch_scc1 .LBB35_342
; %bb.337:
	s_cmp_gt_i32 s1, 3
	s_cbranch_scc0 .LBB35_339
; %bb.338:
	s_wait_xcnt 0x0
	v_lshlrev_b32_e32 v4, 16, v1
	s_mov_b32 s25, 0
	s_delay_alu instid0(VALU_DEP_1) | instskip(NEXT) | instid1(VALU_DEP_1)
	v_trunc_f32_e32 v4, v4
	v_mul_f32_e64 v5, 0x2f800000, |v4|
	s_delay_alu instid0(VALU_DEP_1) | instskip(NEXT) | instid1(VALU_DEP_1)
	v_floor_f32_e32 v5, v5
	v_fma_f32 v6, 0xcf800000, v5, |v4|
	v_ashrrev_i32_e32 v4, 31, v4
	v_cvt_u32_f32_e32 v7, v5
	s_delay_alu instid0(VALU_DEP_3) | instskip(NEXT) | instid1(VALU_DEP_2)
	v_cvt_u32_f32_e32 v6, v6
	v_dual_mov_b32 v5, v4 :: v_dual_bitop2_b32 v7, v7, v4 bitop3:0x14
	s_delay_alu instid0(VALU_DEP_2) | instskip(NEXT) | instid1(VALU_DEP_1)
	v_xor_b32_e32 v6, v6, v4
	v_sub_nc_u64_e32 v[4:5], v[6:7], v[4:5]
	global_store_b64 v[2:3], v[4:5], off
.LBB35_339:
	s_and_not1_b32 vcc_lo, exec_lo, s25
	s_cbranch_vccnz .LBB35_341
; %bb.340:
	s_wait_xcnt 0x0
	v_lshlrev_b32_e32 v4, 16, v1
	s_delay_alu instid0(VALU_DEP_1)
	v_cvt_i32_f32_e32 v4, v4
	global_store_b32 v[2:3], v4, off
.LBB35_341:
	s_mov_b32 s25, 0
.LBB35_342:
	s_delay_alu instid0(SALU_CYCLE_1)
	s_and_not1_b32 vcc_lo, exec_lo, s25
	s_cbranch_vccnz .LBB35_344
; %bb.343:
	s_wait_xcnt 0x0
	v_lshlrev_b32_e32 v4, 16, v1
	s_delay_alu instid0(VALU_DEP_1)
	v_cvt_i32_f32_e32 v4, v4
	global_store_b16 v[2:3], v4, off
.LBB35_344:
	s_mov_b32 s25, 0
.LBB35_345:
	s_delay_alu instid0(SALU_CYCLE_1)
	s_and_not1_b32 vcc_lo, exec_lo, s25
	s_cbranch_vccnz .LBB35_350
; %bb.346:
	s_wait_xcnt 0x0
	v_lshlrev_b32_e32 v1, 16, v1
	s_cmp_gt_i32 s1, 0
	s_mov_b32 s1, -1
	s_cbranch_scc0 .LBB35_348
; %bb.347:
	s_delay_alu instid0(VALU_DEP_1)
	v_cvt_i32_f32_e32 v4, v1
	s_mov_b32 s1, 0
	global_store_b8 v[2:3], v4, off
.LBB35_348:
	s_and_not1_b32 vcc_lo, exec_lo, s1
	s_cbranch_vccnz .LBB35_350
; %bb.349:
	v_trunc_f32_e32 v1, v1
	s_wait_xcnt 0x0
	s_delay_alu instid0(VALU_DEP_1) | instskip(NEXT) | instid1(VALU_DEP_1)
	v_mul_f32_e64 v4, 0x2f800000, |v1|
	v_floor_f32_e32 v4, v4
	s_delay_alu instid0(VALU_DEP_1) | instskip(SKIP_1) | instid1(VALU_DEP_2)
	v_fma_f32 v4, 0xcf800000, v4, |v1|
	v_ashrrev_i32_e32 v1, 31, v1
	v_cvt_u32_f32_e32 v4, v4
	s_delay_alu instid0(VALU_DEP_1) | instskip(NEXT) | instid1(VALU_DEP_1)
	v_xor_b32_e32 v4, v4, v1
	v_sub_nc_u32_e32 v1, v4, v1
	global_store_b8 v[2:3], v1, off
.LBB35_350:
	s_branch .LBB35_439
.LBB35_351:
	s_mov_b32 s1, 0
	s_branch .LBB35_551
.LBB35_352:
	s_mov_b32 s25, -1
	s_mov_b32 s1, 0
	s_mov_b32 s24, s39
                                        ; implicit-def: $vgpr1
	s_branch .LBB35_466
.LBB35_353:
	s_mov_b32 s25, -1
	s_mov_b32 s1, 0
	s_mov_b32 s24, s39
                                        ; implicit-def: $vgpr1
	s_branch .LBB35_447
.LBB35_354:
	s_mov_b32 s27, -1
	s_mov_b32 s0, s18
	s_branch .LBB35_396
.LBB35_355:
	s_mov_b32 s25, -1
	s_mov_b32 s1, 0
	s_mov_b32 s24, s39
                                        ; implicit-def: $vgpr1
	s_branch .LBB35_442
.LBB35_356:
	s_mov_b32 s27, -1
	s_mov_b32 s0, s18
	s_branch .LBB35_379
.LBB35_357:
	s_and_not1_saveexec_b32 s27, s27
	s_cbranch_execz .LBB35_110
.LBB35_358:
	v_add_f32_e64 v5, 0x46000000, |v6|
	s_and_not1_b32 s26, s26, exec_lo
	s_delay_alu instid0(VALU_DEP_1) | instskip(NEXT) | instid1(VALU_DEP_1)
	v_and_b32_e32 v5, 0xff, v5
	v_cmp_ne_u32_e32 vcc_lo, 0, v5
	s_and_b32 s39, vcc_lo, exec_lo
	s_delay_alu instid0(SALU_CYCLE_1)
	s_or_b32 s26, s26, s39
	s_or_b32 exec_lo, exec_lo, s27
	v_mov_b32_e32 v7, 0
	s_and_saveexec_b32 s27, s26
	s_cbranch_execnz .LBB35_111
	s_branch .LBB35_112
.LBB35_359:
	s_mov_b32 s25, -1
	s_mov_b32 s1, 0
	s_mov_b32 s24, s39
	s_branch .LBB35_364
.LBB35_360:
	s_mov_b32 s27, -1
	s_mov_b32 s0, s18
	s_branch .LBB35_375
.LBB35_361:
	s_and_not1_saveexec_b32 s27, s27
	s_cbranch_execz .LBB35_123
.LBB35_362:
	v_add_f32_e64 v5, 0x42800000, |v6|
	s_and_not1_b32 s26, s26, exec_lo
	s_delay_alu instid0(VALU_DEP_1) | instskip(NEXT) | instid1(VALU_DEP_1)
	v_and_b32_e32 v5, 0xff, v5
	v_cmp_ne_u32_e32 vcc_lo, 0, v5
	s_and_b32 s39, vcc_lo, exec_lo
	s_delay_alu instid0(SALU_CYCLE_1)
	s_or_b32 s26, s26, s39
	s_or_b32 exec_lo, exec_lo, s27
	v_mov_b32_e32 v7, 0
	s_and_saveexec_b32 s27, s26
	s_cbranch_execnz .LBB35_124
	s_branch .LBB35_125
.LBB35_363:
	s_mov_b32 s24, -1
	s_mov_b32 s1, 0
.LBB35_364:
                                        ; implicit-def: $vgpr1
.LBB35_365:
	s_and_b32 vcc_lo, exec_lo, s25
	s_cbranch_vccz .LBB35_441
; %bb.366:
	s_cmp_eq_u32 s0, 44
	s_cbranch_scc0 .LBB35_440
; %bb.367:
	s_wait_loadcnt 0x0
	global_load_u8 v1, v[4:5], off
	s_mov_b32 s24, 0
	s_mov_b32 s1, -1
	s_wait_loadcnt 0x0
	v_lshlrev_b32_e32 v3, 23, v1
	v_cmp_ne_u32_e32 vcc_lo, 0xff, v1
	s_delay_alu instid0(VALU_DEP_2) | instskip(SKIP_1) | instid1(VALU_DEP_2)
	v_cndmask_b32_e32 v3, 0x7f800001, v3, vcc_lo
	v_cmp_ne_u32_e32 vcc_lo, 0, v1
	v_cndmask_b32_e32 v1, 0x400000, v3, vcc_lo
	s_delay_alu instid0(VALU_DEP_1) | instskip(SKIP_1) | instid1(VALU_DEP_2)
	v_add_nc_u32_e32 v3, 0x7fff, v1
	v_cmp_o_f32_e32 vcc_lo, v1, v1
	v_lshrrev_b32_e32 v3, 16, v3
	s_delay_alu instid0(VALU_DEP_1)
	v_cndmask_b32_e32 v1, 0x7fc0, v3, vcc_lo
	s_branch .LBB35_441
.LBB35_368:
	s_mov_b32 s27, -1
	s_mov_b32 s0, s18
.LBB35_369:
	s_and_b32 vcc_lo, exec_lo, s27
	s_cbranch_vccz .LBB35_374
; %bb.370:
	s_cmp_eq_u32 s25, 44
	s_mov_b32 s0, -1
	s_cbranch_scc0 .LBB35_374
; %bb.371:
	s_wait_xcnt 0x0
	v_and_b32_e32 v4, 0xffff, v1
	v_mov_b32_e32 v5, 0xff
	s_mov_b32 s26, exec_lo
	s_delay_alu instid0(VALU_DEP_2) | instskip(NEXT) | instid1(VALU_DEP_1)
	v_bfe_u32 v6, v4, 7, 8
	v_cmpx_ne_u32_e32 0xff, v6
	s_cbranch_execz .LBB35_373
; %bb.372:
	v_dual_lshlrev_b32 v5, 16, v4 :: v_dual_bitop2_b32 v7, 64, v4 bitop3:0x40
	v_lshrrev_b32_e32 v4, 7, v4
	s_delay_alu instid0(VALU_DEP_2) | instskip(NEXT) | instid1(VALU_DEP_3)
	v_and_or_b32 v5, 0x3f0000, v5, v6
	v_cmp_ne_u32_e32 vcc_lo, 0, v7
	s_delay_alu instid0(VALU_DEP_2) | instskip(SKIP_1) | instid1(SALU_CYCLE_1)
	v_cmp_ne_u32_e64 s0, 0, v5
	s_and_b32 s0, vcc_lo, s0
	v_cndmask_b32_e64 v5, 0, 1, s0
	s_delay_alu instid0(VALU_DEP_1)
	v_add_nc_u32_e32 v5, v4, v5
.LBB35_373:
	s_or_b32 exec_lo, exec_lo, s26
	s_mov_b32 s26, -1
	s_mov_b32 s0, 0
	global_store_b8 v[2:3], v5, off
.LBB35_374:
	s_mov_b32 s27, 0
.LBB35_375:
	s_delay_alu instid0(SALU_CYCLE_1)
	s_and_b32 vcc_lo, exec_lo, s27
	s_cbranch_vccz .LBB35_378
; %bb.376:
	s_cmp_eq_u32 s25, 29
	s_mov_b32 s0, -1
	s_cbranch_scc0 .LBB35_378
; %bb.377:
	s_wait_xcnt 0x0
	v_lshlrev_b32_e32 v4, 16, v1
	s_mov_b32 s26, -1
	s_mov_b32 s0, 0
	s_mov_b32 s27, 0
	s_delay_alu instid0(VALU_DEP_1) | instskip(NEXT) | instid1(VALU_DEP_1)
	v_trunc_f32_e32 v4, v4
	v_mul_f32_e32 v5, 0x2f800000, v4
	s_delay_alu instid0(VALU_DEP_1) | instskip(NEXT) | instid1(VALU_DEP_1)
	v_floor_f32_e32 v5, v5
	v_fmamk_f32 v4, v5, 0xcf800000, v4
	v_cvt_u32_f32_e32 v5, v5
	s_delay_alu instid0(VALU_DEP_2)
	v_cvt_u32_f32_e32 v4, v4
	global_store_b64 v[2:3], v[4:5], off
	s_branch .LBB35_379
.LBB35_378:
	s_mov_b32 s27, 0
.LBB35_379:
	s_delay_alu instid0(SALU_CYCLE_1)
	s_and_b32 vcc_lo, exec_lo, s27
	s_cbranch_vccz .LBB35_395
; %bb.380:
	s_cmp_lt_i32 s25, 27
	s_mov_b32 s26, -1
	s_cbranch_scc1 .LBB35_386
; %bb.381:
	s_cmp_gt_i32 s25, 27
	s_cbranch_scc0 .LBB35_383
; %bb.382:
	s_wait_xcnt 0x0
	v_lshlrev_b32_e32 v4, 16, v1
	s_mov_b32 s26, 0
	s_delay_alu instid0(VALU_DEP_1)
	v_cvt_u32_f32_e32 v4, v4
	global_store_b32 v[2:3], v4, off
.LBB35_383:
	s_and_not1_b32 vcc_lo, exec_lo, s26
	s_cbranch_vccnz .LBB35_385
; %bb.384:
	s_wait_xcnt 0x0
	v_lshlrev_b32_e32 v4, 16, v1
	s_delay_alu instid0(VALU_DEP_1)
	v_cvt_u32_f32_e32 v4, v4
	global_store_b16 v[2:3], v4, off
.LBB35_385:
	s_mov_b32 s26, 0
.LBB35_386:
	s_delay_alu instid0(SALU_CYCLE_1)
	s_and_not1_b32 vcc_lo, exec_lo, s26
	s_cbranch_vccnz .LBB35_394
; %bb.387:
	v_dual_mov_b32 v7, 0x80 :: v_dual_lshlrev_b32 v6, 16, v1
	s_mov_b32 s26, exec_lo
	s_wait_xcnt 0x0
	s_delay_alu instid0(VALU_DEP_1) | instskip(NEXT) | instid1(VALU_DEP_1)
	v_and_b32_e32 v5, 0x7fffffff, v6
	v_cmpx_gt_u32_e32 0x43800000, v5
	s_cbranch_execz .LBB35_393
; %bb.388:
	v_and_b32_e32 v4, 0xffff, v1
	v_cmp_lt_u32_e32 vcc_lo, 0x3bffffff, v5
	s_mov_b32 s27, 0
                                        ; implicit-def: $vgpr5
	s_and_saveexec_b32 s41, vcc_lo
	s_delay_alu instid0(SALU_CYCLE_1)
	s_xor_b32 s41, exec_lo, s41
	s_cbranch_execz .LBB35_583
; %bb.389:
	v_bfe_u32 v5, v4, 4, 1
	s_mov_b32 s27, exec_lo
	s_delay_alu instid0(VALU_DEP_1) | instskip(NEXT) | instid1(VALU_DEP_1)
	v_add3_u32 v5, v6, v5, 0x487ffff
                                        ; implicit-def: $vgpr6
	v_lshrrev_b32_e32 v5, 20, v5
	s_and_not1_saveexec_b32 s41, s41
	s_cbranch_execnz .LBB35_584
.LBB35_390:
	s_or_b32 exec_lo, exec_lo, s41
	v_mov_b32_e32 v7, 0
	s_and_saveexec_b32 s41, s27
.LBB35_391:
	v_lshrrev_b32_e32 v4, 8, v4
	s_delay_alu instid0(VALU_DEP_1)
	v_and_or_b32 v7, 0x80, v4, v5
.LBB35_392:
	s_or_b32 exec_lo, exec_lo, s41
.LBB35_393:
	s_delay_alu instid0(SALU_CYCLE_1)
	s_or_b32 exec_lo, exec_lo, s26
	global_store_b8 v[2:3], v7, off
.LBB35_394:
	s_mov_b32 s26, -1
.LBB35_395:
	s_mov_b32 s27, 0
.LBB35_396:
	s_delay_alu instid0(SALU_CYCLE_1)
	s_and_b32 vcc_lo, exec_lo, s27
	s_cbranch_vccz .LBB35_437
; %bb.397:
	s_cmp_gt_i32 s25, 22
	s_mov_b32 s27, -1
	s_cbranch_scc0 .LBB35_429
; %bb.398:
	s_cmp_lt_i32 s25, 24
	s_mov_b32 s26, -1
	s_cbranch_scc1 .LBB35_418
; %bb.399:
	s_cmp_gt_i32 s25, 24
	s_cbranch_scc0 .LBB35_407
; %bb.400:
	s_wait_xcnt 0x0
	v_dual_mov_b32 v7, 0x80 :: v_dual_lshlrev_b32 v6, 16, v1
	s_mov_b32 s26, exec_lo
	s_delay_alu instid0(VALU_DEP_1) | instskip(NEXT) | instid1(VALU_DEP_1)
	v_and_b32_e32 v5, 0x7fffffff, v6
	v_cmpx_gt_u32_e32 0x47800000, v5
	s_cbranch_execz .LBB35_406
; %bb.401:
	v_and_b32_e32 v4, 0xffff, v1
	v_cmp_lt_u32_e32 vcc_lo, 0x37ffffff, v5
	s_mov_b32 s27, 0
                                        ; implicit-def: $vgpr5
	s_and_saveexec_b32 s41, vcc_lo
	s_delay_alu instid0(SALU_CYCLE_1)
	s_xor_b32 s41, exec_lo, s41
	s_cbranch_execz .LBB35_586
; %bb.402:
	v_bfe_u32 v5, v4, 5, 1
	s_mov_b32 s27, exec_lo
	s_delay_alu instid0(VALU_DEP_1) | instskip(NEXT) | instid1(VALU_DEP_1)
	v_add3_u32 v5, v6, v5, 0x88fffff
                                        ; implicit-def: $vgpr6
	v_lshrrev_b32_e32 v5, 21, v5
	s_and_not1_saveexec_b32 s41, s41
	s_cbranch_execnz .LBB35_587
.LBB35_403:
	s_or_b32 exec_lo, exec_lo, s41
	v_mov_b32_e32 v7, 0
	s_and_saveexec_b32 s41, s27
.LBB35_404:
	v_lshrrev_b32_e32 v4, 8, v4
	s_delay_alu instid0(VALU_DEP_1)
	v_and_or_b32 v7, 0x80, v4, v5
.LBB35_405:
	s_or_b32 exec_lo, exec_lo, s41
.LBB35_406:
	s_delay_alu instid0(SALU_CYCLE_1)
	s_or_b32 exec_lo, exec_lo, s26
	s_mov_b32 s26, 0
	global_store_b8 v[2:3], v7, off
.LBB35_407:
	s_and_b32 vcc_lo, exec_lo, s26
	s_cbranch_vccz .LBB35_417
; %bb.408:
	v_lshlrev_b32_e32 v6, 16, v1
	s_wait_xcnt 0x0
	v_and_b32_e32 v4, 0xffff, v1
	s_mov_b32 s26, exec_lo
                                        ; implicit-def: $vgpr5
	s_delay_alu instid0(VALU_DEP_2) | instskip(NEXT) | instid1(VALU_DEP_1)
	v_and_b32_e32 v7, 0x7fffffff, v6
	v_cmpx_gt_u32_e32 0x43f00000, v7
	s_xor_b32 s26, exec_lo, s26
	s_cbranch_execz .LBB35_414
; %bb.409:
	s_mov_b32 s27, exec_lo
                                        ; implicit-def: $vgpr5
	v_cmpx_lt_u32_e32 0x3c7fffff, v7
	s_xor_b32 s27, exec_lo, s27
; %bb.410:
	v_bfe_u32 v5, v4, 4, 1
	s_delay_alu instid0(VALU_DEP_1) | instskip(NEXT) | instid1(VALU_DEP_1)
	v_add3_u32 v5, v6, v5, 0x407ffff
	v_and_b32_e32 v6, 0xff00000, v5
	v_lshrrev_b32_e32 v5, 20, v5
	s_delay_alu instid0(VALU_DEP_2) | instskip(NEXT) | instid1(VALU_DEP_2)
	v_cmp_ne_u32_e32 vcc_lo, 0x7f00000, v6
                                        ; implicit-def: $vgpr6
	v_cndmask_b32_e32 v5, 0x7e, v5, vcc_lo
; %bb.411:
	s_and_not1_saveexec_b32 s27, s27
; %bb.412:
	v_add_f32_e64 v5, 0x46800000, |v6|
; %bb.413:
	s_or_b32 exec_lo, exec_lo, s27
                                        ; implicit-def: $vgpr7
.LBB35_414:
	s_and_not1_saveexec_b32 s26, s26
; %bb.415:
	v_mov_b32_e32 v5, 0x7f
	v_cmp_lt_u32_e32 vcc_lo, 0x7f800000, v7
	s_delay_alu instid0(VALU_DEP_2)
	v_cndmask_b32_e32 v5, 0x7e, v5, vcc_lo
; %bb.416:
	s_or_b32 exec_lo, exec_lo, s26
	v_lshrrev_b32_e32 v4, 8, v4
	s_delay_alu instid0(VALU_DEP_1)
	v_and_or_b32 v4, 0x80, v4, v5
	global_store_b8 v[2:3], v4, off
.LBB35_417:
	s_mov_b32 s26, 0
.LBB35_418:
	s_delay_alu instid0(SALU_CYCLE_1)
	s_and_not1_b32 vcc_lo, exec_lo, s26
	s_cbranch_vccnz .LBB35_428
; %bb.419:
	v_lshlrev_b32_e32 v6, 16, v1
	s_wait_xcnt 0x0
	v_and_b32_e32 v4, 0xffff, v1
	s_mov_b32 s26, exec_lo
                                        ; implicit-def: $vgpr5
	s_delay_alu instid0(VALU_DEP_2) | instskip(NEXT) | instid1(VALU_DEP_1)
	v_and_b32_e32 v7, 0x7fffffff, v6
	v_cmpx_gt_u32_e32 0x47800000, v7
	s_xor_b32 s26, exec_lo, s26
	s_cbranch_execz .LBB35_425
; %bb.420:
	s_mov_b32 s27, exec_lo
                                        ; implicit-def: $vgpr5
	v_cmpx_lt_u32_e32 0x387fffff, v7
	s_xor_b32 s27, exec_lo, s27
; %bb.421:
	v_bfe_u32 v5, v4, 5, 1
	s_delay_alu instid0(VALU_DEP_1) | instskip(NEXT) | instid1(VALU_DEP_1)
	v_add3_u32 v5, v6, v5, 0x80fffff
                                        ; implicit-def: $vgpr6
	v_lshrrev_b32_e32 v5, 21, v5
; %bb.422:
	s_and_not1_saveexec_b32 s27, s27
; %bb.423:
	v_add_f32_e64 v5, 0x43000000, |v6|
; %bb.424:
	s_or_b32 exec_lo, exec_lo, s27
                                        ; implicit-def: $vgpr7
.LBB35_425:
	s_and_not1_saveexec_b32 s26, s26
; %bb.426:
	v_mov_b32_e32 v5, 0x7f
	v_cmp_lt_u32_e32 vcc_lo, 0x7f800000, v7
	s_delay_alu instid0(VALU_DEP_2)
	v_cndmask_b32_e32 v5, 0x7c, v5, vcc_lo
; %bb.427:
	s_or_b32 exec_lo, exec_lo, s26
	v_lshrrev_b32_e32 v4, 8, v4
	s_delay_alu instid0(VALU_DEP_1)
	v_and_or_b32 v4, 0x80, v4, v5
	global_store_b8 v[2:3], v4, off
.LBB35_428:
	s_mov_b32 s27, 0
	s_mov_b32 s26, -1
.LBB35_429:
	s_and_not1_b32 vcc_lo, exec_lo, s27
	s_cbranch_vccnz .LBB35_437
; %bb.430:
	s_cmp_gt_i32 s25, 14
	s_mov_b32 s27, -1
	s_cbranch_scc0 .LBB35_434
; %bb.431:
	s_cmp_eq_u32 s25, 15
	s_mov_b32 s0, -1
	s_cbranch_scc0 .LBB35_433
; %bb.432:
	s_mov_b32 s26, -1
	s_mov_b32 s0, 0
	global_store_b16 v[2:3], v1, off
.LBB35_433:
	s_mov_b32 s27, 0
.LBB35_434:
	s_delay_alu instid0(SALU_CYCLE_1)
	s_and_b32 vcc_lo, exec_lo, s27
	s_cbranch_vccz .LBB35_437
; %bb.435:
	s_cmp_eq_u32 s25, 11
	s_mov_b32 s0, -1
	s_cbranch_scc0 .LBB35_437
; %bb.436:
	s_wait_xcnt 0x0
	v_and_b32_e32 v4, 0x7fff, v1
	s_mov_b32 s0, 0
	s_mov_b32 s26, -1
	s_delay_alu instid0(VALU_DEP_1)
	v_cmp_ne_u16_e32 vcc_lo, 0, v4
	v_cndmask_b32_e64 v4, 0, 1, vcc_lo
	global_store_b8 v[2:3], v4, off
.LBB35_437:
.LBB35_438:
	s_and_not1_b32 vcc_lo, exec_lo, s26
	s_cbranch_vccnz .LBB35_351
.LBB35_439:
	v_add_nc_u32_e32 v0, 0x80, v0
	s_mov_b32 s1, -1
	s_branch .LBB35_552
.LBB35_440:
	s_mov_b32 s24, -1
                                        ; implicit-def: $vgpr1
.LBB35_441:
	s_mov_b32 s25, 0
.LBB35_442:
	s_delay_alu instid0(SALU_CYCLE_1)
	s_and_b32 vcc_lo, exec_lo, s25
	s_cbranch_vccz .LBB35_446
; %bb.443:
	s_cmp_eq_u32 s0, 29
	s_cbranch_scc0 .LBB35_445
; %bb.444:
	global_load_b64 v[6:7], v[4:5], off
	s_mov_b32 s1, -1
	s_mov_b32 s24, 0
	s_mov_b32 s25, 0
	s_wait_loadcnt 0x0
	v_clz_i32_u32_e32 v1, v7
	s_delay_alu instid0(VALU_DEP_1) | instskip(NEXT) | instid1(VALU_DEP_1)
	v_min_u32_e32 v1, 32, v1
	v_lshlrev_b64_e32 v[6:7], v1, v[6:7]
	v_sub_nc_u32_e32 v1, 32, v1
	s_delay_alu instid0(VALU_DEP_2) | instskip(NEXT) | instid1(VALU_DEP_1)
	v_min_u32_e32 v3, 1, v6
	v_or_b32_e32 v3, v7, v3
	s_delay_alu instid0(VALU_DEP_1) | instskip(NEXT) | instid1(VALU_DEP_1)
	v_cvt_f32_u32_e32 v3, v3
	v_ldexp_f32 v1, v3, v1
	s_delay_alu instid0(VALU_DEP_1) | instskip(NEXT) | instid1(VALU_DEP_1)
	v_bfe_u32 v3, v1, 16, 1
	v_add3_u32 v1, v1, v3, 0x7fff
	s_delay_alu instid0(VALU_DEP_1)
	v_lshrrev_b32_e32 v1, 16, v1
	s_branch .LBB35_447
.LBB35_445:
	s_mov_b32 s24, -1
                                        ; implicit-def: $vgpr1
.LBB35_446:
	s_mov_b32 s25, 0
.LBB35_447:
	s_delay_alu instid0(SALU_CYCLE_1)
	s_and_b32 vcc_lo, exec_lo, s25
	s_cbranch_vccz .LBB35_465
; %bb.448:
	s_cmp_lt_i32 s0, 27
	s_cbranch_scc1 .LBB35_451
; %bb.449:
	s_cmp_gt_i32 s0, 27
	s_cbranch_scc0 .LBB35_452
; %bb.450:
	s_wait_loadcnt 0x0
	global_load_b32 v1, v[4:5], off
	s_mov_b32 s1, 0
	s_wait_loadcnt 0x0
	v_cvt_f32_u32_e32 v1, v1
	s_delay_alu instid0(VALU_DEP_1) | instskip(NEXT) | instid1(VALU_DEP_1)
	v_bfe_u32 v3, v1, 16, 1
	v_add3_u32 v1, v1, v3, 0x7fff
	s_delay_alu instid0(VALU_DEP_1)
	v_lshrrev_b32_e32 v1, 16, v1
	s_branch .LBB35_453
.LBB35_451:
	s_mov_b32 s1, -1
                                        ; implicit-def: $vgpr1
	s_branch .LBB35_456
.LBB35_452:
	s_mov_b32 s1, -1
                                        ; implicit-def: $vgpr1
.LBB35_453:
	s_delay_alu instid0(SALU_CYCLE_1)
	s_and_not1_b32 vcc_lo, exec_lo, s1
	s_cbranch_vccnz .LBB35_455
; %bb.454:
	s_wait_loadcnt 0x0
	global_load_u16 v1, v[4:5], off
	s_wait_loadcnt 0x0
	v_cvt_f32_u32_e32 v1, v1
	s_delay_alu instid0(VALU_DEP_1) | instskip(NEXT) | instid1(VALU_DEP_1)
	v_bfe_u32 v3, v1, 16, 1
	v_add3_u32 v1, v1, v3, 0x7fff
	s_delay_alu instid0(VALU_DEP_1)
	v_lshrrev_b32_e32 v1, 16, v1
.LBB35_455:
	s_mov_b32 s1, 0
.LBB35_456:
	s_delay_alu instid0(SALU_CYCLE_1)
	s_and_not1_b32 vcc_lo, exec_lo, s1
	s_cbranch_vccnz .LBB35_464
; %bb.457:
	s_wait_loadcnt 0x0
	global_load_u8 v1, v[4:5], off
	s_mov_b32 s1, 0
	s_mov_b32 s25, exec_lo
	s_wait_loadcnt 0x0
	v_cmpx_lt_i16_e32 0x7f, v1
	s_xor_b32 s25, exec_lo, s25
	s_cbranch_execz .LBB35_478
; %bb.458:
	s_mov_b32 s1, -1
	s_mov_b32 s26, exec_lo
	v_cmpx_eq_u16_e32 0x80, v1
; %bb.459:
	s_xor_b32 s1, exec_lo, -1
; %bb.460:
	s_or_b32 exec_lo, exec_lo, s26
	s_delay_alu instid0(SALU_CYCLE_1)
	s_and_b32 s1, s1, exec_lo
	s_or_saveexec_b32 s25, s25
	v_mov_b32_e32 v3, 0x7f800001
	s_xor_b32 exec_lo, exec_lo, s25
	s_cbranch_execnz .LBB35_479
.LBB35_461:
	s_or_b32 exec_lo, exec_lo, s25
	s_and_saveexec_b32 s25, s1
	s_cbranch_execz .LBB35_463
.LBB35_462:
	v_and_b32_e32 v3, 0xffff, v1
	s_delay_alu instid0(VALU_DEP_1) | instskip(SKIP_1) | instid1(VALU_DEP_2)
	v_dual_lshlrev_b32 v1, 24, v1 :: v_dual_bitop2_b32 v6, 7, v3 bitop3:0x40
	v_bfe_u32 v9, v3, 3, 4
	v_and_b32_e32 v1, 0x80000000, v1
	s_delay_alu instid0(VALU_DEP_3) | instskip(NEXT) | instid1(VALU_DEP_3)
	v_clz_i32_u32_e32 v7, v6
	v_cmp_eq_u32_e32 vcc_lo, 0, v9
	s_delay_alu instid0(VALU_DEP_2) | instskip(NEXT) | instid1(VALU_DEP_1)
	v_min_u32_e32 v7, 32, v7
	v_subrev_nc_u32_e32 v8, 28, v7
	v_sub_nc_u32_e32 v7, 29, v7
	s_delay_alu instid0(VALU_DEP_2) | instskip(NEXT) | instid1(VALU_DEP_2)
	v_lshlrev_b32_e32 v3, v8, v3
	v_cndmask_b32_e32 v7, v9, v7, vcc_lo
	s_delay_alu instid0(VALU_DEP_2) | instskip(NEXT) | instid1(VALU_DEP_1)
	v_and_b32_e32 v3, 7, v3
	v_cndmask_b32_e32 v3, v6, v3, vcc_lo
	s_delay_alu instid0(VALU_DEP_3) | instskip(NEXT) | instid1(VALU_DEP_2)
	v_lshl_add_u32 v6, v7, 23, 0x3b800000
	v_lshlrev_b32_e32 v3, 20, v3
	s_delay_alu instid0(VALU_DEP_1)
	v_or3_b32 v3, v1, v6, v3
.LBB35_463:
	s_or_b32 exec_lo, exec_lo, s25
	s_delay_alu instid0(VALU_DEP_1) | instskip(SKIP_1) | instid1(VALU_DEP_2)
	v_bfe_u32 v1, v3, 16, 1
	v_cmp_o_f32_e32 vcc_lo, v3, v3
	v_add3_u32 v1, v3, v1, 0x7fff
	s_delay_alu instid0(VALU_DEP_1) | instskip(NEXT) | instid1(VALU_DEP_1)
	v_lshrrev_b32_e32 v1, 16, v1
	v_cndmask_b32_e32 v1, 0x7fc0, v1, vcc_lo
.LBB35_464:
	s_mov_b32 s1, -1
.LBB35_465:
	s_mov_b32 s25, 0
.LBB35_466:
	s_delay_alu instid0(SALU_CYCLE_1)
	s_and_b32 vcc_lo, exec_lo, s25
	s_cbranch_vccz .LBB35_501
; %bb.467:
	s_cmp_gt_i32 s0, 22
	s_cbranch_scc0 .LBB35_477
; %bb.468:
	s_cmp_lt_i32 s0, 24
	s_cbranch_scc1 .LBB35_480
; %bb.469:
	s_cmp_gt_i32 s0, 24
	s_cbranch_scc0 .LBB35_481
; %bb.470:
	s_wait_loadcnt 0x0
	global_load_u8 v1, v[4:5], off
	s_mov_b32 s1, 0
	s_mov_b32 s25, exec_lo
	s_wait_loadcnt 0x0
	v_cmpx_lt_i16_e32 0x7f, v1
	s_xor_b32 s25, exec_lo, s25
	s_cbranch_execz .LBB35_493
; %bb.471:
	s_mov_b32 s1, -1
	s_mov_b32 s26, exec_lo
	v_cmpx_eq_u16_e32 0x80, v1
; %bb.472:
	s_xor_b32 s1, exec_lo, -1
; %bb.473:
	s_or_b32 exec_lo, exec_lo, s26
	s_delay_alu instid0(SALU_CYCLE_1)
	s_and_b32 s1, s1, exec_lo
	s_or_saveexec_b32 s25, s25
	v_mov_b32_e32 v3, 0x7f800001
	s_xor_b32 exec_lo, exec_lo, s25
	s_cbranch_execnz .LBB35_494
.LBB35_474:
	s_or_b32 exec_lo, exec_lo, s25
	s_and_saveexec_b32 s25, s1
	s_cbranch_execz .LBB35_476
.LBB35_475:
	v_and_b32_e32 v3, 0xffff, v1
	s_delay_alu instid0(VALU_DEP_1) | instskip(SKIP_1) | instid1(VALU_DEP_2)
	v_dual_lshlrev_b32 v1, 24, v1 :: v_dual_bitop2_b32 v6, 3, v3 bitop3:0x40
	v_bfe_u32 v9, v3, 2, 5
	v_and_b32_e32 v1, 0x80000000, v1
	s_delay_alu instid0(VALU_DEP_3) | instskip(NEXT) | instid1(VALU_DEP_3)
	v_clz_i32_u32_e32 v7, v6
	v_cmp_eq_u32_e32 vcc_lo, 0, v9
	s_delay_alu instid0(VALU_DEP_2) | instskip(NEXT) | instid1(VALU_DEP_1)
	v_min_u32_e32 v7, 32, v7
	v_subrev_nc_u32_e32 v8, 29, v7
	v_sub_nc_u32_e32 v7, 30, v7
	s_delay_alu instid0(VALU_DEP_2) | instskip(NEXT) | instid1(VALU_DEP_2)
	v_lshlrev_b32_e32 v3, v8, v3
	v_cndmask_b32_e32 v7, v9, v7, vcc_lo
	s_delay_alu instid0(VALU_DEP_2) | instskip(NEXT) | instid1(VALU_DEP_1)
	v_and_b32_e32 v3, 3, v3
	v_cndmask_b32_e32 v3, v6, v3, vcc_lo
	s_delay_alu instid0(VALU_DEP_3) | instskip(NEXT) | instid1(VALU_DEP_2)
	v_lshl_add_u32 v6, v7, 23, 0x37800000
	v_lshlrev_b32_e32 v3, 21, v3
	s_delay_alu instid0(VALU_DEP_1)
	v_or3_b32 v3, v1, v6, v3
.LBB35_476:
	s_or_b32 exec_lo, exec_lo, s25
	s_delay_alu instid0(VALU_DEP_1) | instskip(SKIP_2) | instid1(VALU_DEP_2)
	v_bfe_u32 v1, v3, 16, 1
	v_cmp_o_f32_e32 vcc_lo, v3, v3
	s_mov_b32 s1, 0
	v_add3_u32 v1, v3, v1, 0x7fff
	s_delay_alu instid0(VALU_DEP_1) | instskip(NEXT) | instid1(VALU_DEP_1)
	v_lshrrev_b32_e32 v1, 16, v1
	v_cndmask_b32_e32 v1, 0x7fc0, v1, vcc_lo
	s_branch .LBB35_482
.LBB35_477:
	s_mov_b32 s25, -1
                                        ; implicit-def: $vgpr1
	s_branch .LBB35_488
.LBB35_478:
	s_or_saveexec_b32 s25, s25
	v_mov_b32_e32 v3, 0x7f800001
	s_xor_b32 exec_lo, exec_lo, s25
	s_cbranch_execz .LBB35_461
.LBB35_479:
	v_cmp_ne_u16_e32 vcc_lo, 0, v1
	v_mov_b32_e32 v3, 0
	s_and_not1_b32 s1, s1, exec_lo
	s_and_b32 s26, vcc_lo, exec_lo
	s_delay_alu instid0(SALU_CYCLE_1)
	s_or_b32 s1, s1, s26
	s_or_b32 exec_lo, exec_lo, s25
	s_and_saveexec_b32 s25, s1
	s_cbranch_execnz .LBB35_462
	s_branch .LBB35_463
.LBB35_480:
	s_mov_b32 s1, -1
                                        ; implicit-def: $vgpr1
	s_branch .LBB35_485
.LBB35_481:
	s_mov_b32 s1, -1
                                        ; implicit-def: $vgpr1
.LBB35_482:
	s_delay_alu instid0(SALU_CYCLE_1)
	s_and_b32 vcc_lo, exec_lo, s1
	s_cbranch_vccz .LBB35_484
; %bb.483:
	s_wait_loadcnt 0x0
	global_load_u8 v1, v[4:5], off
	s_wait_loadcnt 0x0
	v_lshlrev_b32_e32 v1, 24, v1
	s_delay_alu instid0(VALU_DEP_1) | instskip(NEXT) | instid1(VALU_DEP_1)
	v_and_b32_e32 v3, 0x7f000000, v1
	v_clz_i32_u32_e32 v6, v3
	v_cmp_ne_u32_e32 vcc_lo, 0, v3
	v_add_nc_u32_e32 v8, 0x1000000, v3
	s_delay_alu instid0(VALU_DEP_3) | instskip(NEXT) | instid1(VALU_DEP_1)
	v_min_u32_e32 v6, 32, v6
	v_sub_nc_u32_e64 v6, v6, 4 clamp
	s_delay_alu instid0(VALU_DEP_1) | instskip(NEXT) | instid1(VALU_DEP_1)
	v_dual_lshlrev_b32 v7, v6, v3 :: v_dual_lshlrev_b32 v6, 23, v6
	v_lshrrev_b32_e32 v7, 4, v7
	s_delay_alu instid0(VALU_DEP_1) | instskip(NEXT) | instid1(VALU_DEP_1)
	v_dual_sub_nc_u32 v6, v7, v6 :: v_dual_ashrrev_i32 v7, 8, v8
	v_add_nc_u32_e32 v6, 0x3c000000, v6
	s_delay_alu instid0(VALU_DEP_1) | instskip(NEXT) | instid1(VALU_DEP_1)
	v_and_or_b32 v6, 0x7f800000, v7, v6
	v_cndmask_b32_e32 v3, 0, v6, vcc_lo
	s_delay_alu instid0(VALU_DEP_1) | instskip(SKIP_1) | instid1(VALU_DEP_2)
	v_and_or_b32 v1, 0x80000000, v1, v3
	v_bfe_u32 v3, v3, 16, 1
	v_cmp_o_f32_e32 vcc_lo, v1, v1
	s_delay_alu instid0(VALU_DEP_2) | instskip(NEXT) | instid1(VALU_DEP_1)
	v_add3_u32 v3, v1, v3, 0x7fff
	v_lshrrev_b32_e32 v3, 16, v3
	s_delay_alu instid0(VALU_DEP_1)
	v_cndmask_b32_e32 v1, 0x7fc0, v3, vcc_lo
.LBB35_484:
	s_mov_b32 s1, 0
.LBB35_485:
	s_delay_alu instid0(SALU_CYCLE_1)
	s_and_not1_b32 vcc_lo, exec_lo, s1
	s_cbranch_vccnz .LBB35_487
; %bb.486:
	s_wait_loadcnt 0x0
	global_load_u8 v1, v[4:5], off
	s_wait_loadcnt 0x0
	v_lshlrev_b32_e32 v3, 25, v1
	v_lshlrev_b16 v1, 8, v1
	s_delay_alu instid0(VALU_DEP_1) | instskip(SKIP_1) | instid1(VALU_DEP_2)
	v_and_or_b32 v7, 0x7f00, v1, 0.5
	v_bfe_i32 v1, v1, 0, 16
	v_add_f32_e32 v7, -0.5, v7
	v_lshrrev_b32_e32 v6, 4, v3
	v_cmp_gt_u32_e32 vcc_lo, 0x8000000, v3
	s_delay_alu instid0(VALU_DEP_2) | instskip(NEXT) | instid1(VALU_DEP_1)
	v_or_b32_e32 v6, 0x70000000, v6
	v_mul_f32_e32 v6, 0x7800000, v6
	s_delay_alu instid0(VALU_DEP_1) | instskip(NEXT) | instid1(VALU_DEP_1)
	v_cndmask_b32_e32 v3, v6, v7, vcc_lo
	v_and_or_b32 v1, 0x80000000, v1, v3
	v_bfe_u32 v3, v3, 16, 1
	s_delay_alu instid0(VALU_DEP_2) | instskip(NEXT) | instid1(VALU_DEP_2)
	v_cmp_o_f32_e32 vcc_lo, v1, v1
	v_add3_u32 v3, v1, v3, 0x7fff
	s_delay_alu instid0(VALU_DEP_1) | instskip(NEXT) | instid1(VALU_DEP_1)
	v_lshrrev_b32_e32 v3, 16, v3
	v_cndmask_b32_e32 v1, 0x7fc0, v3, vcc_lo
.LBB35_487:
	s_mov_b32 s25, 0
	s_mov_b32 s1, -1
.LBB35_488:
	s_and_not1_b32 vcc_lo, exec_lo, s25
	s_cbranch_vccnz .LBB35_501
; %bb.489:
	s_cmp_gt_i32 s0, 14
	s_cbranch_scc0 .LBB35_492
; %bb.490:
	s_cmp_eq_u32 s0, 15
	s_cbranch_scc0 .LBB35_495
; %bb.491:
	s_wait_loadcnt 0x0
	global_load_u16 v1, v[4:5], off
	s_mov_b32 s1, -1
	s_mov_b32 s24, 0
	s_branch .LBB35_496
.LBB35_492:
	s_mov_b32 s25, -1
                                        ; implicit-def: $vgpr1
	s_branch .LBB35_497
.LBB35_493:
	s_or_saveexec_b32 s25, s25
	v_mov_b32_e32 v3, 0x7f800001
	s_xor_b32 exec_lo, exec_lo, s25
	s_cbranch_execz .LBB35_474
.LBB35_494:
	v_cmp_ne_u16_e32 vcc_lo, 0, v1
	v_mov_b32_e32 v3, 0
	s_and_not1_b32 s1, s1, exec_lo
	s_and_b32 s26, vcc_lo, exec_lo
	s_delay_alu instid0(SALU_CYCLE_1)
	s_or_b32 s1, s1, s26
	s_or_b32 exec_lo, exec_lo, s25
	s_and_saveexec_b32 s25, s1
	s_cbranch_execnz .LBB35_475
	s_branch .LBB35_476
.LBB35_495:
	s_mov_b32 s24, -1
                                        ; implicit-def: $vgpr1
.LBB35_496:
	s_mov_b32 s25, 0
.LBB35_497:
	s_delay_alu instid0(SALU_CYCLE_1)
	s_and_b32 vcc_lo, exec_lo, s25
	s_cbranch_vccz .LBB35_501
; %bb.498:
	s_cmp_eq_u32 s0, 11
	s_cbranch_scc0 .LBB35_500
; %bb.499:
	s_wait_loadcnt 0x0
	global_load_u8 v1, v[4:5], off
	s_mov_b32 s24, 0
	s_mov_b32 s1, -1
	s_wait_loadcnt 0x0
	v_cmp_ne_u16_e32 vcc_lo, 0, v1
	v_cndmask_b32_e64 v1, 0, 1.0, vcc_lo
	s_delay_alu instid0(VALU_DEP_1)
	v_lshrrev_b32_e32 v1, 16, v1
	s_branch .LBB35_501
.LBB35_500:
	s_mov_b32 s24, -1
                                        ; implicit-def: $vgpr1
.LBB35_501:
	s_branch .LBB35_300
.LBB35_502:
	s_cmp_lt_i32 s0, 5
	s_cbranch_scc1 .LBB35_507
; %bb.503:
	s_cmp_lt_i32 s0, 8
	s_cbranch_scc1 .LBB35_508
; %bb.504:
	;; [unrolled: 3-line block ×3, first 2 shown]
	s_cmp_gt_i32 s0, 9
	s_cbranch_scc0 .LBB35_510
; %bb.506:
	global_load_b64 v[6:7], v[4:5], off
	s_mov_b32 s1, 0
	s_wait_loadcnt 0x0
	v_cvt_f32_f64_e32 v1, v[6:7]
	s_delay_alu instid0(VALU_DEP_1) | instskip(SKIP_1) | instid1(VALU_DEP_2)
	v_bfe_u32 v3, v1, 16, 1
	v_cmp_o_f32_e32 vcc_lo, v1, v1
	v_add3_u32 v3, v1, v3, 0x7fff
	s_delay_alu instid0(VALU_DEP_1) | instskip(NEXT) | instid1(VALU_DEP_1)
	v_lshrrev_b32_e32 v3, 16, v3
	v_cndmask_b32_e32 v1, 0x7fc0, v3, vcc_lo
	s_branch .LBB35_511
.LBB35_507:
	s_mov_b32 s1, -1
                                        ; implicit-def: $vgpr1
	s_branch .LBB35_529
.LBB35_508:
	s_mov_b32 s1, -1
                                        ; implicit-def: $vgpr1
	s_branch .LBB35_517
.LBB35_509:
	s_mov_b32 s1, -1
                                        ; implicit-def: $vgpr1
	s_branch .LBB35_514
.LBB35_510:
	s_mov_b32 s1, -1
                                        ; implicit-def: $vgpr1
.LBB35_511:
	s_delay_alu instid0(SALU_CYCLE_1)
	s_and_not1_b32 vcc_lo, exec_lo, s1
	s_cbranch_vccnz .LBB35_513
; %bb.512:
	s_wait_loadcnt 0x0
	global_load_b32 v1, v[4:5], off
	s_wait_loadcnt 0x0
	v_bfe_u32 v3, v1, 16, 1
	v_cmp_o_f32_e32 vcc_lo, v1, v1
	s_delay_alu instid0(VALU_DEP_2) | instskip(NEXT) | instid1(VALU_DEP_1)
	v_add3_u32 v3, v1, v3, 0x7fff
	v_lshrrev_b32_e32 v3, 16, v3
	s_delay_alu instid0(VALU_DEP_1)
	v_cndmask_b32_e32 v1, 0x7fc0, v3, vcc_lo
.LBB35_513:
	s_mov_b32 s1, 0
.LBB35_514:
	s_delay_alu instid0(SALU_CYCLE_1)
	s_and_not1_b32 vcc_lo, exec_lo, s1
	s_cbranch_vccnz .LBB35_516
; %bb.515:
	s_wait_loadcnt 0x0
	global_load_b32 v1, v[4:5], off
	s_wait_loadcnt 0x0
	v_cvt_f32_f16_e32 v3, v1
	v_cmp_o_f16_e32 vcc_lo, v1, v1
	s_delay_alu instid0(VALU_DEP_2) | instskip(NEXT) | instid1(VALU_DEP_1)
	v_bfe_u32 v6, v3, 16, 1
	v_add3_u32 v3, v3, v6, 0x7fff
	s_delay_alu instid0(VALU_DEP_1) | instskip(NEXT) | instid1(VALU_DEP_1)
	v_lshrrev_b32_e32 v3, 16, v3
	v_cndmask_b32_e32 v1, 0x7fc0, v3, vcc_lo
.LBB35_516:
	s_mov_b32 s1, 0
.LBB35_517:
	s_delay_alu instid0(SALU_CYCLE_1)
	s_and_not1_b32 vcc_lo, exec_lo, s1
	s_cbranch_vccnz .LBB35_528
; %bb.518:
	s_cmp_lt_i32 s0, 6
	s_cbranch_scc1 .LBB35_521
; %bb.519:
	s_cmp_gt_i32 s0, 6
	s_cbranch_scc0 .LBB35_522
; %bb.520:
	global_load_b64 v[6:7], v[4:5], off
	s_mov_b32 s1, 0
	s_wait_loadcnt 0x0
	v_cvt_f32_f64_e32 v1, v[6:7]
	s_delay_alu instid0(VALU_DEP_1) | instskip(SKIP_1) | instid1(VALU_DEP_2)
	v_bfe_u32 v3, v1, 16, 1
	v_cmp_o_f32_e32 vcc_lo, v1, v1
	v_add3_u32 v3, v1, v3, 0x7fff
	s_delay_alu instid0(VALU_DEP_1) | instskip(NEXT) | instid1(VALU_DEP_1)
	v_lshrrev_b32_e32 v3, 16, v3
	v_cndmask_b32_e32 v1, 0x7fc0, v3, vcc_lo
	s_branch .LBB35_523
.LBB35_521:
	s_mov_b32 s1, -1
                                        ; implicit-def: $vgpr1
	s_branch .LBB35_526
.LBB35_522:
	s_mov_b32 s1, -1
                                        ; implicit-def: $vgpr1
.LBB35_523:
	s_delay_alu instid0(SALU_CYCLE_1)
	s_and_not1_b32 vcc_lo, exec_lo, s1
	s_cbranch_vccnz .LBB35_525
; %bb.524:
	s_wait_loadcnt 0x0
	global_load_b32 v1, v[4:5], off
	s_wait_loadcnt 0x0
	v_bfe_u32 v3, v1, 16, 1
	v_cmp_o_f32_e32 vcc_lo, v1, v1
	s_delay_alu instid0(VALU_DEP_2) | instskip(NEXT) | instid1(VALU_DEP_1)
	v_add3_u32 v3, v1, v3, 0x7fff
	v_lshrrev_b32_e32 v3, 16, v3
	s_delay_alu instid0(VALU_DEP_1)
	v_cndmask_b32_e32 v1, 0x7fc0, v3, vcc_lo
.LBB35_525:
	s_mov_b32 s1, 0
.LBB35_526:
	s_delay_alu instid0(SALU_CYCLE_1)
	s_and_not1_b32 vcc_lo, exec_lo, s1
	s_cbranch_vccnz .LBB35_528
; %bb.527:
	s_wait_loadcnt 0x0
	global_load_u16 v1, v[4:5], off
	s_wait_loadcnt 0x0
	v_cvt_f32_f16_e32 v3, v1
	v_cmp_o_f16_e32 vcc_lo, v1, v1
	s_delay_alu instid0(VALU_DEP_2) | instskip(NEXT) | instid1(VALU_DEP_1)
	v_bfe_u32 v6, v3, 16, 1
	v_add3_u32 v3, v3, v6, 0x7fff
	s_delay_alu instid0(VALU_DEP_1) | instskip(NEXT) | instid1(VALU_DEP_1)
	v_lshrrev_b32_e32 v3, 16, v3
	v_cndmask_b32_e32 v1, 0x7fc0, v3, vcc_lo
.LBB35_528:
	s_mov_b32 s1, 0
.LBB35_529:
	s_delay_alu instid0(SALU_CYCLE_1)
	s_and_not1_b32 vcc_lo, exec_lo, s1
	s_cbranch_vccnz .LBB35_549
; %bb.530:
	s_cmp_lt_i32 s0, 2
	s_cbranch_scc1 .LBB35_534
; %bb.531:
	s_cmp_lt_i32 s0, 3
	s_cbranch_scc1 .LBB35_535
; %bb.532:
	s_cmp_gt_i32 s0, 3
	s_cbranch_scc0 .LBB35_536
; %bb.533:
	global_load_b64 v[6:7], v[4:5], off
	s_mov_b32 s1, 0
	s_wait_loadcnt 0x0
	v_xor_b32_e32 v1, v6, v7
	v_cls_i32_e32 v3, v7
	s_delay_alu instid0(VALU_DEP_2) | instskip(NEXT) | instid1(VALU_DEP_1)
	v_ashrrev_i32_e32 v1, 31, v1
	v_add_nc_u32_e32 v1, 32, v1
	s_delay_alu instid0(VALU_DEP_1) | instskip(NEXT) | instid1(VALU_DEP_1)
	v_add_min_u32_e64 v1, v3, -1, v1
	v_lshlrev_b64_e32 v[6:7], v1, v[6:7]
	v_sub_nc_u32_e32 v1, 32, v1
	s_delay_alu instid0(VALU_DEP_2) | instskip(NEXT) | instid1(VALU_DEP_1)
	v_min_u32_e32 v3, 1, v6
	v_or_b32_e32 v3, v7, v3
	s_delay_alu instid0(VALU_DEP_1) | instskip(NEXT) | instid1(VALU_DEP_1)
	v_cvt_f32_i32_e32 v3, v3
	v_ldexp_f32 v1, v3, v1
	s_delay_alu instid0(VALU_DEP_1) | instskip(NEXT) | instid1(VALU_DEP_1)
	v_bfe_u32 v3, v1, 16, 1
	v_add3_u32 v1, v1, v3, 0x7fff
	s_delay_alu instid0(VALU_DEP_1)
	v_lshrrev_b32_e32 v1, 16, v1
	s_branch .LBB35_537
.LBB35_534:
	s_mov_b32 s1, -1
                                        ; implicit-def: $vgpr1
	s_branch .LBB35_543
.LBB35_535:
	s_mov_b32 s1, -1
                                        ; implicit-def: $vgpr1
	s_branch .LBB35_540
.LBB35_536:
	s_mov_b32 s1, -1
                                        ; implicit-def: $vgpr1
.LBB35_537:
	s_delay_alu instid0(SALU_CYCLE_1)
	s_and_not1_b32 vcc_lo, exec_lo, s1
	s_cbranch_vccnz .LBB35_539
; %bb.538:
	s_wait_loadcnt 0x0
	global_load_b32 v1, v[4:5], off
	s_wait_loadcnt 0x0
	v_cvt_f32_i32_e32 v1, v1
	s_delay_alu instid0(VALU_DEP_1) | instskip(NEXT) | instid1(VALU_DEP_1)
	v_bfe_u32 v3, v1, 16, 1
	v_add3_u32 v1, v1, v3, 0x7fff
	s_delay_alu instid0(VALU_DEP_1)
	v_lshrrev_b32_e32 v1, 16, v1
.LBB35_539:
	s_mov_b32 s1, 0
.LBB35_540:
	s_delay_alu instid0(SALU_CYCLE_1)
	s_and_not1_b32 vcc_lo, exec_lo, s1
	s_cbranch_vccnz .LBB35_542
; %bb.541:
	s_wait_loadcnt 0x0
	global_load_i16 v1, v[4:5], off
	s_wait_loadcnt 0x0
	v_cvt_f32_i32_e32 v1, v1
	s_delay_alu instid0(VALU_DEP_1) | instskip(NEXT) | instid1(VALU_DEP_1)
	v_bfe_u32 v3, v1, 16, 1
	v_add3_u32 v1, v1, v3, 0x7fff
	s_delay_alu instid0(VALU_DEP_1)
	v_lshrrev_b32_e32 v1, 16, v1
.LBB35_542:
	s_mov_b32 s1, 0
.LBB35_543:
	s_delay_alu instid0(SALU_CYCLE_1)
	s_and_not1_b32 vcc_lo, exec_lo, s1
	s_cbranch_vccnz .LBB35_549
; %bb.544:
	s_cmp_gt_i32 s0, 0
	s_mov_b32 s0, 0
	s_cbranch_scc0 .LBB35_546
; %bb.545:
	s_wait_loadcnt 0x0
	global_load_i8 v1, v[4:5], off
	s_wait_loadcnt 0x0
	v_cvt_f32_i32_e32 v1, v1
	s_delay_alu instid0(VALU_DEP_1) | instskip(NEXT) | instid1(VALU_DEP_1)
	v_bfe_u32 v3, v1, 16, 1
	v_add3_u32 v1, v1, v3, 0x7fff
	s_delay_alu instid0(VALU_DEP_1)
	v_lshrrev_b32_e32 v1, 16, v1
	s_branch .LBB35_547
.LBB35_546:
	s_mov_b32 s0, -1
                                        ; implicit-def: $vgpr1
.LBB35_547:
	s_delay_alu instid0(SALU_CYCLE_1)
	s_and_not1_b32 vcc_lo, exec_lo, s0
	s_cbranch_vccnz .LBB35_549
; %bb.548:
	s_wait_loadcnt 0x0
	global_load_u8 v1, v[4:5], off
	s_wait_loadcnt 0x0
	v_cvt_f32_ubyte0_e32 v1, v1
	s_delay_alu instid0(VALU_DEP_1) | instskip(NEXT) | instid1(VALU_DEP_1)
	v_bfe_u32 v3, v1, 16, 1
	v_add3_u32 v1, v1, v3, 0x7fff
	s_delay_alu instid0(VALU_DEP_1)
	v_lshrrev_b32_e32 v1, 16, v1
.LBB35_549:
	s_branch .LBB35_301
.LBB35_550:
	s_mov_b32 s1, 0
	s_mov_b32 s0, s18
.LBB35_551:
                                        ; implicit-def: $vgpr0
.LBB35_552:
	s_and_not1_b32 s25, s18, exec_lo
	s_and_b32 s0, s0, exec_lo
	s_and_not1_b32 s26, s39, exec_lo
	s_and_b32 s24, s24, exec_lo
	s_or_b32 s42, s25, s0
	s_or_b32 s41, s26, s24
	s_or_not1_b32 s0, s1, exec_lo
.LBB35_553:
	s_wait_xcnt 0x0
	s_or_b32 exec_lo, exec_lo, s43
	s_mov_b32 s1, 0
	s_mov_b32 s24, 0
	;; [unrolled: 1-line block ×3, first 2 shown]
                                        ; implicit-def: $vgpr4_vgpr5
                                        ; implicit-def: $vgpr2
                                        ; implicit-def: $vgpr6
	s_and_saveexec_b32 s43, s0
	s_cbranch_execz .LBB35_937
; %bb.554:
	s_mov_b32 s25, -1
	s_mov_b32 s26, s41
	s_mov_b32 s27, s42
	s_mov_b32 s44, exec_lo
	v_cmpx_gt_i32_e64 s36, v0
	s_cbranch_execz .LBB35_834
; %bb.555:
	s_and_not1_b32 vcc_lo, exec_lo, s31
	s_cbranch_vccnz .LBB35_561
; %bb.556:
	s_and_not1_b32 vcc_lo, exec_lo, s38
	s_cbranch_vccnz .LBB35_562
; %bb.557:
	s_add_co_i32 s1, s37, 1
	s_cmp_eq_u32 s29, 2
	s_cbranch_scc1 .LBB35_563
; %bb.558:
	v_dual_mov_b32 v2, 0 :: v_dual_mov_b32 v4, 0
	s_wait_loadcnt 0x0
	v_mov_b32_e32 v1, v0
	s_and_b32 s0, s1, 28
	s_mov_b32 s45, 0
	s_mov_b64 s[24:25], s[2:3]
	s_mov_b64 s[26:27], s[22:23]
.LBB35_559:                             ; =>This Inner Loop Header: Depth=1
	s_clause 0x1
	s_load_b256 s[48:55], s[24:25], 0x4
	s_load_b128 s[64:67], s[24:25], 0x24
	s_load_b256 s[56:63], s[26:27], 0x0
	s_add_co_i32 s45, s45, 4
	s_wait_xcnt 0x0
	s_add_nc_u64 s[24:25], s[24:25], 48
	s_cmp_eq_u32 s0, s45
	s_add_nc_u64 s[26:27], s[26:27], 32
	s_wait_kmcnt 0x0
	v_mul_hi_u32 v3, s49, v1
	s_delay_alu instid0(VALU_DEP_1) | instskip(NEXT) | instid1(VALU_DEP_1)
	v_add_nc_u32_e32 v3, v1, v3
	v_lshrrev_b32_e32 v3, s50, v3
	s_delay_alu instid0(VALU_DEP_1) | instskip(NEXT) | instid1(VALU_DEP_1)
	v_mul_hi_u32 v5, s52, v3
	v_add_nc_u32_e32 v5, v3, v5
	s_delay_alu instid0(VALU_DEP_1) | instskip(NEXT) | instid1(VALU_DEP_1)
	v_lshrrev_b32_e32 v5, s53, v5
	v_mul_hi_u32 v6, s55, v5
	s_delay_alu instid0(VALU_DEP_1) | instskip(SKIP_1) | instid1(VALU_DEP_1)
	v_add_nc_u32_e32 v6, v5, v6
	v_mul_lo_u32 v7, v3, s48
	v_sub_nc_u32_e32 v1, v1, v7
	v_mul_lo_u32 v7, v5, s51
	s_delay_alu instid0(VALU_DEP_4) | instskip(NEXT) | instid1(VALU_DEP_3)
	v_lshrrev_b32_e32 v6, s64, v6
	v_mad_u32 v4, v1, s57, v4
	v_mad_u32 v1, v1, s56, v2
	s_delay_alu instid0(VALU_DEP_4) | instskip(NEXT) | instid1(VALU_DEP_4)
	v_sub_nc_u32_e32 v2, v3, v7
	v_mul_hi_u32 v8, s66, v6
	v_mul_lo_u32 v3, v6, s54
	s_delay_alu instid0(VALU_DEP_3) | instskip(SKIP_1) | instid1(VALU_DEP_3)
	v_mad_u32 v4, v2, s59, v4
	v_mad_u32 v2, v2, s58, v1
	v_dual_add_nc_u32 v7, v6, v8 :: v_dual_sub_nc_u32 v3, v5, v3
	s_delay_alu instid0(VALU_DEP_1) | instskip(NEXT) | instid1(VALU_DEP_2)
	v_lshrrev_b32_e32 v1, s67, v7
	v_mad_u32 v4, v3, s61, v4
	s_delay_alu instid0(VALU_DEP_4) | instskip(NEXT) | instid1(VALU_DEP_3)
	v_mad_u32 v2, v3, s60, v2
	v_mul_lo_u32 v5, v1, s65
	s_delay_alu instid0(VALU_DEP_1) | instskip(NEXT) | instid1(VALU_DEP_1)
	v_sub_nc_u32_e32 v3, v6, v5
	v_mad_u32 v4, v3, s63, v4
	s_delay_alu instid0(VALU_DEP_4)
	v_mad_u32 v2, v3, s62, v2
	s_cbranch_scc0 .LBB35_559
; %bb.560:
	s_delay_alu instid0(VALU_DEP_2)
	v_mov_b32_e32 v3, v4
	s_branch .LBB35_564
.LBB35_561:
	s_mov_b32 s0, -1
                                        ; implicit-def: $vgpr4
                                        ; implicit-def: $vgpr2
	s_branch .LBB35_569
.LBB35_562:
	v_dual_mov_b32 v4, 0 :: v_dual_mov_b32 v2, 0
	s_branch .LBB35_568
.LBB35_563:
	v_mov_b64_e32 v[2:3], 0
	s_wait_loadcnt 0x0
	v_mov_b32_e32 v1, v0
	s_mov_b32 s0, 0
                                        ; implicit-def: $vgpr4
.LBB35_564:
	s_and_b32 s26, s1, 3
	s_mov_b32 s1, 0
	s_cmp_eq_u32 s26, 0
	s_cbranch_scc1 .LBB35_568
; %bb.565:
	s_lshl_b32 s24, s0, 3
	s_mov_b32 s25, s1
	s_mul_u64 s[46:47], s[0:1], 12
	s_add_nc_u64 s[24:25], s[2:3], s[24:25]
	s_delay_alu instid0(SALU_CYCLE_1)
	s_add_nc_u64 s[0:1], s[24:25], 0xc4
	s_add_nc_u64 s[24:25], s[2:3], s[46:47]
.LBB35_566:                             ; =>This Inner Loop Header: Depth=1
	s_load_b96 s[48:50], s[24:25], 0x4
	s_load_b64 s[46:47], s[0:1], 0x0
	s_add_co_i32 s26, s26, -1
	s_wait_xcnt 0x0
	s_add_nc_u64 s[24:25], s[24:25], 12
	s_cmp_lg_u32 s26, 0
	s_add_nc_u64 s[0:1], s[0:1], 8
	s_wait_kmcnt 0x0
	v_mul_hi_u32 v4, s49, v1
	s_delay_alu instid0(VALU_DEP_1) | instskip(NEXT) | instid1(VALU_DEP_1)
	v_add_nc_u32_e32 v4, v1, v4
	v_lshrrev_b32_e32 v4, s50, v4
	s_delay_alu instid0(VALU_DEP_1) | instskip(NEXT) | instid1(VALU_DEP_1)
	v_mul_lo_u32 v5, v4, s48
	v_sub_nc_u32_e32 v1, v1, v5
	s_delay_alu instid0(VALU_DEP_1)
	v_mad_u32 v3, v1, s47, v3
	v_mad_u32 v2, v1, s46, v2
	v_mov_b32_e32 v1, v4
	s_cbranch_scc1 .LBB35_566
; %bb.567:
	s_delay_alu instid0(VALU_DEP_3)
	v_mov_b32_e32 v4, v3
.LBB35_568:
	s_mov_b32 s0, 0
.LBB35_569:
	s_delay_alu instid0(SALU_CYCLE_1)
	s_and_not1_b32 vcc_lo, exec_lo, s0
	s_cbranch_vccnz .LBB35_572
; %bb.570:
	s_wait_loadcnt 0x0
	v_mov_b32_e32 v1, 0
	s_and_not1_b32 vcc_lo, exec_lo, s35
	s_delay_alu instid0(VALU_DEP_1) | instskip(NEXT) | instid1(VALU_DEP_1)
	v_mul_u64_e32 v[2:3], s[16:17], v[0:1]
	v_add_nc_u32_e32 v2, v0, v3
	s_delay_alu instid0(VALU_DEP_1) | instskip(NEXT) | instid1(VALU_DEP_1)
	v_lshrrev_b32_e32 v6, s14, v2
	v_mul_lo_u32 v2, v6, s12
	s_delay_alu instid0(VALU_DEP_1) | instskip(NEXT) | instid1(VALU_DEP_1)
	v_sub_nc_u32_e32 v2, v0, v2
	v_mul_lo_u32 v4, v2, s9
	v_mul_lo_u32 v2, v2, s8
	s_cbranch_vccnz .LBB35_572
; %bb.571:
	v_mov_b32_e32 v7, v1
	s_delay_alu instid0(VALU_DEP_1) | instskip(NEXT) | instid1(VALU_DEP_1)
	v_mul_u64_e32 v[8:9], s[20:21], v[6:7]
	v_add_nc_u32_e32 v1, v6, v9
	s_delay_alu instid0(VALU_DEP_1) | instskip(NEXT) | instid1(VALU_DEP_1)
	v_lshrrev_b32_e32 v1, s19, v1
	v_mul_lo_u32 v1, v1, s15
	s_delay_alu instid0(VALU_DEP_1) | instskip(NEXT) | instid1(VALU_DEP_1)
	v_sub_nc_u32_e32 v1, v6, v1
	v_mad_u32 v2, v1, s10, v2
	v_mad_u32 v4, v1, s11, v4
.LBB35_572:
	v_mov_b32_e32 v5, 0
	s_and_b32 s0, 0xffff, s13
	s_delay_alu instid0(SALU_CYCLE_1) | instskip(NEXT) | instid1(VALU_DEP_1)
	s_cmp_lt_i32 s0, 11
	v_add_nc_u64_e32 v[4:5], s[6:7], v[4:5]
	s_cbranch_scc1 .LBB35_579
; %bb.573:
	s_cmp_gt_i32 s0, 25
	s_cbranch_scc0 .LBB35_580
; %bb.574:
	s_cmp_gt_i32 s0, 28
	s_cbranch_scc0 .LBB35_581
	;; [unrolled: 3-line block ×4, first 2 shown]
; %bb.577:
	s_cmp_eq_u32 s0, 46
	s_mov_b32 s25, 0
	s_cbranch_scc0 .LBB35_588
; %bb.578:
	s_wait_loadcnt 0x0
	global_load_b32 v1, v[4:5], off
	s_mov_b32 s1, -1
	s_mov_b32 s24, 0
	s_branch .LBB35_590
.LBB35_579:
	s_mov_b32 s25, -1
	s_mov_b32 s1, 0
	s_mov_b32 s24, s41
                                        ; implicit-def: $vgpr1
	s_branch .LBB35_655
.LBB35_580:
	s_mov_b32 s25, -1
	s_mov_b32 s1, 0
	s_mov_b32 s24, s41
                                        ; implicit-def: $vgpr1
	s_branch .LBB35_619
.LBB35_581:
	s_mov_b32 s25, -1
	s_mov_b32 s1, 0
	s_mov_b32 s24, s41
                                        ; implicit-def: $vgpr1
	s_branch .LBB35_600
.LBB35_582:
	s_mov_b32 s25, -1
	s_mov_b32 s1, 0
	s_mov_b32 s24, s41
                                        ; implicit-def: $vgpr1
	s_branch .LBB35_595
.LBB35_583:
	s_and_not1_saveexec_b32 s41, s41
	s_cbranch_execz .LBB35_390
.LBB35_584:
	v_add_f32_e64 v5, 0x46000000, |v6|
	s_and_not1_b32 s27, s27, exec_lo
	s_delay_alu instid0(VALU_DEP_1) | instskip(NEXT) | instid1(VALU_DEP_1)
	v_and_b32_e32 v5, 0xff, v5
	v_cmp_ne_u32_e32 vcc_lo, 0, v5
	s_and_b32 s42, vcc_lo, exec_lo
	s_delay_alu instid0(SALU_CYCLE_1)
	s_or_b32 s27, s27, s42
	s_or_b32 exec_lo, exec_lo, s41
	v_mov_b32_e32 v7, 0
	s_and_saveexec_b32 s41, s27
	s_cbranch_execnz .LBB35_391
	s_branch .LBB35_392
.LBB35_585:
	s_mov_b32 s25, -1
	s_mov_b32 s1, 0
	s_mov_b32 s24, s41
	s_branch .LBB35_589
.LBB35_586:
	s_and_not1_saveexec_b32 s41, s41
	s_cbranch_execz .LBB35_403
.LBB35_587:
	v_add_f32_e64 v5, 0x42800000, |v6|
	s_and_not1_b32 s27, s27, exec_lo
	s_delay_alu instid0(VALU_DEP_1) | instskip(NEXT) | instid1(VALU_DEP_1)
	v_and_b32_e32 v5, 0xff, v5
	v_cmp_ne_u32_e32 vcc_lo, 0, v5
	s_and_b32 s42, vcc_lo, exec_lo
	s_delay_alu instid0(SALU_CYCLE_1)
	s_or_b32 s27, s27, s42
	s_or_b32 exec_lo, exec_lo, s41
	v_mov_b32_e32 v7, 0
	s_and_saveexec_b32 s41, s27
	s_cbranch_execnz .LBB35_404
	s_branch .LBB35_405
.LBB35_588:
	s_mov_b32 s24, -1
	s_mov_b32 s1, 0
.LBB35_589:
                                        ; implicit-def: $vgpr1
.LBB35_590:
	s_and_b32 vcc_lo, exec_lo, s25
	s_cbranch_vccz .LBB35_594
; %bb.591:
	s_cmp_eq_u32 s0, 44
	s_cbranch_scc0 .LBB35_593
; %bb.592:
	s_wait_loadcnt 0x0
	global_load_u8 v1, v[4:5], off
	s_mov_b32 s24, 0
	s_mov_b32 s1, -1
	s_wait_loadcnt 0x0
	v_lshlrev_b32_e32 v3, 23, v1
	v_cmp_ne_u32_e32 vcc_lo, 0xff, v1
	s_delay_alu instid0(VALU_DEP_2) | instskip(SKIP_1) | instid1(VALU_DEP_2)
	v_cndmask_b32_e32 v3, 0x7f800001, v3, vcc_lo
	v_cmp_ne_u32_e32 vcc_lo, 0, v1
	v_cndmask_b32_e32 v1, 0x400000, v3, vcc_lo
	s_delay_alu instid0(VALU_DEP_1) | instskip(SKIP_1) | instid1(VALU_DEP_2)
	v_add_nc_u32_e32 v3, 0x7fff, v1
	v_cmp_o_f32_e32 vcc_lo, v1, v1
	v_lshrrev_b32_e32 v3, 16, v3
	s_delay_alu instid0(VALU_DEP_1)
	v_cndmask_b32_e32 v1, 0x7fc0, v3, vcc_lo
	s_branch .LBB35_594
.LBB35_593:
	s_mov_b32 s24, -1
                                        ; implicit-def: $vgpr1
.LBB35_594:
	s_mov_b32 s25, 0
.LBB35_595:
	s_delay_alu instid0(SALU_CYCLE_1)
	s_and_b32 vcc_lo, exec_lo, s25
	s_cbranch_vccz .LBB35_599
; %bb.596:
	s_cmp_eq_u32 s0, 29
	s_cbranch_scc0 .LBB35_598
; %bb.597:
	global_load_b64 v[6:7], v[4:5], off
	s_mov_b32 s1, -1
	s_mov_b32 s24, 0
	s_mov_b32 s25, 0
	s_wait_loadcnt 0x0
	v_clz_i32_u32_e32 v1, v7
	s_delay_alu instid0(VALU_DEP_1) | instskip(NEXT) | instid1(VALU_DEP_1)
	v_min_u32_e32 v1, 32, v1
	v_lshlrev_b64_e32 v[6:7], v1, v[6:7]
	v_sub_nc_u32_e32 v1, 32, v1
	s_delay_alu instid0(VALU_DEP_2) | instskip(NEXT) | instid1(VALU_DEP_1)
	v_min_u32_e32 v3, 1, v6
	v_or_b32_e32 v3, v7, v3
	s_delay_alu instid0(VALU_DEP_1) | instskip(NEXT) | instid1(VALU_DEP_1)
	v_cvt_f32_u32_e32 v3, v3
	v_ldexp_f32 v1, v3, v1
	s_delay_alu instid0(VALU_DEP_1) | instskip(NEXT) | instid1(VALU_DEP_1)
	v_bfe_u32 v3, v1, 16, 1
	v_add3_u32 v1, v1, v3, 0x7fff
	s_delay_alu instid0(VALU_DEP_1)
	v_lshrrev_b32_e32 v1, 16, v1
	s_branch .LBB35_600
.LBB35_598:
	s_mov_b32 s24, -1
                                        ; implicit-def: $vgpr1
.LBB35_599:
	s_mov_b32 s25, 0
.LBB35_600:
	s_delay_alu instid0(SALU_CYCLE_1)
	s_and_b32 vcc_lo, exec_lo, s25
	s_cbranch_vccz .LBB35_618
; %bb.601:
	s_cmp_lt_i32 s0, 27
	s_cbranch_scc1 .LBB35_604
; %bb.602:
	s_cmp_gt_i32 s0, 27
	s_cbranch_scc0 .LBB35_605
; %bb.603:
	s_wait_loadcnt 0x0
	global_load_b32 v1, v[4:5], off
	s_mov_b32 s1, 0
	s_wait_loadcnt 0x0
	v_cvt_f32_u32_e32 v1, v1
	s_delay_alu instid0(VALU_DEP_1) | instskip(NEXT) | instid1(VALU_DEP_1)
	v_bfe_u32 v3, v1, 16, 1
	v_add3_u32 v1, v1, v3, 0x7fff
	s_delay_alu instid0(VALU_DEP_1)
	v_lshrrev_b32_e32 v1, 16, v1
	s_branch .LBB35_606
.LBB35_604:
	s_mov_b32 s1, -1
                                        ; implicit-def: $vgpr1
	s_branch .LBB35_609
.LBB35_605:
	s_mov_b32 s1, -1
                                        ; implicit-def: $vgpr1
.LBB35_606:
	s_delay_alu instid0(SALU_CYCLE_1)
	s_and_not1_b32 vcc_lo, exec_lo, s1
	s_cbranch_vccnz .LBB35_608
; %bb.607:
	s_wait_loadcnt 0x0
	global_load_u16 v1, v[4:5], off
	s_wait_loadcnt 0x0
	v_cvt_f32_u32_e32 v1, v1
	s_delay_alu instid0(VALU_DEP_1) | instskip(NEXT) | instid1(VALU_DEP_1)
	v_bfe_u32 v3, v1, 16, 1
	v_add3_u32 v1, v1, v3, 0x7fff
	s_delay_alu instid0(VALU_DEP_1)
	v_lshrrev_b32_e32 v1, 16, v1
.LBB35_608:
	s_mov_b32 s1, 0
.LBB35_609:
	s_delay_alu instid0(SALU_CYCLE_1)
	s_and_not1_b32 vcc_lo, exec_lo, s1
	s_cbranch_vccnz .LBB35_617
; %bb.610:
	s_wait_loadcnt 0x0
	global_load_u8 v1, v[4:5], off
	s_mov_b32 s1, 0
	s_mov_b32 s25, exec_lo
	s_wait_loadcnt 0x0
	v_cmpx_lt_i16_e32 0x7f, v1
	s_xor_b32 s25, exec_lo, s25
	s_cbranch_execz .LBB35_631
; %bb.611:
	s_mov_b32 s1, -1
	s_mov_b32 s26, exec_lo
	v_cmpx_eq_u16_e32 0x80, v1
; %bb.612:
	s_xor_b32 s1, exec_lo, -1
; %bb.613:
	s_or_b32 exec_lo, exec_lo, s26
	s_delay_alu instid0(SALU_CYCLE_1)
	s_and_b32 s1, s1, exec_lo
	s_or_saveexec_b32 s25, s25
	v_mov_b32_e32 v3, 0x7f800001
	s_xor_b32 exec_lo, exec_lo, s25
	s_cbranch_execnz .LBB35_632
.LBB35_614:
	s_or_b32 exec_lo, exec_lo, s25
	s_and_saveexec_b32 s25, s1
	s_cbranch_execz .LBB35_616
.LBB35_615:
	v_and_b32_e32 v3, 0xffff, v1
	s_delay_alu instid0(VALU_DEP_1) | instskip(SKIP_1) | instid1(VALU_DEP_2)
	v_dual_lshlrev_b32 v1, 24, v1 :: v_dual_bitop2_b32 v6, 7, v3 bitop3:0x40
	v_bfe_u32 v9, v3, 3, 4
	v_and_b32_e32 v1, 0x80000000, v1
	s_delay_alu instid0(VALU_DEP_3) | instskip(NEXT) | instid1(VALU_DEP_3)
	v_clz_i32_u32_e32 v7, v6
	v_cmp_eq_u32_e32 vcc_lo, 0, v9
	s_delay_alu instid0(VALU_DEP_2) | instskip(NEXT) | instid1(VALU_DEP_1)
	v_min_u32_e32 v7, 32, v7
	v_subrev_nc_u32_e32 v8, 28, v7
	v_sub_nc_u32_e32 v7, 29, v7
	s_delay_alu instid0(VALU_DEP_2) | instskip(NEXT) | instid1(VALU_DEP_2)
	v_lshlrev_b32_e32 v3, v8, v3
	v_cndmask_b32_e32 v7, v9, v7, vcc_lo
	s_delay_alu instid0(VALU_DEP_2) | instskip(NEXT) | instid1(VALU_DEP_1)
	v_and_b32_e32 v3, 7, v3
	v_cndmask_b32_e32 v3, v6, v3, vcc_lo
	s_delay_alu instid0(VALU_DEP_3) | instskip(NEXT) | instid1(VALU_DEP_2)
	v_lshl_add_u32 v6, v7, 23, 0x3b800000
	v_lshlrev_b32_e32 v3, 20, v3
	s_delay_alu instid0(VALU_DEP_1)
	v_or3_b32 v3, v1, v6, v3
.LBB35_616:
	s_or_b32 exec_lo, exec_lo, s25
	s_delay_alu instid0(VALU_DEP_1) | instskip(SKIP_1) | instid1(VALU_DEP_2)
	v_bfe_u32 v1, v3, 16, 1
	v_cmp_o_f32_e32 vcc_lo, v3, v3
	v_add3_u32 v1, v3, v1, 0x7fff
	s_delay_alu instid0(VALU_DEP_1) | instskip(NEXT) | instid1(VALU_DEP_1)
	v_lshrrev_b32_e32 v1, 16, v1
	v_cndmask_b32_e32 v1, 0x7fc0, v1, vcc_lo
.LBB35_617:
	s_mov_b32 s1, -1
.LBB35_618:
	s_mov_b32 s25, 0
.LBB35_619:
	s_delay_alu instid0(SALU_CYCLE_1)
	s_and_b32 vcc_lo, exec_lo, s25
	s_cbranch_vccz .LBB35_654
; %bb.620:
	s_cmp_gt_i32 s0, 22
	s_cbranch_scc0 .LBB35_630
; %bb.621:
	s_cmp_lt_i32 s0, 24
	s_cbranch_scc1 .LBB35_633
; %bb.622:
	s_cmp_gt_i32 s0, 24
	s_cbranch_scc0 .LBB35_634
; %bb.623:
	s_wait_loadcnt 0x0
	global_load_u8 v1, v[4:5], off
	s_mov_b32 s1, 0
	s_mov_b32 s25, exec_lo
	s_wait_loadcnt 0x0
	v_cmpx_lt_i16_e32 0x7f, v1
	s_xor_b32 s25, exec_lo, s25
	s_cbranch_execz .LBB35_646
; %bb.624:
	s_mov_b32 s1, -1
	s_mov_b32 s26, exec_lo
	v_cmpx_eq_u16_e32 0x80, v1
; %bb.625:
	s_xor_b32 s1, exec_lo, -1
; %bb.626:
	s_or_b32 exec_lo, exec_lo, s26
	s_delay_alu instid0(SALU_CYCLE_1)
	s_and_b32 s1, s1, exec_lo
	s_or_saveexec_b32 s25, s25
	v_mov_b32_e32 v3, 0x7f800001
	s_xor_b32 exec_lo, exec_lo, s25
	s_cbranch_execnz .LBB35_647
.LBB35_627:
	s_or_b32 exec_lo, exec_lo, s25
	s_and_saveexec_b32 s25, s1
	s_cbranch_execz .LBB35_629
.LBB35_628:
	v_and_b32_e32 v3, 0xffff, v1
	s_delay_alu instid0(VALU_DEP_1) | instskip(SKIP_1) | instid1(VALU_DEP_2)
	v_dual_lshlrev_b32 v1, 24, v1 :: v_dual_bitop2_b32 v6, 3, v3 bitop3:0x40
	v_bfe_u32 v9, v3, 2, 5
	v_and_b32_e32 v1, 0x80000000, v1
	s_delay_alu instid0(VALU_DEP_3) | instskip(NEXT) | instid1(VALU_DEP_3)
	v_clz_i32_u32_e32 v7, v6
	v_cmp_eq_u32_e32 vcc_lo, 0, v9
	s_delay_alu instid0(VALU_DEP_2) | instskip(NEXT) | instid1(VALU_DEP_1)
	v_min_u32_e32 v7, 32, v7
	v_subrev_nc_u32_e32 v8, 29, v7
	v_sub_nc_u32_e32 v7, 30, v7
	s_delay_alu instid0(VALU_DEP_2) | instskip(NEXT) | instid1(VALU_DEP_2)
	v_lshlrev_b32_e32 v3, v8, v3
	v_cndmask_b32_e32 v7, v9, v7, vcc_lo
	s_delay_alu instid0(VALU_DEP_2) | instskip(NEXT) | instid1(VALU_DEP_1)
	v_and_b32_e32 v3, 3, v3
	v_cndmask_b32_e32 v3, v6, v3, vcc_lo
	s_delay_alu instid0(VALU_DEP_3) | instskip(NEXT) | instid1(VALU_DEP_2)
	v_lshl_add_u32 v6, v7, 23, 0x37800000
	v_lshlrev_b32_e32 v3, 21, v3
	s_delay_alu instid0(VALU_DEP_1)
	v_or3_b32 v3, v1, v6, v3
.LBB35_629:
	s_or_b32 exec_lo, exec_lo, s25
	s_delay_alu instid0(VALU_DEP_1) | instskip(SKIP_2) | instid1(VALU_DEP_2)
	v_bfe_u32 v1, v3, 16, 1
	v_cmp_o_f32_e32 vcc_lo, v3, v3
	s_mov_b32 s1, 0
	v_add3_u32 v1, v3, v1, 0x7fff
	s_delay_alu instid0(VALU_DEP_1) | instskip(NEXT) | instid1(VALU_DEP_1)
	v_lshrrev_b32_e32 v1, 16, v1
	v_cndmask_b32_e32 v1, 0x7fc0, v1, vcc_lo
	s_branch .LBB35_635
.LBB35_630:
	s_mov_b32 s25, -1
                                        ; implicit-def: $vgpr1
	s_branch .LBB35_641
.LBB35_631:
	s_or_saveexec_b32 s25, s25
	v_mov_b32_e32 v3, 0x7f800001
	s_xor_b32 exec_lo, exec_lo, s25
	s_cbranch_execz .LBB35_614
.LBB35_632:
	v_cmp_ne_u16_e32 vcc_lo, 0, v1
	v_mov_b32_e32 v3, 0
	s_and_not1_b32 s1, s1, exec_lo
	s_and_b32 s26, vcc_lo, exec_lo
	s_delay_alu instid0(SALU_CYCLE_1)
	s_or_b32 s1, s1, s26
	s_or_b32 exec_lo, exec_lo, s25
	s_and_saveexec_b32 s25, s1
	s_cbranch_execnz .LBB35_615
	s_branch .LBB35_616
.LBB35_633:
	s_mov_b32 s1, -1
                                        ; implicit-def: $vgpr1
	s_branch .LBB35_638
.LBB35_634:
	s_mov_b32 s1, -1
                                        ; implicit-def: $vgpr1
.LBB35_635:
	s_delay_alu instid0(SALU_CYCLE_1)
	s_and_b32 vcc_lo, exec_lo, s1
	s_cbranch_vccz .LBB35_637
; %bb.636:
	s_wait_loadcnt 0x0
	global_load_u8 v1, v[4:5], off
	s_wait_loadcnt 0x0
	v_lshlrev_b32_e32 v1, 24, v1
	s_delay_alu instid0(VALU_DEP_1) | instskip(NEXT) | instid1(VALU_DEP_1)
	v_and_b32_e32 v3, 0x7f000000, v1
	v_clz_i32_u32_e32 v6, v3
	v_cmp_ne_u32_e32 vcc_lo, 0, v3
	v_add_nc_u32_e32 v8, 0x1000000, v3
	s_delay_alu instid0(VALU_DEP_3) | instskip(NEXT) | instid1(VALU_DEP_1)
	v_min_u32_e32 v6, 32, v6
	v_sub_nc_u32_e64 v6, v6, 4 clamp
	s_delay_alu instid0(VALU_DEP_1) | instskip(NEXT) | instid1(VALU_DEP_1)
	v_dual_lshlrev_b32 v7, v6, v3 :: v_dual_lshlrev_b32 v6, 23, v6
	v_lshrrev_b32_e32 v7, 4, v7
	s_delay_alu instid0(VALU_DEP_1) | instskip(NEXT) | instid1(VALU_DEP_1)
	v_dual_sub_nc_u32 v6, v7, v6 :: v_dual_ashrrev_i32 v7, 8, v8
	v_add_nc_u32_e32 v6, 0x3c000000, v6
	s_delay_alu instid0(VALU_DEP_1) | instskip(NEXT) | instid1(VALU_DEP_1)
	v_and_or_b32 v6, 0x7f800000, v7, v6
	v_cndmask_b32_e32 v3, 0, v6, vcc_lo
	s_delay_alu instid0(VALU_DEP_1) | instskip(SKIP_1) | instid1(VALU_DEP_2)
	v_and_or_b32 v1, 0x80000000, v1, v3
	v_bfe_u32 v3, v3, 16, 1
	v_cmp_o_f32_e32 vcc_lo, v1, v1
	s_delay_alu instid0(VALU_DEP_2) | instskip(NEXT) | instid1(VALU_DEP_1)
	v_add3_u32 v3, v1, v3, 0x7fff
	v_lshrrev_b32_e32 v3, 16, v3
	s_delay_alu instid0(VALU_DEP_1)
	v_cndmask_b32_e32 v1, 0x7fc0, v3, vcc_lo
.LBB35_637:
	s_mov_b32 s1, 0
.LBB35_638:
	s_delay_alu instid0(SALU_CYCLE_1)
	s_and_not1_b32 vcc_lo, exec_lo, s1
	s_cbranch_vccnz .LBB35_640
; %bb.639:
	s_wait_loadcnt 0x0
	global_load_u8 v1, v[4:5], off
	s_wait_loadcnt 0x0
	v_lshlrev_b32_e32 v3, 25, v1
	v_lshlrev_b16 v1, 8, v1
	s_delay_alu instid0(VALU_DEP_1) | instskip(SKIP_1) | instid1(VALU_DEP_2)
	v_and_or_b32 v7, 0x7f00, v1, 0.5
	v_bfe_i32 v1, v1, 0, 16
	v_add_f32_e32 v7, -0.5, v7
	v_lshrrev_b32_e32 v6, 4, v3
	v_cmp_gt_u32_e32 vcc_lo, 0x8000000, v3
	s_delay_alu instid0(VALU_DEP_2) | instskip(NEXT) | instid1(VALU_DEP_1)
	v_or_b32_e32 v6, 0x70000000, v6
	v_mul_f32_e32 v6, 0x7800000, v6
	s_delay_alu instid0(VALU_DEP_1) | instskip(NEXT) | instid1(VALU_DEP_1)
	v_cndmask_b32_e32 v3, v6, v7, vcc_lo
	v_and_or_b32 v1, 0x80000000, v1, v3
	v_bfe_u32 v3, v3, 16, 1
	s_delay_alu instid0(VALU_DEP_2) | instskip(NEXT) | instid1(VALU_DEP_2)
	v_cmp_o_f32_e32 vcc_lo, v1, v1
	v_add3_u32 v3, v1, v3, 0x7fff
	s_delay_alu instid0(VALU_DEP_1) | instskip(NEXT) | instid1(VALU_DEP_1)
	v_lshrrev_b32_e32 v3, 16, v3
	v_cndmask_b32_e32 v1, 0x7fc0, v3, vcc_lo
.LBB35_640:
	s_mov_b32 s25, 0
	s_mov_b32 s1, -1
.LBB35_641:
	s_and_not1_b32 vcc_lo, exec_lo, s25
	s_cbranch_vccnz .LBB35_654
; %bb.642:
	s_cmp_gt_i32 s0, 14
	s_cbranch_scc0 .LBB35_645
; %bb.643:
	s_cmp_eq_u32 s0, 15
	s_cbranch_scc0 .LBB35_648
; %bb.644:
	s_wait_loadcnt 0x0
	global_load_u16 v1, v[4:5], off
	s_mov_b32 s1, -1
	s_mov_b32 s24, 0
	s_branch .LBB35_649
.LBB35_645:
	s_mov_b32 s25, -1
                                        ; implicit-def: $vgpr1
	s_branch .LBB35_650
.LBB35_646:
	s_or_saveexec_b32 s25, s25
	v_mov_b32_e32 v3, 0x7f800001
	s_xor_b32 exec_lo, exec_lo, s25
	s_cbranch_execz .LBB35_627
.LBB35_647:
	v_cmp_ne_u16_e32 vcc_lo, 0, v1
	v_mov_b32_e32 v3, 0
	s_and_not1_b32 s1, s1, exec_lo
	s_and_b32 s26, vcc_lo, exec_lo
	s_delay_alu instid0(SALU_CYCLE_1)
	s_or_b32 s1, s1, s26
	s_or_b32 exec_lo, exec_lo, s25
	s_and_saveexec_b32 s25, s1
	s_cbranch_execnz .LBB35_628
	s_branch .LBB35_629
.LBB35_648:
	s_mov_b32 s24, -1
                                        ; implicit-def: $vgpr1
.LBB35_649:
	s_mov_b32 s25, 0
.LBB35_650:
	s_delay_alu instid0(SALU_CYCLE_1)
	s_and_b32 vcc_lo, exec_lo, s25
	s_cbranch_vccz .LBB35_654
; %bb.651:
	s_cmp_eq_u32 s0, 11
	s_cbranch_scc0 .LBB35_653
; %bb.652:
	s_wait_loadcnt 0x0
	global_load_u8 v1, v[4:5], off
	s_mov_b32 s24, 0
	s_mov_b32 s1, -1
	s_wait_loadcnt 0x0
	v_cmp_ne_u16_e32 vcc_lo, 0, v1
	v_cndmask_b32_e64 v1, 0, 1.0, vcc_lo
	s_delay_alu instid0(VALU_DEP_1)
	v_lshrrev_b32_e32 v1, 16, v1
	s_branch .LBB35_654
.LBB35_653:
	s_mov_b32 s24, -1
                                        ; implicit-def: $vgpr1
.LBB35_654:
	s_mov_b32 s25, 0
.LBB35_655:
	s_delay_alu instid0(SALU_CYCLE_1)
	s_and_b32 vcc_lo, exec_lo, s25
	s_cbranch_vccz .LBB35_704
; %bb.656:
	s_cmp_lt_i32 s0, 5
	s_cbranch_scc1 .LBB35_661
; %bb.657:
	s_cmp_lt_i32 s0, 8
	s_cbranch_scc1 .LBB35_662
	;; [unrolled: 3-line block ×3, first 2 shown]
; %bb.659:
	s_cmp_gt_i32 s0, 9
	s_cbranch_scc0 .LBB35_664
; %bb.660:
	global_load_b64 v[6:7], v[4:5], off
	s_mov_b32 s1, 0
	s_wait_loadcnt 0x0
	v_cvt_f32_f64_e32 v1, v[6:7]
	s_delay_alu instid0(VALU_DEP_1) | instskip(SKIP_1) | instid1(VALU_DEP_2)
	v_bfe_u32 v3, v1, 16, 1
	v_cmp_o_f32_e32 vcc_lo, v1, v1
	v_add3_u32 v3, v1, v3, 0x7fff
	s_delay_alu instid0(VALU_DEP_1) | instskip(NEXT) | instid1(VALU_DEP_1)
	v_lshrrev_b32_e32 v3, 16, v3
	v_cndmask_b32_e32 v1, 0x7fc0, v3, vcc_lo
	s_branch .LBB35_665
.LBB35_661:
	s_mov_b32 s1, -1
                                        ; implicit-def: $vgpr1
	s_branch .LBB35_683
.LBB35_662:
	s_mov_b32 s1, -1
                                        ; implicit-def: $vgpr1
	s_branch .LBB35_671
.LBB35_663:
	s_mov_b32 s1, -1
                                        ; implicit-def: $vgpr1
	s_branch .LBB35_668
.LBB35_664:
	s_mov_b32 s1, -1
                                        ; implicit-def: $vgpr1
.LBB35_665:
	s_delay_alu instid0(SALU_CYCLE_1)
	s_and_not1_b32 vcc_lo, exec_lo, s1
	s_cbranch_vccnz .LBB35_667
; %bb.666:
	s_wait_loadcnt 0x0
	global_load_b32 v1, v[4:5], off
	s_wait_loadcnt 0x0
	v_bfe_u32 v3, v1, 16, 1
	v_cmp_o_f32_e32 vcc_lo, v1, v1
	s_delay_alu instid0(VALU_DEP_2) | instskip(NEXT) | instid1(VALU_DEP_1)
	v_add3_u32 v3, v1, v3, 0x7fff
	v_lshrrev_b32_e32 v3, 16, v3
	s_delay_alu instid0(VALU_DEP_1)
	v_cndmask_b32_e32 v1, 0x7fc0, v3, vcc_lo
.LBB35_667:
	s_mov_b32 s1, 0
.LBB35_668:
	s_delay_alu instid0(SALU_CYCLE_1)
	s_and_not1_b32 vcc_lo, exec_lo, s1
	s_cbranch_vccnz .LBB35_670
; %bb.669:
	s_wait_loadcnt 0x0
	global_load_b32 v1, v[4:5], off
	s_wait_loadcnt 0x0
	v_cvt_f32_f16_e32 v3, v1
	v_cmp_o_f16_e32 vcc_lo, v1, v1
	s_delay_alu instid0(VALU_DEP_2) | instskip(NEXT) | instid1(VALU_DEP_1)
	v_bfe_u32 v6, v3, 16, 1
	v_add3_u32 v3, v3, v6, 0x7fff
	s_delay_alu instid0(VALU_DEP_1) | instskip(NEXT) | instid1(VALU_DEP_1)
	v_lshrrev_b32_e32 v3, 16, v3
	v_cndmask_b32_e32 v1, 0x7fc0, v3, vcc_lo
.LBB35_670:
	s_mov_b32 s1, 0
.LBB35_671:
	s_delay_alu instid0(SALU_CYCLE_1)
	s_and_not1_b32 vcc_lo, exec_lo, s1
	s_cbranch_vccnz .LBB35_682
; %bb.672:
	s_cmp_lt_i32 s0, 6
	s_cbranch_scc1 .LBB35_675
; %bb.673:
	s_cmp_gt_i32 s0, 6
	s_cbranch_scc0 .LBB35_676
; %bb.674:
	global_load_b64 v[6:7], v[4:5], off
	s_mov_b32 s1, 0
	s_wait_loadcnt 0x0
	v_cvt_f32_f64_e32 v1, v[6:7]
	s_delay_alu instid0(VALU_DEP_1) | instskip(SKIP_1) | instid1(VALU_DEP_2)
	v_bfe_u32 v3, v1, 16, 1
	v_cmp_o_f32_e32 vcc_lo, v1, v1
	v_add3_u32 v3, v1, v3, 0x7fff
	s_delay_alu instid0(VALU_DEP_1) | instskip(NEXT) | instid1(VALU_DEP_1)
	v_lshrrev_b32_e32 v3, 16, v3
	v_cndmask_b32_e32 v1, 0x7fc0, v3, vcc_lo
	s_branch .LBB35_677
.LBB35_675:
	s_mov_b32 s1, -1
                                        ; implicit-def: $vgpr1
	s_branch .LBB35_680
.LBB35_676:
	s_mov_b32 s1, -1
                                        ; implicit-def: $vgpr1
.LBB35_677:
	s_delay_alu instid0(SALU_CYCLE_1)
	s_and_not1_b32 vcc_lo, exec_lo, s1
	s_cbranch_vccnz .LBB35_679
; %bb.678:
	s_wait_loadcnt 0x0
	global_load_b32 v1, v[4:5], off
	s_wait_loadcnt 0x0
	v_bfe_u32 v3, v1, 16, 1
	v_cmp_o_f32_e32 vcc_lo, v1, v1
	s_delay_alu instid0(VALU_DEP_2) | instskip(NEXT) | instid1(VALU_DEP_1)
	v_add3_u32 v3, v1, v3, 0x7fff
	v_lshrrev_b32_e32 v3, 16, v3
	s_delay_alu instid0(VALU_DEP_1)
	v_cndmask_b32_e32 v1, 0x7fc0, v3, vcc_lo
.LBB35_679:
	s_mov_b32 s1, 0
.LBB35_680:
	s_delay_alu instid0(SALU_CYCLE_1)
	s_and_not1_b32 vcc_lo, exec_lo, s1
	s_cbranch_vccnz .LBB35_682
; %bb.681:
	s_wait_loadcnt 0x0
	global_load_u16 v1, v[4:5], off
	s_wait_loadcnt 0x0
	v_cvt_f32_f16_e32 v3, v1
	v_cmp_o_f16_e32 vcc_lo, v1, v1
	s_delay_alu instid0(VALU_DEP_2) | instskip(NEXT) | instid1(VALU_DEP_1)
	v_bfe_u32 v6, v3, 16, 1
	v_add3_u32 v3, v3, v6, 0x7fff
	s_delay_alu instid0(VALU_DEP_1) | instskip(NEXT) | instid1(VALU_DEP_1)
	v_lshrrev_b32_e32 v3, 16, v3
	v_cndmask_b32_e32 v1, 0x7fc0, v3, vcc_lo
.LBB35_682:
	s_mov_b32 s1, 0
.LBB35_683:
	s_delay_alu instid0(SALU_CYCLE_1)
	s_and_not1_b32 vcc_lo, exec_lo, s1
	s_cbranch_vccnz .LBB35_703
; %bb.684:
	s_cmp_lt_i32 s0, 2
	s_cbranch_scc1 .LBB35_688
; %bb.685:
	s_cmp_lt_i32 s0, 3
	s_cbranch_scc1 .LBB35_689
; %bb.686:
	s_cmp_gt_i32 s0, 3
	s_cbranch_scc0 .LBB35_690
; %bb.687:
	global_load_b64 v[6:7], v[4:5], off
	s_mov_b32 s1, 0
	s_wait_loadcnt 0x0
	v_xor_b32_e32 v1, v6, v7
	v_cls_i32_e32 v3, v7
	s_delay_alu instid0(VALU_DEP_2) | instskip(NEXT) | instid1(VALU_DEP_1)
	v_ashrrev_i32_e32 v1, 31, v1
	v_add_nc_u32_e32 v1, 32, v1
	s_delay_alu instid0(VALU_DEP_1) | instskip(NEXT) | instid1(VALU_DEP_1)
	v_add_min_u32_e64 v1, v3, -1, v1
	v_lshlrev_b64_e32 v[6:7], v1, v[6:7]
	v_sub_nc_u32_e32 v1, 32, v1
	s_delay_alu instid0(VALU_DEP_2) | instskip(NEXT) | instid1(VALU_DEP_1)
	v_min_u32_e32 v3, 1, v6
	v_or_b32_e32 v3, v7, v3
	s_delay_alu instid0(VALU_DEP_1) | instskip(NEXT) | instid1(VALU_DEP_1)
	v_cvt_f32_i32_e32 v3, v3
	v_ldexp_f32 v1, v3, v1
	s_delay_alu instid0(VALU_DEP_1) | instskip(NEXT) | instid1(VALU_DEP_1)
	v_bfe_u32 v3, v1, 16, 1
	v_add3_u32 v1, v1, v3, 0x7fff
	s_delay_alu instid0(VALU_DEP_1)
	v_lshrrev_b32_e32 v1, 16, v1
	s_branch .LBB35_691
.LBB35_688:
	s_mov_b32 s1, -1
                                        ; implicit-def: $vgpr1
	s_branch .LBB35_697
.LBB35_689:
	s_mov_b32 s1, -1
                                        ; implicit-def: $vgpr1
	s_branch .LBB35_694
.LBB35_690:
	s_mov_b32 s1, -1
                                        ; implicit-def: $vgpr1
.LBB35_691:
	s_delay_alu instid0(SALU_CYCLE_1)
	s_and_not1_b32 vcc_lo, exec_lo, s1
	s_cbranch_vccnz .LBB35_693
; %bb.692:
	s_wait_loadcnt 0x0
	global_load_b32 v1, v[4:5], off
	s_wait_loadcnt 0x0
	v_cvt_f32_i32_e32 v1, v1
	s_delay_alu instid0(VALU_DEP_1) | instskip(NEXT) | instid1(VALU_DEP_1)
	v_bfe_u32 v3, v1, 16, 1
	v_add3_u32 v1, v1, v3, 0x7fff
	s_delay_alu instid0(VALU_DEP_1)
	v_lshrrev_b32_e32 v1, 16, v1
.LBB35_693:
	s_mov_b32 s1, 0
.LBB35_694:
	s_delay_alu instid0(SALU_CYCLE_1)
	s_and_not1_b32 vcc_lo, exec_lo, s1
	s_cbranch_vccnz .LBB35_696
; %bb.695:
	s_wait_loadcnt 0x0
	global_load_i16 v1, v[4:5], off
	s_wait_loadcnt 0x0
	v_cvt_f32_i32_e32 v1, v1
	s_delay_alu instid0(VALU_DEP_1) | instskip(NEXT) | instid1(VALU_DEP_1)
	v_bfe_u32 v3, v1, 16, 1
	v_add3_u32 v1, v1, v3, 0x7fff
	s_delay_alu instid0(VALU_DEP_1)
	v_lshrrev_b32_e32 v1, 16, v1
.LBB35_696:
	s_mov_b32 s1, 0
.LBB35_697:
	s_delay_alu instid0(SALU_CYCLE_1)
	s_and_not1_b32 vcc_lo, exec_lo, s1
	s_cbranch_vccnz .LBB35_703
; %bb.698:
	s_cmp_gt_i32 s0, 0
	s_mov_b32 s0, 0
	s_cbranch_scc0 .LBB35_700
; %bb.699:
	s_wait_loadcnt 0x0
	global_load_i8 v1, v[4:5], off
	s_wait_loadcnt 0x0
	v_cvt_f32_i32_e32 v1, v1
	s_delay_alu instid0(VALU_DEP_1) | instskip(NEXT) | instid1(VALU_DEP_1)
	v_bfe_u32 v3, v1, 16, 1
	v_add3_u32 v1, v1, v3, 0x7fff
	s_delay_alu instid0(VALU_DEP_1)
	v_lshrrev_b32_e32 v1, 16, v1
	s_branch .LBB35_701
.LBB35_700:
	s_mov_b32 s0, -1
                                        ; implicit-def: $vgpr1
.LBB35_701:
	s_delay_alu instid0(SALU_CYCLE_1)
	s_and_not1_b32 vcc_lo, exec_lo, s0
	s_cbranch_vccnz .LBB35_703
; %bb.702:
	s_wait_loadcnt 0x0
	global_load_u8 v1, v[4:5], off
	s_wait_loadcnt 0x0
	v_cvt_f32_ubyte0_e32 v1, v1
	s_delay_alu instid0(VALU_DEP_1) | instskip(NEXT) | instid1(VALU_DEP_1)
	v_bfe_u32 v3, v1, 16, 1
	v_add3_u32 v1, v1, v3, 0x7fff
	s_delay_alu instid0(VALU_DEP_1)
	v_lshrrev_b32_e32 v1, 16, v1
.LBB35_703:
	s_mov_b32 s1, -1
.LBB35_704:
	s_delay_alu instid0(SALU_CYCLE_1)
	s_and_not1_b32 vcc_lo, exec_lo, s1
	s_cbranch_vccnz .LBB35_716
; %bb.705:
	s_wait_loadcnt 0x0
	v_lshlrev_b32_e32 v1, 16, v1
                                        ; implicit-def: $vgpr5
                                        ; implicit-def: $vgpr4
	s_mov_b32 s1, exec_lo
	s_delay_alu instid0(VALU_DEP_1)
	v_and_b32_e32 v3, 0x7fffffff, v1
	s_wait_xcnt 0x0
	v_cmpx_ngt_f32_e64 0x48000000, |v1|
	s_xor_b32 s25, exec_lo, s1
	s_cbranch_execz .LBB35_707
; %bb.706:
	s_mov_b32 s0, 0x7fffff
	v_mov_b32_e32 v5, 0
	v_and_or_b32 v4, v3, s0, 0x800000
	s_mov_b64 s[0:1], 0xfe5163ab
	s_delay_alu instid0(VALU_DEP_1) | instid1(SALU_CYCLE_1)
	v_mul_u64_e32 v[6:7], s[0:1], v[4:5]
	s_delay_alu instid0(VALU_DEP_1) | instskip(SKIP_2) | instid1(VALU_DEP_3)
	v_dual_mov_b32 v8, v7 :: v_dual_mov_b32 v9, v5
	v_dual_mov_b32 v11, v5 :: v_dual_mov_b32 v13, v5
	v_dual_mov_b32 v15, v5 :: v_dual_lshrrev_b32 v7, 23, v3
	v_mad_nc_u64_u32 v[8:9], 0x3c439041, v4, v[8:9]
	s_delay_alu instid0(VALU_DEP_1) | instskip(NEXT) | instid1(VALU_DEP_1)
	v_mov_b32_e32 v10, v9
	v_mad_nc_u64_u32 v[10:11], 0xdb629599, v4, v[10:11]
	s_delay_alu instid0(VALU_DEP_1) | instskip(NEXT) | instid1(VALU_DEP_1)
	v_mov_b32_e32 v12, v11
	;; [unrolled: 3-line block ×3, first 2 shown]
	v_mad_nc_u64_u32 v[14:15], 0xfc2757d1, v4, v[14:15]
	s_delay_alu instid0(VALU_DEP_1) | instskip(NEXT) | instid1(VALU_DEP_1)
	v_dual_mov_b32 v17, v5 :: v_dual_mov_b32 v16, v15
	v_mad_nc_u64_u32 v[16:17], 0x4e441529, v4, v[16:17]
	s_delay_alu instid0(VALU_DEP_1) | instskip(NEXT) | instid1(VALU_DEP_1)
	v_dual_mov_b32 v18, v17 :: v_dual_add_nc_u32 v7, 0xffffff88, v7
	v_cmp_lt_u32_e32 vcc_lo, 63, v7
	v_mov_b32_e32 v19, v5
	v_cndmask_b32_e64 v9, 0, 0xffffffc0, vcc_lo
	s_delay_alu instid0(VALU_DEP_2) | instskip(SKIP_1) | instid1(VALU_DEP_3)
	v_mad_nc_u64_u32 v[4:5], 0xa2f9836e, v4, v[18:19]
	v_dual_cndmask_b32 v11, v16, v12, vcc_lo :: v_dual_cndmask_b32 v13, v14, v10, vcc_lo
	v_dual_cndmask_b32 v8, v12, v8 :: v_dual_add_nc_u32 v7, v9, v7
	v_cndmask_b32_e32 v6, v10, v6, vcc_lo
	s_delay_alu instid0(VALU_DEP_2) | instskip(SKIP_1) | instid1(VALU_DEP_2)
	v_cmp_lt_u32_e64 s0, 31, v7
	v_dual_cndmask_b32 v4, v4, v14 :: v_dual_cndmask_b32 v5, v5, v16
	v_cndmask_b32_e64 v9, 0, 0xffffffe0, s0
	s_delay_alu instid0(VALU_DEP_4) | instskip(NEXT) | instid1(VALU_DEP_2)
	v_dual_cndmask_b32 v12, v13, v8, s0 :: v_dual_cndmask_b32 v6, v8, v6, s0
	v_add_nc_u32_e32 v7, v9, v7
	s_delay_alu instid0(VALU_DEP_1) | instskip(NEXT) | instid1(VALU_DEP_1)
	v_cmp_lt_u32_e64 s1, 31, v7
	v_cndmask_b32_e64 v9, 0, 0xffffffe0, s1
	s_delay_alu instid0(VALU_DEP_1) | instskip(SKIP_1) | instid1(VALU_DEP_2)
	v_dual_cndmask_b32 v6, v12, v6, s1 :: v_dual_add_nc_u32 v7, v9, v7
	v_dual_cndmask_b32 v9, v4, v11, s0 :: v_dual_cndmask_b32 v4, v5, v4, s0
	v_dual_cndmask_b32 v5, v11, v13, s0 :: v_dual_sub_nc_u32 v11, 32, v7
	v_cmp_eq_u32_e32 vcc_lo, 0, v7
	s_delay_alu instid0(VALU_DEP_3) | instskip(NEXT) | instid1(VALU_DEP_3)
	v_cndmask_b32_e64 v4, v4, v9, s1
	v_cndmask_b32_e64 v9, v9, v5, s1
	;; [unrolled: 1-line block ×3, first 2 shown]
	s_delay_alu instid0(VALU_DEP_2) | instskip(NEXT) | instid1(VALU_DEP_2)
	v_alignbit_b32 v13, v4, v9, v11
	v_alignbit_b32 v10, v9, v5, v11
	v_alignbit_b32 v11, v5, v6, v11
	s_delay_alu instid0(VALU_DEP_2) | instskip(NEXT) | instid1(VALU_DEP_2)
	v_dual_cndmask_b32 v4, v13, v4 :: v_dual_cndmask_b32 v7, v10, v9
	v_cndmask_b32_e32 v5, v11, v5, vcc_lo
	s_delay_alu instid0(VALU_DEP_2) | instskip(NEXT) | instid1(VALU_DEP_3)
	v_bfe_u32 v8, v4, 29, 1
	v_alignbit_b32 v9, v4, v7, 30
	s_delay_alu instid0(VALU_DEP_3) | instskip(SKIP_1) | instid1(VALU_DEP_4)
	v_alignbit_b32 v7, v7, v5, 30
	v_alignbit_b32 v5, v5, v6, 30
	v_sub_nc_u32_e32 v10, 0, v8
	s_delay_alu instid0(VALU_DEP_1) | instskip(NEXT) | instid1(VALU_DEP_4)
	v_xor_b32_e32 v9, v9, v10
	v_xor_b32_e32 v6, v7, v10
	s_delay_alu instid0(VALU_DEP_4) | instskip(NEXT) | instid1(VALU_DEP_3)
	v_dual_lshrrev_b32 v10, 29, v4 :: v_dual_bitop2_b32 v5, v5, v10 bitop3:0x14
	v_clz_i32_u32_e32 v11, v9
	s_delay_alu instid0(VALU_DEP_1) | instskip(NEXT) | instid1(VALU_DEP_1)
	v_min_u32_e32 v11, 32, v11
	v_dual_sub_nc_u32 v7, 31, v11 :: v_dual_lshlrev_b32 v12, 23, v11
	s_delay_alu instid0(VALU_DEP_1) | instskip(SKIP_2) | instid1(VALU_DEP_2)
	v_alignbit_b32 v9, v9, v6, v7
	v_alignbit_b32 v5, v6, v5, v7
	v_lshlrev_b32_e32 v6, 31, v10
	v_alignbit_b32 v7, v9, v5, 9
	s_delay_alu instid0(VALU_DEP_2) | instskip(SKIP_1) | instid1(VALU_DEP_3)
	v_dual_lshrrev_b32 v9, 9, v9 :: v_dual_bitop2_b32 v10, 0.5, v6 bitop3:0x54
	v_or_b32_e32 v6, 0x33000000, v6
	v_clz_i32_u32_e32 v13, v7
	s_delay_alu instid0(VALU_DEP_3) | instskip(NEXT) | instid1(VALU_DEP_2)
	v_sub_nc_u32_e32 v10, v10, v12
	v_min_u32_e32 v12, 32, v13
	s_delay_alu instid0(VALU_DEP_1) | instskip(NEXT) | instid1(VALU_DEP_3)
	v_add_lshl_u32 v11, v12, v11, 23
	v_or_b32_e32 v9, v9, v10
	v_not_b32_e32 v10, v12
	s_delay_alu instid0(VALU_DEP_2) | instskip(NEXT) | instid1(VALU_DEP_2)
	v_dual_mul_f32 v13, 0x3fc90fda, v9 :: v_dual_sub_nc_u32 v6, v6, v11
	v_alignbit_b32 v5, v7, v5, v10
	s_delay_alu instid0(VALU_DEP_2) | instskip(NEXT) | instid1(VALU_DEP_2)
	v_fma_f32 v7, 0x3fc90fda, v9, -v13
	v_lshrrev_b32_e32 v5, 9, v5
	s_delay_alu instid0(VALU_DEP_2) | instskip(NEXT) | instid1(VALU_DEP_2)
	v_fmamk_f32 v7, v9, 0x33a22168, v7
	v_or_b32_e32 v5, v6, v5
	s_delay_alu instid0(VALU_DEP_1) | instskip(NEXT) | instid1(VALU_DEP_1)
	v_fmac_f32_e32 v7, 0x3fc90fda, v5
	v_dual_add_f32 v4, v13, v7 :: v_dual_lshrrev_b32 v5, 30, v4
	s_delay_alu instid0(VALU_DEP_1)
	v_add_nc_u32_e32 v5, v8, v5
.LBB35_707:
	s_and_not1_saveexec_b32 s0, s25
; %bb.708:
	v_mul_f32_e64 v4, 0x3f22f983, |v1|
	s_delay_alu instid0(VALU_DEP_1) | instskip(NEXT) | instid1(VALU_DEP_1)
	v_rndne_f32_e32 v5, v4
	v_fma_f32 v4, 0xbfc90fda, v5, |v1|
	s_delay_alu instid0(VALU_DEP_1) | instskip(NEXT) | instid1(VALU_DEP_1)
	v_fmamk_f32 v4, v5, 0xb3a22168, v4
	v_fmamk_f32 v4, v5, 0xa7c234c4, v4
	v_cvt_i32_f32_e32 v5, v5
; %bb.709:
	s_or_b32 exec_lo, exec_lo, s0
	s_delay_alu instid0(VALU_DEP_1) | instskip(SKIP_3) | instid1(VALU_DEP_1)
	v_dual_mul_f32 v6, v4, v4 :: v_dual_bitop2_b32 v9, 1, v5 bitop3:0x40
	s_mov_b32 s0, 0xb94c1982
	s_mov_b32 s1, 0x37d75334
	s_mov_b32 s26, 0
	v_fmaak_f32 v7, s0, v6, 0x3c0881c4
	v_cmp_eq_u32_e32 vcc_lo, 0, v9
	s_mov_b32 s25, -1
	s_mov_b32 s0, s42
	v_lshlrev_b32_e32 v5, 30, v5
	v_fmaak_f32 v7, v6, v7, 0xbe2aaa9d
	v_fmaak_f32 v8, s1, v6, 0xbab64f3b
	s_and_b32 s1, s34, 0xff
	s_delay_alu instid0(SALU_CYCLE_1) | instskip(NEXT) | instid1(VALU_DEP_1)
	s_cmp_lt_i32 s1, 11
	v_dual_mul_f32 v7, v6, v7 :: v_dual_fmaak_f32 v8, v6, v8, 0x3d2aabf7
	v_bitop3_b32 v3, v3, v5, 0x80000000 bitop3:0x78
	s_delay_alu instid0(VALU_DEP_2) | instskip(NEXT) | instid1(VALU_DEP_3)
	v_fmac_f32_e32 v4, v4, v7
	v_fmaak_f32 v8, v6, v8, 0xbf000004
	s_delay_alu instid0(VALU_DEP_1) | instskip(NEXT) | instid1(VALU_DEP_1)
	v_fma_f32 v6, v6, v8, 1.0
	v_cndmask_b32_e32 v4, v6, v4, vcc_lo
	v_cmp_class_f32_e64 vcc_lo, v1, 0x1f8
	s_delay_alu instid0(VALU_DEP_2) | instskip(NEXT) | instid1(VALU_DEP_1)
	v_xor3_b32 v3, v3, v4, v1
	v_cndmask_b32_e32 v1, 0x7fc00000, v3, vcc_lo
	s_delay_alu instid0(VALU_DEP_1) | instskip(SKIP_1) | instid1(VALU_DEP_2)
	v_bfe_u32 v3, v1, 16, 1
	v_cmp_o_f32_e32 vcc_lo, v1, v1
	v_add3_u32 v4, v1, v3, 0x7fff
	s_delay_alu instid0(VALU_DEP_1) | instskip(NEXT) | instid1(VALU_DEP_1)
	v_dual_mov_b32 v3, 0 :: v_dual_lshrrev_b32 v4, 16, v4
	v_add_nc_u64_e32 v[2:3], s[4:5], v[2:3]
	s_delay_alu instid0(VALU_DEP_2)
	v_cndmask_b32_e32 v1, 0x7fc0, v4, vcc_lo
	s_cbranch_scc1 .LBB35_717
; %bb.710:
	s_and_b32 s25, 0xffff, s1
	s_delay_alu instid0(SALU_CYCLE_1)
	s_cmp_gt_i32 s25, 25
	s_cbranch_scc0 .LBB35_758
; %bb.711:
	s_cmp_gt_i32 s25, 28
	s_cbranch_scc0 .LBB35_759
; %bb.712:
	;; [unrolled: 3-line block ×4, first 2 shown]
	s_mov_b32 s27, 0
	s_mov_b32 s0, -1
	s_cmp_eq_u32 s25, 46
	s_cbranch_scc0 .LBB35_762
; %bb.715:
	v_and_b32_e32 v4, 0xffff, v1
	s_mov_b32 s26, -1
	s_mov_b32 s0, 0
	global_store_b32 v[2:3], v4, off
	s_branch .LBB35_762
.LBB35_716:
	s_mov_b32 s1, 0
	s_mov_b32 s0, s42
	s_branch .LBB35_757
.LBB35_717:
	s_and_b32 vcc_lo, exec_lo, s25
	s_cbranch_vccz .LBB35_831
; %bb.718:
	s_and_b32 s1, 0xffff, s1
	s_mov_b32 s25, -1
	s_cmp_lt_i32 s1, 5
	s_cbranch_scc1 .LBB35_739
; %bb.719:
	s_cmp_lt_i32 s1, 8
	s_cbranch_scc1 .LBB35_729
; %bb.720:
	;; [unrolled: 3-line block ×3, first 2 shown]
	s_cmp_gt_i32 s1, 9
	s_cbranch_scc0 .LBB35_723
; %bb.722:
	s_wait_xcnt 0x0
	v_dual_lshlrev_b32 v4, 16, v1 :: v_dual_mov_b32 v6, 0
	s_mov_b32 s25, 0
	s_delay_alu instid0(VALU_DEP_1) | instskip(NEXT) | instid1(VALU_DEP_2)
	v_cvt_f64_f32_e32 v[4:5], v4
	v_mov_b32_e32 v7, v6
	global_store_b128 v[2:3], v[4:7], off
.LBB35_723:
	s_and_not1_b32 vcc_lo, exec_lo, s25
	s_cbranch_vccnz .LBB35_725
; %bb.724:
	s_wait_xcnt 0x0
	v_dual_mov_b32 v5, 0 :: v_dual_lshlrev_b32 v4, 16, v1
	global_store_b64 v[2:3], v[4:5], off
.LBB35_725:
	s_mov_b32 s25, 0
.LBB35_726:
	s_delay_alu instid0(SALU_CYCLE_1)
	s_and_not1_b32 vcc_lo, exec_lo, s25
	s_cbranch_vccnz .LBB35_728
; %bb.727:
	s_wait_xcnt 0x0
	v_lshlrev_b32_e32 v4, 16, v1
	s_delay_alu instid0(VALU_DEP_1) | instskip(NEXT) | instid1(VALU_DEP_1)
	v_cvt_f16_f32_e32 v4, v4
	v_and_b32_e32 v4, 0xffff, v4
	global_store_b32 v[2:3], v4, off
.LBB35_728:
	s_mov_b32 s25, 0
.LBB35_729:
	s_delay_alu instid0(SALU_CYCLE_1)
	s_and_not1_b32 vcc_lo, exec_lo, s25
	s_cbranch_vccnz .LBB35_738
; %bb.730:
	s_cmp_lt_i32 s1, 6
	s_mov_b32 s25, -1
	s_cbranch_scc1 .LBB35_736
; %bb.731:
	s_cmp_gt_i32 s1, 6
	s_cbranch_scc0 .LBB35_733
; %bb.732:
	s_wait_xcnt 0x0
	v_lshlrev_b32_e32 v4, 16, v1
	s_mov_b32 s25, 0
	s_delay_alu instid0(VALU_DEP_1)
	v_cvt_f64_f32_e32 v[4:5], v4
	global_store_b64 v[2:3], v[4:5], off
.LBB35_733:
	s_and_not1_b32 vcc_lo, exec_lo, s25
	s_cbranch_vccnz .LBB35_735
; %bb.734:
	s_wait_xcnt 0x0
	v_lshlrev_b32_e32 v4, 16, v1
	global_store_b32 v[2:3], v4, off
.LBB35_735:
	s_mov_b32 s25, 0
.LBB35_736:
	s_delay_alu instid0(SALU_CYCLE_1)
	s_and_not1_b32 vcc_lo, exec_lo, s25
	s_cbranch_vccnz .LBB35_738
; %bb.737:
	s_wait_xcnt 0x0
	v_lshlrev_b32_e32 v4, 16, v1
	s_delay_alu instid0(VALU_DEP_1)
	v_cvt_f16_f32_e32 v4, v4
	global_store_b16 v[2:3], v4, off
.LBB35_738:
	s_mov_b32 s25, 0
.LBB35_739:
	s_delay_alu instid0(SALU_CYCLE_1)
	s_and_not1_b32 vcc_lo, exec_lo, s25
	s_cbranch_vccnz .LBB35_755
; %bb.740:
	s_cmp_lt_i32 s1, 2
	s_mov_b32 s25, -1
	s_cbranch_scc1 .LBB35_750
; %bb.741:
	s_cmp_lt_i32 s1, 3
	s_cbranch_scc1 .LBB35_747
; %bb.742:
	s_cmp_gt_i32 s1, 3
	s_cbranch_scc0 .LBB35_744
; %bb.743:
	s_wait_xcnt 0x0
	v_lshlrev_b32_e32 v4, 16, v1
	s_mov_b32 s25, 0
	s_delay_alu instid0(VALU_DEP_1) | instskip(NEXT) | instid1(VALU_DEP_1)
	v_trunc_f32_e32 v4, v4
	v_mul_f32_e64 v5, 0x2f800000, |v4|
	s_delay_alu instid0(VALU_DEP_1) | instskip(NEXT) | instid1(VALU_DEP_1)
	v_floor_f32_e32 v5, v5
	v_fma_f32 v6, 0xcf800000, v5, |v4|
	v_ashrrev_i32_e32 v4, 31, v4
	v_cvt_u32_f32_e32 v7, v5
	s_delay_alu instid0(VALU_DEP_3) | instskip(NEXT) | instid1(VALU_DEP_2)
	v_cvt_u32_f32_e32 v6, v6
	v_dual_mov_b32 v5, v4 :: v_dual_bitop2_b32 v7, v7, v4 bitop3:0x14
	s_delay_alu instid0(VALU_DEP_2) | instskip(NEXT) | instid1(VALU_DEP_1)
	v_xor_b32_e32 v6, v6, v4
	v_sub_nc_u64_e32 v[4:5], v[6:7], v[4:5]
	global_store_b64 v[2:3], v[4:5], off
.LBB35_744:
	s_and_not1_b32 vcc_lo, exec_lo, s25
	s_cbranch_vccnz .LBB35_746
; %bb.745:
	s_wait_xcnt 0x0
	v_lshlrev_b32_e32 v4, 16, v1
	s_delay_alu instid0(VALU_DEP_1)
	v_cvt_i32_f32_e32 v4, v4
	global_store_b32 v[2:3], v4, off
.LBB35_746:
	s_mov_b32 s25, 0
.LBB35_747:
	s_delay_alu instid0(SALU_CYCLE_1)
	s_and_not1_b32 vcc_lo, exec_lo, s25
	s_cbranch_vccnz .LBB35_749
; %bb.748:
	s_wait_xcnt 0x0
	v_lshlrev_b32_e32 v4, 16, v1
	s_delay_alu instid0(VALU_DEP_1)
	v_cvt_i32_f32_e32 v4, v4
	global_store_b16 v[2:3], v4, off
.LBB35_749:
	s_mov_b32 s25, 0
.LBB35_750:
	s_delay_alu instid0(SALU_CYCLE_1)
	s_and_not1_b32 vcc_lo, exec_lo, s25
	s_cbranch_vccnz .LBB35_755
; %bb.751:
	s_wait_xcnt 0x0
	v_lshlrev_b32_e32 v1, 16, v1
	s_cmp_gt_i32 s1, 0
	s_mov_b32 s1, -1
	s_cbranch_scc0 .LBB35_753
; %bb.752:
	s_delay_alu instid0(VALU_DEP_1)
	v_cvt_i32_f32_e32 v4, v1
	s_mov_b32 s1, 0
	global_store_b8 v[2:3], v4, off
.LBB35_753:
	s_and_not1_b32 vcc_lo, exec_lo, s1
	s_cbranch_vccnz .LBB35_755
; %bb.754:
	v_trunc_f32_e32 v1, v1
	s_wait_xcnt 0x0
	s_delay_alu instid0(VALU_DEP_1) | instskip(NEXT) | instid1(VALU_DEP_1)
	v_mul_f32_e64 v4, 0x2f800000, |v1|
	v_floor_f32_e32 v4, v4
	s_delay_alu instid0(VALU_DEP_1) | instskip(SKIP_1) | instid1(VALU_DEP_2)
	v_fma_f32 v4, 0xcf800000, v4, |v1|
	v_ashrrev_i32_e32 v1, 31, v1
	v_cvt_u32_f32_e32 v4, v4
	s_delay_alu instid0(VALU_DEP_1) | instskip(NEXT) | instid1(VALU_DEP_1)
	v_xor_b32_e32 v4, v4, v1
	v_sub_nc_u32_e32 v1, v4, v1
	global_store_b8 v[2:3], v1, off
.LBB35_755:
	s_branch .LBB35_832
.LBB35_756:
	s_mov_b32 s1, 0
.LBB35_757:
                                        ; implicit-def: $vgpr0
	s_branch .LBB35_833
.LBB35_758:
	s_mov_b32 s27, -1
	s_mov_b32 s0, s42
	s_branch .LBB35_789
.LBB35_759:
	s_mov_b32 s27, -1
	s_mov_b32 s0, s42
	s_branch .LBB35_772
.LBB35_760:
	s_mov_b32 s27, -1
	s_mov_b32 s0, s42
	s_branch .LBB35_768
.LBB35_761:
	s_mov_b32 s27, -1
	s_mov_b32 s0, s42
.LBB35_762:
	s_and_b32 vcc_lo, exec_lo, s27
	s_cbranch_vccz .LBB35_767
; %bb.763:
	s_cmp_eq_u32 s25, 44
	s_mov_b32 s0, -1
	s_cbranch_scc0 .LBB35_767
; %bb.764:
	s_wait_xcnt 0x0
	v_and_b32_e32 v4, 0xffff, v1
	v_mov_b32_e32 v5, 0xff
	s_mov_b32 s26, exec_lo
	s_delay_alu instid0(VALU_DEP_2) | instskip(NEXT) | instid1(VALU_DEP_1)
	v_bfe_u32 v6, v4, 7, 8
	v_cmpx_ne_u32_e32 0xff, v6
	s_cbranch_execz .LBB35_766
; %bb.765:
	v_dual_lshlrev_b32 v5, 16, v4 :: v_dual_bitop2_b32 v7, 64, v4 bitop3:0x40
	v_lshrrev_b32_e32 v4, 7, v4
	s_delay_alu instid0(VALU_DEP_2) | instskip(NEXT) | instid1(VALU_DEP_3)
	v_and_or_b32 v5, 0x3f0000, v5, v6
	v_cmp_ne_u32_e32 vcc_lo, 0, v7
	s_delay_alu instid0(VALU_DEP_2) | instskip(SKIP_1) | instid1(SALU_CYCLE_1)
	v_cmp_ne_u32_e64 s0, 0, v5
	s_and_b32 s0, vcc_lo, s0
	v_cndmask_b32_e64 v5, 0, 1, s0
	s_delay_alu instid0(VALU_DEP_1)
	v_add_nc_u32_e32 v5, v4, v5
.LBB35_766:
	s_or_b32 exec_lo, exec_lo, s26
	s_mov_b32 s26, -1
	s_mov_b32 s0, 0
	global_store_b8 v[2:3], v5, off
.LBB35_767:
	s_mov_b32 s27, 0
.LBB35_768:
	s_delay_alu instid0(SALU_CYCLE_1)
	s_and_b32 vcc_lo, exec_lo, s27
	s_cbranch_vccz .LBB35_771
; %bb.769:
	s_cmp_eq_u32 s25, 29
	s_mov_b32 s0, -1
	s_cbranch_scc0 .LBB35_771
; %bb.770:
	s_wait_xcnt 0x0
	v_lshlrev_b32_e32 v4, 16, v1
	s_mov_b32 s26, -1
	s_mov_b32 s0, 0
	s_mov_b32 s27, 0
	s_delay_alu instid0(VALU_DEP_1) | instskip(NEXT) | instid1(VALU_DEP_1)
	v_trunc_f32_e32 v4, v4
	v_mul_f32_e32 v5, 0x2f800000, v4
	s_delay_alu instid0(VALU_DEP_1) | instskip(NEXT) | instid1(VALU_DEP_1)
	v_floor_f32_e32 v5, v5
	v_fmamk_f32 v4, v5, 0xcf800000, v4
	v_cvt_u32_f32_e32 v5, v5
	s_delay_alu instid0(VALU_DEP_2)
	v_cvt_u32_f32_e32 v4, v4
	global_store_b64 v[2:3], v[4:5], off
	s_branch .LBB35_772
.LBB35_771:
	s_mov_b32 s27, 0
.LBB35_772:
	s_delay_alu instid0(SALU_CYCLE_1)
	s_and_b32 vcc_lo, exec_lo, s27
	s_cbranch_vccz .LBB35_788
; %bb.773:
	s_cmp_lt_i32 s25, 27
	s_mov_b32 s26, -1
	s_cbranch_scc1 .LBB35_779
; %bb.774:
	s_cmp_gt_i32 s25, 27
	s_cbranch_scc0 .LBB35_776
; %bb.775:
	s_wait_xcnt 0x0
	v_lshlrev_b32_e32 v4, 16, v1
	s_mov_b32 s26, 0
	s_delay_alu instid0(VALU_DEP_1)
	v_cvt_u32_f32_e32 v4, v4
	global_store_b32 v[2:3], v4, off
.LBB35_776:
	s_and_not1_b32 vcc_lo, exec_lo, s26
	s_cbranch_vccnz .LBB35_778
; %bb.777:
	s_wait_xcnt 0x0
	v_lshlrev_b32_e32 v4, 16, v1
	s_delay_alu instid0(VALU_DEP_1)
	v_cvt_u32_f32_e32 v4, v4
	global_store_b16 v[2:3], v4, off
.LBB35_778:
	s_mov_b32 s26, 0
.LBB35_779:
	s_delay_alu instid0(SALU_CYCLE_1)
	s_and_not1_b32 vcc_lo, exec_lo, s26
	s_cbranch_vccnz .LBB35_787
; %bb.780:
	v_dual_mov_b32 v7, 0x80 :: v_dual_lshlrev_b32 v6, 16, v1
	s_mov_b32 s26, exec_lo
	s_wait_xcnt 0x0
	s_delay_alu instid0(VALU_DEP_1) | instskip(NEXT) | instid1(VALU_DEP_1)
	v_and_b32_e32 v5, 0x7fffffff, v6
	v_cmpx_gt_u32_e32 0x43800000, v5
	s_cbranch_execz .LBB35_786
; %bb.781:
	v_and_b32_e32 v4, 0xffff, v1
	v_cmp_lt_u32_e32 vcc_lo, 0x3bffffff, v5
	s_mov_b32 s27, 0
                                        ; implicit-def: $vgpr5
	s_and_saveexec_b32 s45, vcc_lo
	s_delay_alu instid0(SALU_CYCLE_1)
	s_xor_b32 s45, exec_lo, s45
	s_cbranch_execz .LBB35_864
; %bb.782:
	v_bfe_u32 v5, v4, 4, 1
	s_mov_b32 s27, exec_lo
	s_delay_alu instid0(VALU_DEP_1) | instskip(NEXT) | instid1(VALU_DEP_1)
	v_add3_u32 v5, v6, v5, 0x487ffff
                                        ; implicit-def: $vgpr6
	v_lshrrev_b32_e32 v5, 20, v5
	s_and_not1_saveexec_b32 s45, s45
	s_cbranch_execnz .LBB35_865
.LBB35_783:
	s_or_b32 exec_lo, exec_lo, s45
	v_mov_b32_e32 v7, 0
	s_and_saveexec_b32 s45, s27
.LBB35_784:
	v_lshrrev_b32_e32 v4, 8, v4
	s_delay_alu instid0(VALU_DEP_1)
	v_and_or_b32 v7, 0x80, v4, v5
.LBB35_785:
	s_or_b32 exec_lo, exec_lo, s45
.LBB35_786:
	s_delay_alu instid0(SALU_CYCLE_1)
	s_or_b32 exec_lo, exec_lo, s26
	global_store_b8 v[2:3], v7, off
.LBB35_787:
	s_mov_b32 s26, -1
.LBB35_788:
	s_mov_b32 s27, 0
.LBB35_789:
	s_delay_alu instid0(SALU_CYCLE_1)
	s_and_b32 vcc_lo, exec_lo, s27
	s_cbranch_vccz .LBB35_830
; %bb.790:
	s_cmp_gt_i32 s25, 22
	s_mov_b32 s27, -1
	s_cbranch_scc0 .LBB35_822
; %bb.791:
	s_cmp_lt_i32 s25, 24
	s_mov_b32 s26, -1
	s_cbranch_scc1 .LBB35_811
; %bb.792:
	s_cmp_gt_i32 s25, 24
	s_cbranch_scc0 .LBB35_800
; %bb.793:
	s_wait_xcnt 0x0
	v_dual_mov_b32 v7, 0x80 :: v_dual_lshlrev_b32 v6, 16, v1
	s_mov_b32 s26, exec_lo
	s_delay_alu instid0(VALU_DEP_1) | instskip(NEXT) | instid1(VALU_DEP_1)
	v_and_b32_e32 v5, 0x7fffffff, v6
	v_cmpx_gt_u32_e32 0x47800000, v5
	s_cbranch_execz .LBB35_799
; %bb.794:
	v_and_b32_e32 v4, 0xffff, v1
	v_cmp_lt_u32_e32 vcc_lo, 0x37ffffff, v5
	s_mov_b32 s27, 0
                                        ; implicit-def: $vgpr5
	s_and_saveexec_b32 s45, vcc_lo
	s_delay_alu instid0(SALU_CYCLE_1)
	s_xor_b32 s45, exec_lo, s45
	s_cbranch_execz .LBB35_867
; %bb.795:
	v_bfe_u32 v5, v4, 5, 1
	s_mov_b32 s27, exec_lo
	s_delay_alu instid0(VALU_DEP_1) | instskip(NEXT) | instid1(VALU_DEP_1)
	v_add3_u32 v5, v6, v5, 0x88fffff
                                        ; implicit-def: $vgpr6
	v_lshrrev_b32_e32 v5, 21, v5
	s_and_not1_saveexec_b32 s45, s45
	s_cbranch_execnz .LBB35_868
.LBB35_796:
	s_or_b32 exec_lo, exec_lo, s45
	v_mov_b32_e32 v7, 0
	s_and_saveexec_b32 s45, s27
.LBB35_797:
	v_lshrrev_b32_e32 v4, 8, v4
	s_delay_alu instid0(VALU_DEP_1)
	v_and_or_b32 v7, 0x80, v4, v5
.LBB35_798:
	s_or_b32 exec_lo, exec_lo, s45
.LBB35_799:
	s_delay_alu instid0(SALU_CYCLE_1)
	s_or_b32 exec_lo, exec_lo, s26
	s_mov_b32 s26, 0
	global_store_b8 v[2:3], v7, off
.LBB35_800:
	s_and_b32 vcc_lo, exec_lo, s26
	s_cbranch_vccz .LBB35_810
; %bb.801:
	v_lshlrev_b32_e32 v6, 16, v1
	s_wait_xcnt 0x0
	v_and_b32_e32 v4, 0xffff, v1
	s_mov_b32 s26, exec_lo
                                        ; implicit-def: $vgpr5
	s_delay_alu instid0(VALU_DEP_2) | instskip(NEXT) | instid1(VALU_DEP_1)
	v_and_b32_e32 v7, 0x7fffffff, v6
	v_cmpx_gt_u32_e32 0x43f00000, v7
	s_xor_b32 s26, exec_lo, s26
	s_cbranch_execz .LBB35_807
; %bb.802:
	s_mov_b32 s27, exec_lo
                                        ; implicit-def: $vgpr5
	v_cmpx_lt_u32_e32 0x3c7fffff, v7
	s_xor_b32 s27, exec_lo, s27
; %bb.803:
	v_bfe_u32 v5, v4, 4, 1
	s_delay_alu instid0(VALU_DEP_1) | instskip(NEXT) | instid1(VALU_DEP_1)
	v_add3_u32 v5, v6, v5, 0x407ffff
	v_and_b32_e32 v6, 0xff00000, v5
	v_lshrrev_b32_e32 v5, 20, v5
	s_delay_alu instid0(VALU_DEP_2) | instskip(NEXT) | instid1(VALU_DEP_2)
	v_cmp_ne_u32_e32 vcc_lo, 0x7f00000, v6
                                        ; implicit-def: $vgpr6
	v_cndmask_b32_e32 v5, 0x7e, v5, vcc_lo
; %bb.804:
	s_and_not1_saveexec_b32 s27, s27
; %bb.805:
	v_add_f32_e64 v5, 0x46800000, |v6|
; %bb.806:
	s_or_b32 exec_lo, exec_lo, s27
                                        ; implicit-def: $vgpr7
.LBB35_807:
	s_and_not1_saveexec_b32 s26, s26
; %bb.808:
	v_mov_b32_e32 v5, 0x7f
	v_cmp_lt_u32_e32 vcc_lo, 0x7f800000, v7
	s_delay_alu instid0(VALU_DEP_2)
	v_cndmask_b32_e32 v5, 0x7e, v5, vcc_lo
; %bb.809:
	s_or_b32 exec_lo, exec_lo, s26
	v_lshrrev_b32_e32 v4, 8, v4
	s_delay_alu instid0(VALU_DEP_1)
	v_and_or_b32 v4, 0x80, v4, v5
	global_store_b8 v[2:3], v4, off
.LBB35_810:
	s_mov_b32 s26, 0
.LBB35_811:
	s_delay_alu instid0(SALU_CYCLE_1)
	s_and_not1_b32 vcc_lo, exec_lo, s26
	s_cbranch_vccnz .LBB35_821
; %bb.812:
	v_lshlrev_b32_e32 v6, 16, v1
	s_wait_xcnt 0x0
	v_and_b32_e32 v4, 0xffff, v1
	s_mov_b32 s26, exec_lo
                                        ; implicit-def: $vgpr5
	s_delay_alu instid0(VALU_DEP_2) | instskip(NEXT) | instid1(VALU_DEP_1)
	v_and_b32_e32 v7, 0x7fffffff, v6
	v_cmpx_gt_u32_e32 0x47800000, v7
	s_xor_b32 s26, exec_lo, s26
	s_cbranch_execz .LBB35_818
; %bb.813:
	s_mov_b32 s27, exec_lo
                                        ; implicit-def: $vgpr5
	v_cmpx_lt_u32_e32 0x387fffff, v7
	s_xor_b32 s27, exec_lo, s27
; %bb.814:
	v_bfe_u32 v5, v4, 5, 1
	s_delay_alu instid0(VALU_DEP_1) | instskip(NEXT) | instid1(VALU_DEP_1)
	v_add3_u32 v5, v6, v5, 0x80fffff
                                        ; implicit-def: $vgpr6
	v_lshrrev_b32_e32 v5, 21, v5
; %bb.815:
	s_and_not1_saveexec_b32 s27, s27
; %bb.816:
	v_add_f32_e64 v5, 0x43000000, |v6|
; %bb.817:
	s_or_b32 exec_lo, exec_lo, s27
                                        ; implicit-def: $vgpr7
.LBB35_818:
	s_and_not1_saveexec_b32 s26, s26
; %bb.819:
	v_mov_b32_e32 v5, 0x7f
	v_cmp_lt_u32_e32 vcc_lo, 0x7f800000, v7
	s_delay_alu instid0(VALU_DEP_2)
	v_cndmask_b32_e32 v5, 0x7c, v5, vcc_lo
; %bb.820:
	s_or_b32 exec_lo, exec_lo, s26
	v_lshrrev_b32_e32 v4, 8, v4
	s_delay_alu instid0(VALU_DEP_1)
	v_and_or_b32 v4, 0x80, v4, v5
	global_store_b8 v[2:3], v4, off
.LBB35_821:
	s_mov_b32 s27, 0
	s_mov_b32 s26, -1
.LBB35_822:
	s_and_not1_b32 vcc_lo, exec_lo, s27
	s_cbranch_vccnz .LBB35_830
; %bb.823:
	s_cmp_gt_i32 s25, 14
	s_mov_b32 s27, -1
	s_cbranch_scc0 .LBB35_827
; %bb.824:
	s_cmp_eq_u32 s25, 15
	s_mov_b32 s0, -1
	s_cbranch_scc0 .LBB35_826
; %bb.825:
	s_mov_b32 s26, -1
	s_mov_b32 s0, 0
	global_store_b16 v[2:3], v1, off
.LBB35_826:
	s_mov_b32 s27, 0
.LBB35_827:
	s_delay_alu instid0(SALU_CYCLE_1)
	s_and_b32 vcc_lo, exec_lo, s27
	s_cbranch_vccz .LBB35_830
; %bb.828:
	s_cmp_eq_u32 s25, 11
	s_mov_b32 s0, -1
	s_cbranch_scc0 .LBB35_830
; %bb.829:
	s_wait_xcnt 0x0
	v_and_b32_e32 v4, 0x7fff, v1
	s_mov_b32 s0, 0
	s_mov_b32 s26, -1
	s_delay_alu instid0(VALU_DEP_1)
	v_cmp_ne_u16_e32 vcc_lo, 0, v4
	v_cndmask_b32_e64 v4, 0, 1, vcc_lo
	global_store_b8 v[2:3], v4, off
.LBB35_830:
.LBB35_831:
	s_and_not1_b32 vcc_lo, exec_lo, s26
	s_cbranch_vccnz .LBB35_756
.LBB35_832:
	v_add_nc_u32_e32 v0, 0x80, v0
	s_mov_b32 s1, -1
.LBB35_833:
	s_and_not1_b32 s25, s42, exec_lo
	s_and_b32 s0, s0, exec_lo
	s_and_not1_b32 s26, s41, exec_lo
	s_and_b32 s24, s24, exec_lo
	s_or_b32 s27, s25, s0
	s_or_b32 s26, s26, s24
	s_or_not1_b32 s25, s1, exec_lo
.LBB35_834:
	s_wait_xcnt 0x0
	s_or_b32 exec_lo, exec_lo, s44
	s_mov_b32 s0, 0
	s_mov_b32 s1, 0
	;; [unrolled: 1-line block ×3, first 2 shown]
                                        ; implicit-def: $vgpr4_vgpr5
                                        ; implicit-def: $vgpr2
                                        ; implicit-def: $vgpr6
	s_and_saveexec_b32 s44, s25
	s_cbranch_execz .LBB35_936
; %bb.835:
	v_cmp_gt_i32_e32 vcc_lo, s36, v0
	s_mov_b32 s45, s26
	s_mov_b32 s25, 0
                                        ; implicit-def: $vgpr4_vgpr5
                                        ; implicit-def: $vgpr2
                                        ; implicit-def: $vgpr6
	s_and_saveexec_b32 s36, vcc_lo
	s_cbranch_execz .LBB35_935
; %bb.836:
	s_and_not1_b32 vcc_lo, exec_lo, s31
	s_cbranch_vccnz .LBB35_842
; %bb.837:
	s_and_not1_b32 vcc_lo, exec_lo, s38
	s_cbranch_vccnz .LBB35_843
; %bb.838:
	s_add_co_i32 s37, s37, 1
	s_cmp_eq_u32 s29, 2
	s_cbranch_scc1 .LBB35_844
; %bb.839:
	v_dual_mov_b32 v2, 0 :: v_dual_mov_b32 v4, 0
	s_wait_loadcnt 0x0
	v_mov_b32_e32 v1, v0
	s_and_b32 s0, s37, 28
	s_mov_b64 s[24:25], s[2:3]
.LBB35_840:                             ; =>This Inner Loop Header: Depth=1
	s_clause 0x1
	s_load_b256 s[48:55], s[24:25], 0x4
	s_load_b128 s[64:67], s[24:25], 0x24
	s_load_b256 s[56:63], s[22:23], 0x0
	s_add_co_i32 s1, s1, 4
	s_wait_xcnt 0x0
	s_add_nc_u64 s[24:25], s[24:25], 48
	s_cmp_eq_u32 s0, s1
	s_add_nc_u64 s[22:23], s[22:23], 32
	s_wait_kmcnt 0x0
	v_mul_hi_u32 v3, s49, v1
	s_delay_alu instid0(VALU_DEP_1) | instskip(NEXT) | instid1(VALU_DEP_1)
	v_add_nc_u32_e32 v3, v1, v3
	v_lshrrev_b32_e32 v3, s50, v3
	s_delay_alu instid0(VALU_DEP_1) | instskip(NEXT) | instid1(VALU_DEP_1)
	v_mul_hi_u32 v5, s52, v3
	v_add_nc_u32_e32 v5, v3, v5
	s_delay_alu instid0(VALU_DEP_1) | instskip(NEXT) | instid1(VALU_DEP_1)
	v_lshrrev_b32_e32 v5, s53, v5
	v_mul_hi_u32 v6, s55, v5
	s_delay_alu instid0(VALU_DEP_1) | instskip(SKIP_1) | instid1(VALU_DEP_1)
	v_add_nc_u32_e32 v6, v5, v6
	v_mul_lo_u32 v7, v3, s48
	v_sub_nc_u32_e32 v1, v1, v7
	v_mul_lo_u32 v7, v5, s51
	s_delay_alu instid0(VALU_DEP_4) | instskip(NEXT) | instid1(VALU_DEP_3)
	v_lshrrev_b32_e32 v6, s64, v6
	v_mad_u32 v4, v1, s57, v4
	v_mad_u32 v1, v1, s56, v2
	s_delay_alu instid0(VALU_DEP_4) | instskip(NEXT) | instid1(VALU_DEP_4)
	v_sub_nc_u32_e32 v2, v3, v7
	v_mul_hi_u32 v8, s66, v6
	v_mul_lo_u32 v3, v6, s54
	s_delay_alu instid0(VALU_DEP_3) | instskip(SKIP_1) | instid1(VALU_DEP_3)
	v_mad_u32 v4, v2, s59, v4
	v_mad_u32 v2, v2, s58, v1
	v_dual_add_nc_u32 v7, v6, v8 :: v_dual_sub_nc_u32 v3, v5, v3
	s_delay_alu instid0(VALU_DEP_1) | instskip(NEXT) | instid1(VALU_DEP_2)
	v_lshrrev_b32_e32 v1, s67, v7
	v_mad_u32 v4, v3, s61, v4
	s_delay_alu instid0(VALU_DEP_4) | instskip(NEXT) | instid1(VALU_DEP_3)
	v_mad_u32 v2, v3, s60, v2
	v_mul_lo_u32 v5, v1, s65
	s_delay_alu instid0(VALU_DEP_1) | instskip(NEXT) | instid1(VALU_DEP_1)
	v_sub_nc_u32_e32 v3, v6, v5
	v_mad_u32 v4, v3, s63, v4
	s_delay_alu instid0(VALU_DEP_4)
	v_mad_u32 v2, v3, s62, v2
	s_cbranch_scc0 .LBB35_840
; %bb.841:
	s_delay_alu instid0(VALU_DEP_2)
	v_mov_b32_e32 v3, v4
	s_branch .LBB35_845
.LBB35_842:
	s_mov_b32 s0, -1
                                        ; implicit-def: $vgpr4
                                        ; implicit-def: $vgpr2
	s_branch .LBB35_850
.LBB35_843:
	v_dual_mov_b32 v4, 0 :: v_dual_mov_b32 v2, 0
	s_branch .LBB35_849
.LBB35_844:
	v_mov_b64_e32 v[2:3], 0
	s_wait_loadcnt 0x0
	v_mov_b32_e32 v1, v0
                                        ; implicit-def: $vgpr4
.LBB35_845:
	s_and_b32 s24, s37, 3
	s_mov_b32 s1, 0
	s_cmp_eq_u32 s24, 0
	s_cbranch_scc1 .LBB35_849
; %bb.846:
	s_lshl_b32 s22, s0, 3
	s_mov_b32 s23, s1
	s_mul_u64 s[46:47], s[0:1], 12
	s_add_nc_u64 s[22:23], s[2:3], s[22:23]
	s_delay_alu instid0(SALU_CYCLE_1)
	s_add_nc_u64 s[0:1], s[22:23], 0xc4
	s_add_nc_u64 s[22:23], s[2:3], s[46:47]
.LBB35_847:                             ; =>This Inner Loop Header: Depth=1
	s_load_b96 s[48:50], s[22:23], 0x4
	s_load_b64 s[46:47], s[0:1], 0x0
	s_add_co_i32 s24, s24, -1
	s_wait_xcnt 0x0
	s_add_nc_u64 s[22:23], s[22:23], 12
	s_cmp_lg_u32 s24, 0
	s_add_nc_u64 s[0:1], s[0:1], 8
	s_wait_kmcnt 0x0
	v_mul_hi_u32 v4, s49, v1
	s_delay_alu instid0(VALU_DEP_1) | instskip(NEXT) | instid1(VALU_DEP_1)
	v_add_nc_u32_e32 v4, v1, v4
	v_lshrrev_b32_e32 v4, s50, v4
	s_delay_alu instid0(VALU_DEP_1) | instskip(NEXT) | instid1(VALU_DEP_1)
	v_mul_lo_u32 v5, v4, s48
	v_sub_nc_u32_e32 v1, v1, v5
	s_delay_alu instid0(VALU_DEP_1)
	v_mad_u32 v3, v1, s47, v3
	v_mad_u32 v2, v1, s46, v2
	v_mov_b32_e32 v1, v4
	s_cbranch_scc1 .LBB35_847
; %bb.848:
	s_delay_alu instid0(VALU_DEP_3)
	v_mov_b32_e32 v4, v3
.LBB35_849:
	s_mov_b32 s0, 0
.LBB35_850:
	s_delay_alu instid0(SALU_CYCLE_1)
	s_and_not1_b32 vcc_lo, exec_lo, s0
	s_cbranch_vccnz .LBB35_853
; %bb.851:
	s_wait_loadcnt 0x0
	v_mov_b32_e32 v1, 0
	s_and_not1_b32 vcc_lo, exec_lo, s35
	s_delay_alu instid0(VALU_DEP_1) | instskip(NEXT) | instid1(VALU_DEP_1)
	v_mul_u64_e32 v[2:3], s[16:17], v[0:1]
	v_add_nc_u32_e32 v2, v0, v3
	s_delay_alu instid0(VALU_DEP_1) | instskip(NEXT) | instid1(VALU_DEP_1)
	v_lshrrev_b32_e32 v6, s14, v2
	v_mul_lo_u32 v2, v6, s12
	s_delay_alu instid0(VALU_DEP_1) | instskip(NEXT) | instid1(VALU_DEP_1)
	v_sub_nc_u32_e32 v0, v0, v2
	v_mul_lo_u32 v4, v0, s9
	v_mul_lo_u32 v2, v0, s8
	s_cbranch_vccnz .LBB35_853
; %bb.852:
	v_mov_b32_e32 v7, v1
	s_delay_alu instid0(VALU_DEP_1) | instskip(NEXT) | instid1(VALU_DEP_1)
	v_mul_u64_e32 v[0:1], s[20:21], v[6:7]
	v_add_nc_u32_e32 v0, v6, v1
	s_delay_alu instid0(VALU_DEP_1) | instskip(NEXT) | instid1(VALU_DEP_1)
	v_lshrrev_b32_e32 v0, s19, v0
	v_mul_lo_u32 v0, v0, s15
	s_delay_alu instid0(VALU_DEP_1) | instskip(NEXT) | instid1(VALU_DEP_1)
	v_sub_nc_u32_e32 v0, v6, v0
	v_mad_u32 v2, v0, s10, v2
	v_mad_u32 v4, v0, s11, v4
.LBB35_853:
	v_mov_b32_e32 v5, 0
	s_and_b32 s0, 0xffff, s13
	s_delay_alu instid0(SALU_CYCLE_1) | instskip(NEXT) | instid1(VALU_DEP_1)
	s_cmp_lt_i32 s0, 11
	v_add_nc_u64_e32 v[4:5], s[6:7], v[4:5]
	s_cbranch_scc1 .LBB35_860
; %bb.854:
	s_cmp_gt_i32 s0, 25
	s_mov_b32 s6, 0
	s_cbranch_scc0 .LBB35_861
; %bb.855:
	s_cmp_gt_i32 s0, 28
	s_cbranch_scc0 .LBB35_862
; %bb.856:
	s_cmp_gt_i32 s0, 43
	;; [unrolled: 3-line block ×3, first 2 shown]
	s_cbranch_scc0 .LBB35_866
; %bb.858:
	s_cmp_eq_u32 s0, 46
	s_mov_b32 s8, 0
	s_cbranch_scc0 .LBB35_869
; %bb.859:
	global_load_b32 v6, v[4:5], off
	s_mov_b32 s1, 0
	s_mov_b32 s7, -1
	s_branch .LBB35_871
.LBB35_860:
	s_mov_b32 s0, -1
	s_mov_b32 s7, 0
	s_mov_b32 s6, 0
	;; [unrolled: 1-line block ×3, first 2 shown]
                                        ; implicit-def: $vgpr6
	s_branch .LBB35_934
.LBB35_861:
	s_mov_b32 s8, -1
	s_mov_b32 s7, 0
	s_mov_b32 s1, s26
                                        ; implicit-def: $vgpr6
	s_branch .LBB35_900
.LBB35_862:
	s_mov_b32 s8, -1
	s_mov_b32 s7, 0
	s_mov_b32 s1, s26
                                        ; implicit-def: $vgpr6
	s_branch .LBB35_881
.LBB35_863:
	s_mov_b32 s8, -1
	s_mov_b32 s7, 0
	s_mov_b32 s1, s26
                                        ; implicit-def: $vgpr6
	s_branch .LBB35_876
.LBB35_864:
	s_and_not1_saveexec_b32 s45, s45
	s_cbranch_execz .LBB35_783
.LBB35_865:
	v_add_f32_e64 v5, 0x46000000, |v6|
	s_and_not1_b32 s27, s27, exec_lo
	s_delay_alu instid0(VALU_DEP_1) | instskip(NEXT) | instid1(VALU_DEP_1)
	v_and_b32_e32 v5, 0xff, v5
	v_cmp_ne_u32_e32 vcc_lo, 0, v5
	s_and_b32 s46, vcc_lo, exec_lo
	s_delay_alu instid0(SALU_CYCLE_1)
	s_or_b32 s27, s27, s46
	s_or_b32 exec_lo, exec_lo, s45
	v_mov_b32_e32 v7, 0
	s_and_saveexec_b32 s45, s27
	s_cbranch_execnz .LBB35_784
	s_branch .LBB35_785
.LBB35_866:
	s_mov_b32 s8, -1
	s_mov_b32 s7, 0
	s_mov_b32 s1, s26
	s_branch .LBB35_870
.LBB35_867:
	s_and_not1_saveexec_b32 s45, s45
	s_cbranch_execz .LBB35_796
.LBB35_868:
	v_add_f32_e64 v5, 0x42800000, |v6|
	s_and_not1_b32 s27, s27, exec_lo
	s_delay_alu instid0(VALU_DEP_1) | instskip(NEXT) | instid1(VALU_DEP_1)
	v_and_b32_e32 v5, 0xff, v5
	v_cmp_ne_u32_e32 vcc_lo, 0, v5
	s_and_b32 s46, vcc_lo, exec_lo
	s_delay_alu instid0(SALU_CYCLE_1)
	s_or_b32 s27, s27, s46
	s_or_b32 exec_lo, exec_lo, s45
	v_mov_b32_e32 v7, 0
	s_and_saveexec_b32 s45, s27
	s_cbranch_execnz .LBB35_797
	s_branch .LBB35_798
.LBB35_869:
	s_mov_b32 s1, -1
	s_mov_b32 s7, 0
.LBB35_870:
                                        ; implicit-def: $vgpr6
.LBB35_871:
	s_and_b32 vcc_lo, exec_lo, s8
	s_cbranch_vccz .LBB35_875
; %bb.872:
	s_cmp_eq_u32 s0, 44
	s_cbranch_scc0 .LBB35_874
; %bb.873:
	global_load_u8 v0, v[4:5], off
	s_mov_b32 s1, 0
	s_mov_b32 s7, -1
	s_wait_loadcnt 0x0
	v_lshlrev_b32_e32 v1, 23, v0
	v_cmp_ne_u32_e32 vcc_lo, 0xff, v0
	s_delay_alu instid0(VALU_DEP_2) | instskip(SKIP_1) | instid1(VALU_DEP_2)
	v_cndmask_b32_e32 v1, 0x7f800001, v1, vcc_lo
	v_cmp_ne_u32_e32 vcc_lo, 0, v0
	v_cndmask_b32_e32 v0, 0x400000, v1, vcc_lo
	s_delay_alu instid0(VALU_DEP_1) | instskip(NEXT) | instid1(VALU_DEP_1)
	v_add_nc_u32_e32 v1, 0x7fff, v0
	v_lshrrev_b32_e32 v1, 16, v1
	v_cmp_o_f32_e32 vcc_lo, v0, v0
	s_delay_alu instid0(VALU_DEP_2)
	v_cndmask_b32_e32 v6, 0x7fc0, v1, vcc_lo
	s_branch .LBB35_875
.LBB35_874:
	s_mov_b32 s1, -1
                                        ; implicit-def: $vgpr6
.LBB35_875:
	s_mov_b32 s8, 0
.LBB35_876:
	s_delay_alu instid0(SALU_CYCLE_1)
	s_and_b32 vcc_lo, exec_lo, s8
	s_cbranch_vccz .LBB35_880
; %bb.877:
	s_cmp_eq_u32 s0, 29
	s_cbranch_scc0 .LBB35_879
; %bb.878:
	s_wait_loadcnt 0x0
	global_load_b64 v[0:1], v[4:5], off
	s_mov_b32 s1, 0
	s_mov_b32 s7, -1
	s_mov_b32 s8, 0
	s_wait_loadcnt 0x0
	v_clz_i32_u32_e32 v3, v1
	s_delay_alu instid0(VALU_DEP_1) | instskip(NEXT) | instid1(VALU_DEP_1)
	v_min_u32_e32 v3, 32, v3
	v_lshlrev_b64_e32 v[0:1], v3, v[0:1]
	s_delay_alu instid0(VALU_DEP_1) | instskip(NEXT) | instid1(VALU_DEP_1)
	v_min_u32_e32 v0, 1, v0
	v_dual_sub_nc_u32 v1, 32, v3 :: v_dual_bitop2_b32 v0, v1, v0 bitop3:0x54
	s_delay_alu instid0(VALU_DEP_1) | instskip(NEXT) | instid1(VALU_DEP_1)
	v_cvt_f32_u32_e32 v0, v0
	v_ldexp_f32 v0, v0, v1
	s_delay_alu instid0(VALU_DEP_1) | instskip(NEXT) | instid1(VALU_DEP_1)
	v_bfe_u32 v1, v0, 16, 1
	v_add3_u32 v0, v0, v1, 0x7fff
	s_delay_alu instid0(VALU_DEP_1)
	v_lshrrev_b32_e32 v6, 16, v0
	s_branch .LBB35_881
.LBB35_879:
	s_mov_b32 s1, -1
                                        ; implicit-def: $vgpr6
.LBB35_880:
	s_mov_b32 s8, 0
.LBB35_881:
	s_delay_alu instid0(SALU_CYCLE_1)
	s_and_b32 vcc_lo, exec_lo, s8
	s_cbranch_vccz .LBB35_899
; %bb.882:
	s_cmp_lt_i32 s0, 27
	s_cbranch_scc1 .LBB35_885
; %bb.883:
	s_cmp_gt_i32 s0, 27
	s_cbranch_scc0 .LBB35_886
; %bb.884:
	global_load_b32 v0, v[4:5], off
	s_mov_b32 s7, 0
	s_wait_loadcnt 0x0
	v_cvt_f32_u32_e32 v0, v0
	s_delay_alu instid0(VALU_DEP_1) | instskip(NEXT) | instid1(VALU_DEP_1)
	v_bfe_u32 v1, v0, 16, 1
	v_add3_u32 v0, v0, v1, 0x7fff
	s_delay_alu instid0(VALU_DEP_1)
	v_lshrrev_b32_e32 v6, 16, v0
	s_branch .LBB35_887
.LBB35_885:
	s_mov_b32 s7, -1
                                        ; implicit-def: $vgpr6
	s_branch .LBB35_890
.LBB35_886:
	s_mov_b32 s7, -1
                                        ; implicit-def: $vgpr6
.LBB35_887:
	s_delay_alu instid0(SALU_CYCLE_1)
	s_and_not1_b32 vcc_lo, exec_lo, s7
	s_cbranch_vccnz .LBB35_889
; %bb.888:
	global_load_u16 v0, v[4:5], off
	s_wait_loadcnt 0x0
	v_cvt_f32_u32_e32 v0, v0
	s_delay_alu instid0(VALU_DEP_1) | instskip(NEXT) | instid1(VALU_DEP_1)
	v_bfe_u32 v1, v0, 16, 1
	v_add3_u32 v0, v0, v1, 0x7fff
	s_delay_alu instid0(VALU_DEP_1)
	v_lshrrev_b32_e32 v6, 16, v0
.LBB35_889:
	s_mov_b32 s7, 0
.LBB35_890:
	s_delay_alu instid0(SALU_CYCLE_1)
	s_and_not1_b32 vcc_lo, exec_lo, s7
	s_cbranch_vccnz .LBB35_898
; %bb.891:
	global_load_u8 v0, v[4:5], off
	s_mov_b32 s7, 0
	s_mov_b32 s8, exec_lo
	s_wait_loadcnt 0x0
	v_cmpx_lt_i16_e32 0x7f, v0
	s_xor_b32 s8, exec_lo, s8
	s_cbranch_execz .LBB35_912
; %bb.892:
	s_mov_b32 s7, -1
	s_mov_b32 s9, exec_lo
	v_cmpx_eq_u16_e32 0x80, v0
; %bb.893:
	s_xor_b32 s7, exec_lo, -1
; %bb.894:
	s_or_b32 exec_lo, exec_lo, s9
	s_delay_alu instid0(SALU_CYCLE_1)
	s_and_b32 s7, s7, exec_lo
	s_or_saveexec_b32 s8, s8
	v_mov_b32_e32 v1, 0x7f800001
	s_xor_b32 exec_lo, exec_lo, s8
	s_cbranch_execnz .LBB35_913
.LBB35_895:
	s_or_b32 exec_lo, exec_lo, s8
	s_and_saveexec_b32 s8, s7
	s_cbranch_execz .LBB35_897
.LBB35_896:
	v_and_b32_e32 v1, 0xffff, v0
	s_delay_alu instid0(VALU_DEP_1) | instskip(SKIP_1) | instid1(VALU_DEP_2)
	v_and_b32_e32 v3, 7, v1
	v_bfe_u32 v8, v1, 3, 4
	v_clz_i32_u32_e32 v6, v3
	s_delay_alu instid0(VALU_DEP_2) | instskip(NEXT) | instid1(VALU_DEP_2)
	v_cmp_eq_u32_e32 vcc_lo, 0, v8
	v_min_u32_e32 v6, 32, v6
	s_delay_alu instid0(VALU_DEP_1) | instskip(NEXT) | instid1(VALU_DEP_1)
	v_subrev_nc_u32_e32 v7, 28, v6
	v_dual_lshlrev_b32 v1, v7, v1 :: v_dual_sub_nc_u32 v6, 29, v6
	s_delay_alu instid0(VALU_DEP_1) | instskip(NEXT) | instid1(VALU_DEP_1)
	v_dual_lshlrev_b32 v0, 24, v0 :: v_dual_bitop2_b32 v1, 7, v1 bitop3:0x40
	v_dual_cndmask_b32 v6, v8, v6 :: v_dual_cndmask_b32 v1, v3, v1
	s_delay_alu instid0(VALU_DEP_2) | instskip(NEXT) | instid1(VALU_DEP_2)
	v_and_b32_e32 v0, 0x80000000, v0
	v_lshl_add_u32 v3, v6, 23, 0x3b800000
	s_delay_alu instid0(VALU_DEP_3) | instskip(NEXT) | instid1(VALU_DEP_1)
	v_lshlrev_b32_e32 v1, 20, v1
	v_or3_b32 v1, v0, v3, v1
.LBB35_897:
	s_or_b32 exec_lo, exec_lo, s8
	s_delay_alu instid0(VALU_DEP_1) | instskip(SKIP_1) | instid1(VALU_DEP_2)
	v_bfe_u32 v0, v1, 16, 1
	v_cmp_o_f32_e32 vcc_lo, v1, v1
	v_add3_u32 v0, v1, v0, 0x7fff
	s_delay_alu instid0(VALU_DEP_1) | instskip(NEXT) | instid1(VALU_DEP_1)
	v_lshrrev_b32_e32 v0, 16, v0
	v_cndmask_b32_e32 v6, 0x7fc0, v0, vcc_lo
.LBB35_898:
	s_mov_b32 s7, -1
.LBB35_899:
	s_mov_b32 s8, 0
.LBB35_900:
	s_delay_alu instid0(SALU_CYCLE_1)
	s_and_b32 vcc_lo, exec_lo, s8
	s_cbranch_vccz .LBB35_933
; %bb.901:
	s_cmp_gt_i32 s0, 22
	s_cbranch_scc0 .LBB35_911
; %bb.902:
	s_cmp_lt_i32 s0, 24
	s_cbranch_scc1 .LBB35_914
; %bb.903:
	s_cmp_gt_i32 s0, 24
	s_cbranch_scc0 .LBB35_915
; %bb.904:
	global_load_u8 v0, v[4:5], off
	s_mov_b32 s7, exec_lo
	s_wait_loadcnt 0x0
	v_cmpx_lt_i16_e32 0x7f, v0
	s_xor_b32 s7, exec_lo, s7
	s_cbranch_execz .LBB35_927
; %bb.905:
	s_mov_b32 s6, -1
	s_mov_b32 s8, exec_lo
	v_cmpx_eq_u16_e32 0x80, v0
; %bb.906:
	s_xor_b32 s6, exec_lo, -1
; %bb.907:
	s_or_b32 exec_lo, exec_lo, s8
	s_delay_alu instid0(SALU_CYCLE_1)
	s_and_b32 s6, s6, exec_lo
	s_or_saveexec_b32 s7, s7
	v_mov_b32_e32 v1, 0x7f800001
	s_xor_b32 exec_lo, exec_lo, s7
	s_cbranch_execnz .LBB35_928
.LBB35_908:
	s_or_b32 exec_lo, exec_lo, s7
	s_and_saveexec_b32 s7, s6
	s_cbranch_execz .LBB35_910
.LBB35_909:
	v_and_b32_e32 v1, 0xffff, v0
	s_delay_alu instid0(VALU_DEP_1) | instskip(SKIP_1) | instid1(VALU_DEP_2)
	v_and_b32_e32 v3, 3, v1
	v_bfe_u32 v8, v1, 2, 5
	v_clz_i32_u32_e32 v6, v3
	s_delay_alu instid0(VALU_DEP_2) | instskip(NEXT) | instid1(VALU_DEP_2)
	v_cmp_eq_u32_e32 vcc_lo, 0, v8
	v_min_u32_e32 v6, 32, v6
	s_delay_alu instid0(VALU_DEP_1) | instskip(NEXT) | instid1(VALU_DEP_1)
	v_subrev_nc_u32_e32 v7, 29, v6
	v_dual_lshlrev_b32 v1, v7, v1 :: v_dual_sub_nc_u32 v6, 30, v6
	s_delay_alu instid0(VALU_DEP_1) | instskip(NEXT) | instid1(VALU_DEP_1)
	v_dual_lshlrev_b32 v0, 24, v0 :: v_dual_bitop2_b32 v1, 3, v1 bitop3:0x40
	v_dual_cndmask_b32 v6, v8, v6 :: v_dual_cndmask_b32 v1, v3, v1
	s_delay_alu instid0(VALU_DEP_2) | instskip(NEXT) | instid1(VALU_DEP_2)
	v_and_b32_e32 v0, 0x80000000, v0
	v_lshl_add_u32 v3, v6, 23, 0x37800000
	s_delay_alu instid0(VALU_DEP_3) | instskip(NEXT) | instid1(VALU_DEP_1)
	v_lshlrev_b32_e32 v1, 21, v1
	v_or3_b32 v1, v0, v3, v1
.LBB35_910:
	s_or_b32 exec_lo, exec_lo, s7
	s_delay_alu instid0(VALU_DEP_1) | instskip(SKIP_2) | instid1(VALU_DEP_2)
	v_bfe_u32 v0, v1, 16, 1
	v_cmp_o_f32_e32 vcc_lo, v1, v1
	s_mov_b32 s6, 0
	v_add3_u32 v0, v1, v0, 0x7fff
	s_delay_alu instid0(VALU_DEP_1) | instskip(NEXT) | instid1(VALU_DEP_1)
	v_lshrrev_b32_e32 v0, 16, v0
	v_cndmask_b32_e32 v6, 0x7fc0, v0, vcc_lo
	s_branch .LBB35_916
.LBB35_911:
	s_mov_b32 s6, -1
                                        ; implicit-def: $vgpr6
	s_branch .LBB35_922
.LBB35_912:
	s_or_saveexec_b32 s8, s8
	v_mov_b32_e32 v1, 0x7f800001
	s_xor_b32 exec_lo, exec_lo, s8
	s_cbranch_execz .LBB35_895
.LBB35_913:
	v_cmp_ne_u16_e32 vcc_lo, 0, v0
	v_mov_b32_e32 v1, 0
	s_and_not1_b32 s7, s7, exec_lo
	s_and_b32 s9, vcc_lo, exec_lo
	s_delay_alu instid0(SALU_CYCLE_1)
	s_or_b32 s7, s7, s9
	s_or_b32 exec_lo, exec_lo, s8
	s_and_saveexec_b32 s8, s7
	s_cbranch_execnz .LBB35_896
	s_branch .LBB35_897
.LBB35_914:
	s_mov_b32 s6, -1
                                        ; implicit-def: $vgpr6
	s_branch .LBB35_919
.LBB35_915:
	s_mov_b32 s6, -1
                                        ; implicit-def: $vgpr6
.LBB35_916:
	s_delay_alu instid0(SALU_CYCLE_1)
	s_and_b32 vcc_lo, exec_lo, s6
	s_cbranch_vccz .LBB35_918
; %bb.917:
	global_load_u8 v0, v[4:5], off
	s_wait_loadcnt 0x0
	v_lshlrev_b32_e32 v0, 24, v0
	s_delay_alu instid0(VALU_DEP_1) | instskip(NEXT) | instid1(VALU_DEP_1)
	v_and_b32_e32 v1, 0x7f000000, v0
	v_clz_i32_u32_e32 v3, v1
	v_add_nc_u32_e32 v7, 0x1000000, v1
	v_cmp_ne_u32_e32 vcc_lo, 0, v1
	s_delay_alu instid0(VALU_DEP_3) | instskip(NEXT) | instid1(VALU_DEP_1)
	v_min_u32_e32 v3, 32, v3
	v_sub_nc_u32_e64 v3, v3, 4 clamp
	s_delay_alu instid0(VALU_DEP_1) | instskip(NEXT) | instid1(VALU_DEP_1)
	v_dual_lshlrev_b32 v6, v3, v1 :: v_dual_lshlrev_b32 v3, 23, v3
	v_lshrrev_b32_e32 v6, 4, v6
	s_delay_alu instid0(VALU_DEP_1) | instskip(SKIP_1) | instid1(VALU_DEP_2)
	v_sub_nc_u32_e32 v3, v6, v3
	v_ashrrev_i32_e32 v6, 8, v7
	v_add_nc_u32_e32 v3, 0x3c000000, v3
	s_delay_alu instid0(VALU_DEP_1) | instskip(NEXT) | instid1(VALU_DEP_1)
	v_and_or_b32 v3, 0x7f800000, v6, v3
	v_cndmask_b32_e32 v1, 0, v3, vcc_lo
	s_delay_alu instid0(VALU_DEP_1) | instskip(SKIP_1) | instid1(VALU_DEP_2)
	v_and_or_b32 v0, 0x80000000, v0, v1
	v_bfe_u32 v1, v1, 16, 1
	v_cmp_o_f32_e32 vcc_lo, v0, v0
	s_delay_alu instid0(VALU_DEP_2) | instskip(NEXT) | instid1(VALU_DEP_1)
	v_add3_u32 v1, v0, v1, 0x7fff
	v_lshrrev_b32_e32 v1, 16, v1
	s_delay_alu instid0(VALU_DEP_1)
	v_cndmask_b32_e32 v6, 0x7fc0, v1, vcc_lo
.LBB35_918:
	s_mov_b32 s6, 0
.LBB35_919:
	s_delay_alu instid0(SALU_CYCLE_1)
	s_and_not1_b32 vcc_lo, exec_lo, s6
	s_cbranch_vccnz .LBB35_921
; %bb.920:
	global_load_u8 v0, v[4:5], off
	s_wait_loadcnt 0x0
	v_lshlrev_b32_e32 v1, 25, v0
	v_lshlrev_b16 v0, 8, v0
	s_delay_alu instid0(VALU_DEP_1) | instskip(SKIP_1) | instid1(VALU_DEP_2)
	v_and_or_b32 v6, 0x7f00, v0, 0.5
	v_bfe_i32 v0, v0, 0, 16
	v_dual_add_f32 v6, -0.5, v6 :: v_dual_lshrrev_b32 v3, 4, v1
	v_cmp_gt_u32_e32 vcc_lo, 0x8000000, v1
	s_delay_alu instid0(VALU_DEP_2) | instskip(NEXT) | instid1(VALU_DEP_1)
	v_or_b32_e32 v3, 0x70000000, v3
	v_mul_f32_e32 v3, 0x7800000, v3
	s_delay_alu instid0(VALU_DEP_1) | instskip(NEXT) | instid1(VALU_DEP_1)
	v_cndmask_b32_e32 v1, v3, v6, vcc_lo
	v_and_or_b32 v0, 0x80000000, v0, v1
	v_bfe_u32 v1, v1, 16, 1
	s_delay_alu instid0(VALU_DEP_2) | instskip(NEXT) | instid1(VALU_DEP_2)
	v_cmp_o_f32_e32 vcc_lo, v0, v0
	v_add3_u32 v1, v0, v1, 0x7fff
	s_delay_alu instid0(VALU_DEP_1) | instskip(NEXT) | instid1(VALU_DEP_1)
	v_lshrrev_b32_e32 v1, 16, v1
	v_cndmask_b32_e32 v6, 0x7fc0, v1, vcc_lo
.LBB35_921:
	s_mov_b32 s6, 0
	s_mov_b32 s7, -1
.LBB35_922:
	s_and_not1_b32 vcc_lo, exec_lo, s6
	s_mov_b32 s6, 0
	s_cbranch_vccnz .LBB35_933
; %bb.923:
	s_cmp_gt_i32 s0, 14
	s_cbranch_scc0 .LBB35_926
; %bb.924:
	s_cmp_eq_u32 s0, 15
	s_cbranch_scc0 .LBB35_929
; %bb.925:
	s_wait_loadcnt 0x0
	global_load_u16 v6, v[4:5], off
	s_mov_b32 s1, 0
	s_mov_b32 s7, -1
	s_branch .LBB35_931
.LBB35_926:
	s_mov_b32 s6, -1
	s_branch .LBB35_930
.LBB35_927:
	s_or_saveexec_b32 s7, s7
	v_mov_b32_e32 v1, 0x7f800001
	s_xor_b32 exec_lo, exec_lo, s7
	s_cbranch_execz .LBB35_908
.LBB35_928:
	v_cmp_ne_u16_e32 vcc_lo, 0, v0
	v_mov_b32_e32 v1, 0
	s_and_not1_b32 s6, s6, exec_lo
	s_and_b32 s8, vcc_lo, exec_lo
	s_delay_alu instid0(SALU_CYCLE_1)
	s_or_b32 s6, s6, s8
	s_or_b32 exec_lo, exec_lo, s7
	s_and_saveexec_b32 s7, s6
	s_cbranch_execnz .LBB35_909
	s_branch .LBB35_910
.LBB35_929:
	s_mov_b32 s1, -1
.LBB35_930:
                                        ; implicit-def: $vgpr6
.LBB35_931:
	s_and_b32 vcc_lo, exec_lo, s6
	s_mov_b32 s6, 0
	s_cbranch_vccz .LBB35_933
; %bb.932:
	s_cmp_lg_u32 s0, 11
	s_mov_b32 s6, -1
	s_cselect_b32 s0, -1, 0
	s_and_not1_b32 s1, s1, exec_lo
	s_and_b32 s0, s0, exec_lo
	s_delay_alu instid0(SALU_CYCLE_1)
	s_or_b32 s1, s1, s0
.LBB35_933:
	s_mov_b32 s0, 0
.LBB35_934:
	s_and_b32 s24, s7, exec_lo
	s_and_not1_b32 s7, s26, exec_lo
	s_and_b32 s1, s1, exec_lo
	s_and_b32 s25, s0, exec_lo
	;; [unrolled: 1-line block ×3, first 2 shown]
	s_or_b32 s45, s7, s1
.LBB35_935:
	s_wait_xcnt 0x0
	s_or_b32 exec_lo, exec_lo, s36
	s_delay_alu instid0(SALU_CYCLE_1)
	s_and_not1_b32 s6, s26, exec_lo
	s_and_b32 s7, s45, exec_lo
	s_and_b32 s24, s24, exec_lo
	;; [unrolled: 1-line block ×4, first 2 shown]
	s_or_b32 s26, s6, s7
.LBB35_936:
	s_or_b32 exec_lo, exec_lo, s44
	s_delay_alu instid0(SALU_CYCLE_1)
	s_and_not1_b32 s6, s42, exec_lo
	s_and_b32 s7, s27, exec_lo
	s_and_b32 s25, s24, exec_lo
	s_or_b32 s42, s6, s7
	s_and_not1_b32 s6, s41, exec_lo
	s_and_b32 s7, s26, exec_lo
	s_and_b32 s24, s1, exec_lo
	;; [unrolled: 1-line block ×3, first 2 shown]
	s_or_b32 s41, s6, s7
.LBB35_937:
	s_or_b32 exec_lo, exec_lo, s43
	s_delay_alu instid0(SALU_CYCLE_1)
	s_and_not1_b32 s0, s18, exec_lo
	s_and_b32 s6, s42, exec_lo
	s_and_b32 s7, s41, exec_lo
	s_or_b32 s18, s0, s6
	s_and_not1_b32 s6, s39, exec_lo
	s_and_b32 s0, s25, exec_lo
	s_and_b32 s25, s24, exec_lo
	;; [unrolled: 1-line block ×3, first 2 shown]
	s_or_b32 s39, s6, s7
	s_or_b32 exec_lo, exec_lo, s40
	s_mov_b32 s6, 0
	s_and_saveexec_b32 s1, s39
	s_cbranch_execz .LBB35_280
.LBB35_938:
	s_mov_b32 s6, exec_lo
	s_and_not1_b32 s17, s17, exec_lo
	s_trap 2
	s_or_b32 exec_lo, exec_lo, s1
	s_and_saveexec_b32 s1, s17
	s_delay_alu instid0(SALU_CYCLE_1)
	s_xor_b32 s1, exec_lo, s1
	s_cbranch_execnz .LBB35_281
.LBB35_939:
	s_or_b32 exec_lo, exec_lo, s1
	s_and_saveexec_b32 s1, s25
	s_cbranch_execz .LBB35_985
.LBB35_940:
	s_sext_i32_i16 s7, s13
	s_delay_alu instid0(SALU_CYCLE_1)
	s_cmp_lt_i32 s7, 5
	s_cbranch_scc1 .LBB35_945
; %bb.941:
	s_cmp_lt_i32 s7, 8
	s_cbranch_scc1 .LBB35_946
; %bb.942:
	;; [unrolled: 3-line block ×3, first 2 shown]
	s_cmp_gt_i32 s7, 9
	s_cbranch_scc0 .LBB35_948
; %bb.944:
	s_wait_loadcnt 0x0
	global_load_b64 v[0:1], v[4:5], off
	s_mov_b32 s7, 0
	s_wait_loadcnt 0x0
	v_cvt_f32_f64_e32 v0, v[0:1]
	s_delay_alu instid0(VALU_DEP_1) | instskip(SKIP_1) | instid1(VALU_DEP_2)
	v_bfe_u32 v1, v0, 16, 1
	v_cmp_o_f32_e32 vcc_lo, v0, v0
	v_add3_u32 v1, v0, v1, 0x7fff
	s_delay_alu instid0(VALU_DEP_1) | instskip(NEXT) | instid1(VALU_DEP_1)
	v_lshrrev_b32_e32 v1, 16, v1
	v_cndmask_b32_e32 v6, 0x7fc0, v1, vcc_lo
	s_branch .LBB35_949
.LBB35_945:
                                        ; implicit-def: $vgpr6
	s_branch .LBB35_966
.LBB35_946:
                                        ; implicit-def: $vgpr6
	s_branch .LBB35_955
.LBB35_947:
	s_mov_b32 s7, -1
                                        ; implicit-def: $vgpr6
	s_branch .LBB35_952
.LBB35_948:
	s_mov_b32 s7, -1
                                        ; implicit-def: $vgpr6
.LBB35_949:
	s_delay_alu instid0(SALU_CYCLE_1)
	s_and_not1_b32 vcc_lo, exec_lo, s7
	s_cbranch_vccnz .LBB35_951
; %bb.950:
	global_load_b32 v0, v[4:5], off
	s_wait_loadcnt 0x0
	v_bfe_u32 v1, v0, 16, 1
	v_cmp_o_f32_e32 vcc_lo, v0, v0
	s_delay_alu instid0(VALU_DEP_2) | instskip(NEXT) | instid1(VALU_DEP_1)
	v_add3_u32 v1, v0, v1, 0x7fff
	v_lshrrev_b32_e32 v1, 16, v1
	s_delay_alu instid0(VALU_DEP_1)
	v_cndmask_b32_e32 v6, 0x7fc0, v1, vcc_lo
.LBB35_951:
	s_mov_b32 s7, 0
.LBB35_952:
	s_delay_alu instid0(SALU_CYCLE_1)
	s_and_not1_b32 vcc_lo, exec_lo, s7
	s_cbranch_vccnz .LBB35_954
; %bb.953:
	global_load_b32 v0, v[4:5], off
	s_wait_loadcnt 0x0
	v_cvt_f32_f16_e32 v1, v0
	v_cmp_o_f16_e32 vcc_lo, v0, v0
	s_delay_alu instid0(VALU_DEP_2) | instskip(NEXT) | instid1(VALU_DEP_1)
	v_bfe_u32 v3, v1, 16, 1
	v_add3_u32 v1, v1, v3, 0x7fff
	s_delay_alu instid0(VALU_DEP_1) | instskip(NEXT) | instid1(VALU_DEP_1)
	v_lshrrev_b32_e32 v1, 16, v1
	v_cndmask_b32_e32 v6, 0x7fc0, v1, vcc_lo
.LBB35_954:
	s_cbranch_execnz .LBB35_965
.LBB35_955:
	s_sext_i32_i16 s7, s13
	s_delay_alu instid0(SALU_CYCLE_1)
	s_cmp_lt_i32 s7, 6
	s_cbranch_scc1 .LBB35_958
; %bb.956:
	s_cmp_gt_i32 s7, 6
	s_cbranch_scc0 .LBB35_959
; %bb.957:
	s_wait_loadcnt 0x0
	global_load_b64 v[0:1], v[4:5], off
	s_mov_b32 s7, 0
	s_wait_loadcnt 0x0
	v_cvt_f32_f64_e32 v0, v[0:1]
	s_delay_alu instid0(VALU_DEP_1) | instskip(SKIP_1) | instid1(VALU_DEP_2)
	v_bfe_u32 v1, v0, 16, 1
	v_cmp_o_f32_e32 vcc_lo, v0, v0
	v_add3_u32 v1, v0, v1, 0x7fff
	s_delay_alu instid0(VALU_DEP_1) | instskip(NEXT) | instid1(VALU_DEP_1)
	v_lshrrev_b32_e32 v1, 16, v1
	v_cndmask_b32_e32 v6, 0x7fc0, v1, vcc_lo
	s_branch .LBB35_960
.LBB35_958:
	s_mov_b32 s7, -1
                                        ; implicit-def: $vgpr6
	s_branch .LBB35_963
.LBB35_959:
	s_mov_b32 s7, -1
                                        ; implicit-def: $vgpr6
.LBB35_960:
	s_delay_alu instid0(SALU_CYCLE_1)
	s_and_not1_b32 vcc_lo, exec_lo, s7
	s_cbranch_vccnz .LBB35_962
; %bb.961:
	global_load_b32 v0, v[4:5], off
	s_wait_loadcnt 0x0
	v_bfe_u32 v1, v0, 16, 1
	v_cmp_o_f32_e32 vcc_lo, v0, v0
	s_delay_alu instid0(VALU_DEP_2) | instskip(NEXT) | instid1(VALU_DEP_1)
	v_add3_u32 v1, v0, v1, 0x7fff
	v_lshrrev_b32_e32 v1, 16, v1
	s_delay_alu instid0(VALU_DEP_1)
	v_cndmask_b32_e32 v6, 0x7fc0, v1, vcc_lo
.LBB35_962:
	s_mov_b32 s7, 0
.LBB35_963:
	s_delay_alu instid0(SALU_CYCLE_1)
	s_and_not1_b32 vcc_lo, exec_lo, s7
	s_cbranch_vccnz .LBB35_965
; %bb.964:
	global_load_u16 v0, v[4:5], off
	s_wait_loadcnt 0x0
	v_cvt_f32_f16_e32 v1, v0
	v_cmp_o_f16_e32 vcc_lo, v0, v0
	s_delay_alu instid0(VALU_DEP_2) | instskip(NEXT) | instid1(VALU_DEP_1)
	v_bfe_u32 v3, v1, 16, 1
	v_add3_u32 v1, v1, v3, 0x7fff
	s_delay_alu instid0(VALU_DEP_1) | instskip(NEXT) | instid1(VALU_DEP_1)
	v_lshrrev_b32_e32 v1, 16, v1
	v_cndmask_b32_e32 v6, 0x7fc0, v1, vcc_lo
.LBB35_965:
	s_cbranch_execnz .LBB35_984
.LBB35_966:
	s_sext_i32_i16 s7, s13
	s_delay_alu instid0(SALU_CYCLE_1)
	s_cmp_lt_i32 s7, 2
	s_cbranch_scc1 .LBB35_970
; %bb.967:
	s_cmp_lt_i32 s7, 3
	s_cbranch_scc1 .LBB35_971
; %bb.968:
	s_cmp_gt_i32 s7, 3
	s_cbranch_scc0 .LBB35_972
; %bb.969:
	s_wait_loadcnt 0x0
	global_load_b64 v[0:1], v[4:5], off
	s_mov_b32 s7, 0
	s_wait_loadcnt 0x0
	v_xor_b32_e32 v3, v0, v1
	v_cls_i32_e32 v6, v1
	s_delay_alu instid0(VALU_DEP_2) | instskip(NEXT) | instid1(VALU_DEP_1)
	v_ashrrev_i32_e32 v3, 31, v3
	v_add_nc_u32_e32 v3, 32, v3
	s_delay_alu instid0(VALU_DEP_1) | instskip(NEXT) | instid1(VALU_DEP_1)
	v_add_min_u32_e64 v3, v6, -1, v3
	v_lshlrev_b64_e32 v[0:1], v3, v[0:1]
	s_delay_alu instid0(VALU_DEP_1) | instskip(NEXT) | instid1(VALU_DEP_1)
	v_min_u32_e32 v0, 1, v0
	v_dual_sub_nc_u32 v1, 32, v3 :: v_dual_bitop2_b32 v0, v1, v0 bitop3:0x54
	s_delay_alu instid0(VALU_DEP_1) | instskip(NEXT) | instid1(VALU_DEP_1)
	v_cvt_f32_i32_e32 v0, v0
	v_ldexp_f32 v0, v0, v1
	s_delay_alu instid0(VALU_DEP_1) | instskip(NEXT) | instid1(VALU_DEP_1)
	v_bfe_u32 v1, v0, 16, 1
	v_add3_u32 v0, v0, v1, 0x7fff
	s_delay_alu instid0(VALU_DEP_1)
	v_lshrrev_b32_e32 v6, 16, v0
	s_branch .LBB35_973
.LBB35_970:
                                        ; implicit-def: $vgpr6
	s_branch .LBB35_979
.LBB35_971:
	s_mov_b32 s7, -1
                                        ; implicit-def: $vgpr6
	s_branch .LBB35_976
.LBB35_972:
	s_mov_b32 s7, -1
                                        ; implicit-def: $vgpr6
.LBB35_973:
	s_delay_alu instid0(SALU_CYCLE_1)
	s_and_not1_b32 vcc_lo, exec_lo, s7
	s_cbranch_vccnz .LBB35_975
; %bb.974:
	global_load_b32 v0, v[4:5], off
	s_wait_loadcnt 0x0
	v_cvt_f32_i32_e32 v0, v0
	s_delay_alu instid0(VALU_DEP_1) | instskip(NEXT) | instid1(VALU_DEP_1)
	v_bfe_u32 v1, v0, 16, 1
	v_add3_u32 v0, v0, v1, 0x7fff
	s_delay_alu instid0(VALU_DEP_1)
	v_lshrrev_b32_e32 v6, 16, v0
.LBB35_975:
	s_mov_b32 s7, 0
.LBB35_976:
	s_delay_alu instid0(SALU_CYCLE_1)
	s_and_not1_b32 vcc_lo, exec_lo, s7
	s_cbranch_vccnz .LBB35_978
; %bb.977:
	global_load_i16 v0, v[4:5], off
	s_wait_loadcnt 0x0
	v_cvt_f32_i32_e32 v0, v0
	s_delay_alu instid0(VALU_DEP_1) | instskip(NEXT) | instid1(VALU_DEP_1)
	v_bfe_u32 v1, v0, 16, 1
	v_add3_u32 v0, v0, v1, 0x7fff
	s_delay_alu instid0(VALU_DEP_1)
	v_lshrrev_b32_e32 v6, 16, v0
.LBB35_978:
	s_cbranch_execnz .LBB35_984
.LBB35_979:
	s_sext_i32_i16 s7, s13
	s_delay_alu instid0(SALU_CYCLE_1)
	s_cmp_gt_i32 s7, 0
	s_mov_b32 s7, 0
	s_cbranch_scc0 .LBB35_981
; %bb.980:
	global_load_i8 v0, v[4:5], off
	s_wait_loadcnt 0x0
	v_cvt_f32_i32_e32 v0, v0
	s_delay_alu instid0(VALU_DEP_1) | instskip(NEXT) | instid1(VALU_DEP_1)
	v_bfe_u32 v1, v0, 16, 1
	v_add3_u32 v0, v0, v1, 0x7fff
	s_delay_alu instid0(VALU_DEP_1)
	v_lshrrev_b32_e32 v6, 16, v0
	s_branch .LBB35_982
.LBB35_981:
	s_mov_b32 s7, -1
                                        ; implicit-def: $vgpr6
.LBB35_982:
	s_delay_alu instid0(SALU_CYCLE_1)
	s_and_not1_b32 vcc_lo, exec_lo, s7
	s_cbranch_vccnz .LBB35_984
; %bb.983:
	global_load_u8 v0, v[4:5], off
	s_wait_loadcnt 0x0
	v_cvt_f32_ubyte0_e32 v0, v0
	s_delay_alu instid0(VALU_DEP_1) | instskip(NEXT) | instid1(VALU_DEP_1)
	v_bfe_u32 v1, v0, 16, 1
	v_add3_u32 v0, v0, v1, 0x7fff
	s_delay_alu instid0(VALU_DEP_1)
	v_lshrrev_b32_e32 v6, 16, v0
.LBB35_984:
	s_or_b32 s0, s0, exec_lo
.LBB35_985:
	s_wait_xcnt 0x0
	s_or_b32 exec_lo, exec_lo, s1
	s_mov_b32 s9, 0
	s_mov_b32 s8, 0
                                        ; implicit-def: $sgpr1
                                        ; implicit-def: $vgpr0_vgpr1
                                        ; implicit-def: $vgpr3
	s_and_saveexec_b32 s7, s0
	s_cbranch_execz .LBB35_1064
; %bb.986:
	s_wait_loadcnt 0x0
	v_lshlrev_b32_e32 v0, 16, v6
                                        ; implicit-def: $vgpr4
                                        ; implicit-def: $vgpr3
	s_mov_b32 s1, exec_lo
	s_delay_alu instid0(VALU_DEP_1)
	v_and_b32_e32 v1, 0x7fffffff, v0
	v_cmpx_ngt_f32_e64 0x48000000, |v0|
	s_xor_b32 s8, exec_lo, s1
	s_cbranch_execz .LBB35_988
; %bb.987:
	s_mov_b32 s0, 0x7fffff
	v_mov_b32_e32 v5, 0
	v_and_or_b32 v4, v1, s0, 0x800000
	s_mov_b64 s[0:1], 0xfe5163ab
	v_lshrrev_b32_e32 v3, 23, v1
	s_delay_alu instid0(VALU_DEP_2) | instskip(NEXT) | instid1(VALU_DEP_1)
	v_mul_u64_e32 v[6:7], s[0:1], v[4:5]
	v_dual_mov_b32 v8, v7 :: v_dual_mov_b32 v9, v5
	v_dual_mov_b32 v11, v5 :: v_dual_mov_b32 v13, v5
	;; [unrolled: 1-line block ×3, first 2 shown]
	s_delay_alu instid0(VALU_DEP_3) | instskip(NEXT) | instid1(VALU_DEP_1)
	v_mad_nc_u64_u32 v[8:9], 0x3c439041, v4, v[8:9]
	v_mov_b32_e32 v10, v9
	s_delay_alu instid0(VALU_DEP_1) | instskip(NEXT) | instid1(VALU_DEP_1)
	v_mad_nc_u64_u32 v[10:11], 0xdb629599, v4, v[10:11]
	v_mov_b32_e32 v12, v11
	s_delay_alu instid0(VALU_DEP_1) | instskip(NEXT) | instid1(VALU_DEP_1)
	v_mad_nc_u64_u32 v[12:13], 0xf534ddc0, v4, v[12:13]
	v_mov_b32_e32 v14, v13
	s_delay_alu instid0(VALU_DEP_1) | instskip(NEXT) | instid1(VALU_DEP_1)
	v_mad_nc_u64_u32 v[14:15], 0xfc2757d1, v4, v[14:15]
	v_dual_mov_b32 v17, v5 :: v_dual_mov_b32 v16, v15
	s_delay_alu instid0(VALU_DEP_1) | instskip(NEXT) | instid1(VALU_DEP_1)
	v_mad_nc_u64_u32 v[16:17], 0x4e441529, v4, v[16:17]
	v_dual_mov_b32 v18, v17 :: v_dual_add_nc_u32 v3, 0xffffff88, v3
	s_delay_alu instid0(VALU_DEP_1) | instskip(NEXT) | instid1(VALU_DEP_2)
	v_cmp_lt_u32_e32 vcc_lo, 63, v3
	v_mad_nc_u64_u32 v[4:5], 0xa2f9836e, v4, v[18:19]
	v_cndmask_b32_e64 v7, 0, 0xffffffc0, vcc_lo
	v_dual_cndmask_b32 v9, v16, v12 :: v_dual_cndmask_b32 v6, v10, v6
	s_delay_alu instid0(VALU_DEP_2) | instskip(NEXT) | instid1(VALU_DEP_1)
	v_add_nc_u32_e32 v3, v7, v3
	v_cmp_lt_u32_e64 s0, 31, v3
	v_dual_cndmask_b32 v4, v4, v14 :: v_dual_cndmask_b32 v5, v5, v16
	s_delay_alu instid0(VALU_DEP_2) | instskip(NEXT) | instid1(VALU_DEP_1)
	v_cndmask_b32_e64 v7, 0, 0xffffffe0, s0
	v_add_nc_u32_e32 v3, v7, v3
	s_delay_alu instid0(VALU_DEP_1) | instskip(NEXT) | instid1(VALU_DEP_1)
	v_cmp_lt_u32_e64 s1, 31, v3
	v_cndmask_b32_e64 v7, 0, 0xffffffe0, s1
	s_delay_alu instid0(VALU_DEP_1) | instskip(SKIP_2) | instid1(VALU_DEP_3)
	v_dual_cndmask_b32 v11, v14, v10, vcc_lo :: v_dual_add_nc_u32 v3, v7, v3
	v_cndmask_b32_e32 v7, v12, v8, vcc_lo
	v_dual_cndmask_b32 v8, v4, v9, s0 :: v_dual_cndmask_b32 v4, v5, v4, s0
	v_cndmask_b32_e64 v5, v9, v11, s0
	s_delay_alu instid0(VALU_DEP_4) | instskip(NEXT) | instid1(VALU_DEP_4)
	v_sub_nc_u32_e32 v9, 32, v3
	v_cndmask_b32_e64 v11, v11, v7, s0
	v_cmp_eq_u32_e32 vcc_lo, 0, v3
	v_cndmask_b32_e64 v4, v4, v8, s1
	s_delay_alu instid0(VALU_DEP_3) | instskip(NEXT) | instid1(VALU_DEP_1)
	v_dual_cndmask_b32 v8, v8, v5, s1 :: v_dual_cndmask_b32 v5, v5, v11, s1
	v_alignbit_b32 v12, v4, v8, v9
	s_delay_alu instid0(VALU_DEP_2) | instskip(NEXT) | instid1(VALU_DEP_2)
	v_alignbit_b32 v10, v8, v5, v9
	v_dual_cndmask_b32 v3, v12, v4, vcc_lo :: v_dual_cndmask_b32 v4, v7, v6, s0
	s_delay_alu instid0(VALU_DEP_1) | instskip(NEXT) | instid1(VALU_DEP_1)
	v_bfe_u32 v7, v3, 29, 1
	v_dual_cndmask_b32 v6, v10, v8, vcc_lo :: v_dual_sub_nc_u32 v10, 0, v7
	s_delay_alu instid0(VALU_DEP_1) | instskip(NEXT) | instid1(VALU_DEP_1)
	v_alignbit_b32 v8, v3, v6, 30
	v_dual_cndmask_b32 v4, v11, v4, s1 :: v_dual_bitop2_b32 v8, v8, v10 bitop3:0x14
	s_delay_alu instid0(VALU_DEP_1) | instskip(NEXT) | instid1(VALU_DEP_1)
	v_alignbit_b32 v9, v5, v4, v9
	v_cndmask_b32_e32 v5, v9, v5, vcc_lo
	s_delay_alu instid0(VALU_DEP_3) | instskip(NEXT) | instid1(VALU_DEP_2)
	v_clz_i32_u32_e32 v9, v8
	v_alignbit_b32 v4, v5, v4, 30
	s_delay_alu instid0(VALU_DEP_2) | instskip(NEXT) | instid1(VALU_DEP_2)
	v_min_u32_e32 v9, 32, v9
	v_xor_b32_e32 v4, v4, v10
	v_alignbit_b32 v6, v6, v5, 30
	s_delay_alu instid0(VALU_DEP_1) | instskip(SKIP_1) | instid1(VALU_DEP_1)
	v_dual_lshlrev_b32 v11, 23, v9 :: v_dual_bitop2_b32 v5, v6, v10 bitop3:0x14
	v_dual_sub_nc_u32 v6, 31, v9 :: v_dual_lshrrev_b32 v10, 29, v3
	v_alignbit_b32 v8, v8, v5, v6
	v_alignbit_b32 v4, v5, v4, v6
	s_delay_alu instid0(VALU_DEP_3) | instskip(NEXT) | instid1(VALU_DEP_2)
	v_lshlrev_b32_e32 v5, 31, v10
	v_alignbit_b32 v6, v8, v4, 9
	s_delay_alu instid0(VALU_DEP_2) | instskip(NEXT) | instid1(VALU_DEP_2)
	v_dual_lshrrev_b32 v8, 9, v8 :: v_dual_bitop2_b32 v10, 0.5, v5 bitop3:0x54
	v_clz_i32_u32_e32 v12, v6
	s_delay_alu instid0(VALU_DEP_2) | instskip(SKIP_1) | instid1(VALU_DEP_3)
	v_sub_nc_u32_e32 v10, v10, v11
	v_or_b32_e32 v5, 0x33000000, v5
	v_min_u32_e32 v11, 32, v12
	s_delay_alu instid0(VALU_DEP_1) | instskip(NEXT) | instid1(VALU_DEP_4)
	v_add_lshl_u32 v9, v11, v9, 23
	v_or_b32_e32 v8, v8, v10
	v_not_b32_e32 v10, v11
	s_delay_alu instid0(VALU_DEP_2) | instskip(NEXT) | instid1(VALU_DEP_2)
	v_dual_mul_f32 v12, 0x3fc90fda, v8 :: v_dual_sub_nc_u32 v5, v5, v9
	v_alignbit_b32 v4, v6, v4, v10
	s_delay_alu instid0(VALU_DEP_2) | instskip(NEXT) | instid1(VALU_DEP_2)
	v_fma_f32 v6, 0x3fc90fda, v8, -v12
	v_lshrrev_b32_e32 v4, 9, v4
	s_delay_alu instid0(VALU_DEP_2) | instskip(NEXT) | instid1(VALU_DEP_2)
	v_fmamk_f32 v6, v8, 0x33a22168, v6
	v_or_b32_e32 v4, v5, v4
	s_delay_alu instid0(VALU_DEP_1) | instskip(NEXT) | instid1(VALU_DEP_1)
	v_fmac_f32_e32 v6, 0x3fc90fda, v4
	v_dual_add_f32 v3, v12, v6 :: v_dual_lshrrev_b32 v4, 30, v3
	s_delay_alu instid0(VALU_DEP_1)
	v_add_nc_u32_e32 v4, v7, v4
.LBB35_988:
	s_and_not1_saveexec_b32 s0, s8
; %bb.989:
	v_mul_f32_e64 v3, 0x3f22f983, |v0|
	s_delay_alu instid0(VALU_DEP_1) | instskip(NEXT) | instid1(VALU_DEP_1)
	v_rndne_f32_e32 v4, v3
	v_fma_f32 v3, 0xbfc90fda, v4, |v0|
	s_delay_alu instid0(VALU_DEP_1) | instskip(NEXT) | instid1(VALU_DEP_1)
	v_fmamk_f32 v3, v4, 0xb3a22168, v3
	v_fmamk_f32 v3, v4, 0xa7c234c4, v3
	v_cvt_i32_f32_e32 v4, v4
; %bb.990:
	s_or_b32 exec_lo, exec_lo, s0
	s_delay_alu instid0(VALU_DEP_1) | instskip(SKIP_3) | instid1(VALU_DEP_2)
	v_dual_mul_f32 v5, v3, v3 :: v_dual_bitop2_b32 v8, 1, v4 bitop3:0x40
	s_mov_b32 s0, 0xb94c1982
	s_mov_b32 s1, 0x37d75334
	v_lshlrev_b32_e32 v4, 30, v4
	v_fmaak_f32 v6, s0, v5, 0x3c0881c4
	v_cmp_eq_u32_e32 vcc_lo, 0, v8
	s_mov_b32 s0, s18
	s_delay_alu instid0(VALU_DEP_3) | instskip(NEXT) | instid1(VALU_DEP_3)
	v_bitop3_b32 v1, v1, v4, 0x80000000 bitop3:0x78
	v_fmaak_f32 v6, v5, v6, 0xbe2aaa9d
	v_fmaak_f32 v7, s1, v5, 0xbab64f3b
	s_and_b32 s1, s34, 0xff
	s_delay_alu instid0(SALU_CYCLE_1) | instskip(NEXT) | instid1(VALU_DEP_1)
	s_cmp_lt_i32 s1, 11
	v_dual_mul_f32 v6, v5, v6 :: v_dual_fmaak_f32 v7, v5, v7, 0x3d2aabf7
	s_delay_alu instid0(VALU_DEP_1) | instskip(NEXT) | instid1(VALU_DEP_2)
	v_fmac_f32_e32 v3, v3, v6
	v_fmaak_f32 v7, v5, v7, 0xbf000004
	s_delay_alu instid0(VALU_DEP_1) | instskip(NEXT) | instid1(VALU_DEP_1)
	v_fma_f32 v5, v5, v7, 1.0
	v_cndmask_b32_e32 v3, v5, v3, vcc_lo
	v_cmp_class_f32_e64 vcc_lo, v0, 0x1f8
	s_delay_alu instid0(VALU_DEP_2) | instskip(NEXT) | instid1(VALU_DEP_1)
	v_xor3_b32 v1, v1, v3, v0
	v_dual_mov_b32 v3, 0 :: v_dual_cndmask_b32 v4, 0x7fc00000, v1
	s_delay_alu instid0(VALU_DEP_1) | instskip(SKIP_1) | instid1(VALU_DEP_2)
	v_bfe_u32 v0, v4, 16, 1
	v_cmp_o_f32_e32 vcc_lo, v4, v4
	v_add3_u32 v0, v4, v0, 0x7fff
	s_delay_alu instid0(VALU_DEP_1) | instskip(SKIP_2) | instid1(VALU_DEP_2)
	v_lshrrev_b32_e32 v5, 16, v0
	v_add_nc_u64_e32 v[0:1], s[4:5], v[2:3]
	s_mov_b32 s5, -1
	v_cndmask_b32_e32 v3, 0x7fc0, v5, vcc_lo
	s_cbranch_scc1 .LBB35_1068
; %bb.991:
	s_and_b32 s4, 0xffff, s1
	s_mov_b32 s0, s18
	s_cmp_gt_i32 s4, 25
	s_cbranch_scc0 .LBB35_1024
; %bb.992:
	s_cmp_gt_i32 s4, 28
	s_mov_b32 s0, s18
	s_cbranch_scc0 .LBB35_1008
; %bb.993:
	s_cmp_gt_i32 s4, 43
	s_mov_b32 s0, s18
	;; [unrolled: 4-line block ×3, first 2 shown]
	s_cbranch_scc0 .LBB35_998
; %bb.995:
	s_cmp_eq_u32 s4, 46
	s_mov_b32 s0, -1
	s_cbranch_scc0 .LBB35_997
; %bb.996:
	v_and_b32_e32 v2, 0xffff, v3
	s_mov_b32 s0, 0
	global_store_b32 v[0:1], v2, off
.LBB35_997:
	s_mov_b32 s5, 0
.LBB35_998:
	s_delay_alu instid0(SALU_CYCLE_1)
	s_and_b32 vcc_lo, exec_lo, s5
	s_cbranch_vccz .LBB35_1003
; %bb.999:
	s_cmp_eq_u32 s4, 44
	s_mov_b32 s0, -1
	s_cbranch_scc0 .LBB35_1003
; %bb.1000:
	s_wait_xcnt 0x0
	v_and_b32_e32 v2, 0xffff, v3
	v_mov_b32_e32 v4, 0xff
	s_mov_b32 s5, exec_lo
	s_delay_alu instid0(VALU_DEP_2) | instskip(NEXT) | instid1(VALU_DEP_1)
	v_bfe_u32 v5, v2, 7, 8
	v_cmpx_ne_u32_e32 0xff, v5
	s_cbranch_execz .LBB35_1002
; %bb.1001:
	v_dual_lshlrev_b32 v4, 16, v2 :: v_dual_bitop2_b32 v6, 64, v2 bitop3:0x40
	v_lshrrev_b32_e32 v2, 7, v2
	s_delay_alu instid0(VALU_DEP_2) | instskip(NEXT) | instid1(VALU_DEP_3)
	v_and_or_b32 v4, 0x3f0000, v4, v5
	v_cmp_ne_u32_e32 vcc_lo, 0, v6
	s_delay_alu instid0(VALU_DEP_2) | instskip(SKIP_1) | instid1(SALU_CYCLE_1)
	v_cmp_ne_u32_e64 s0, 0, v4
	s_and_b32 s0, vcc_lo, s0
	v_cndmask_b32_e64 v4, 0, 1, s0
	s_delay_alu instid0(VALU_DEP_1)
	v_add_nc_u32_e32 v4, v2, v4
.LBB35_1002:
	s_or_b32 exec_lo, exec_lo, s5
	s_mov_b32 s0, 0
	global_store_b8 v[0:1], v4, off
.LBB35_1003:
	s_mov_b32 s5, 0
.LBB35_1004:
	s_delay_alu instid0(SALU_CYCLE_1)
	s_and_b32 vcc_lo, exec_lo, s5
	s_cbranch_vccz .LBB35_1007
; %bb.1005:
	s_cmp_eq_u32 s4, 29
	s_mov_b32 s0, -1
	s_cbranch_scc0 .LBB35_1007
; %bb.1006:
	s_wait_xcnt 0x0
	v_lshlrev_b32_e32 v2, 16, v3
	s_mov_b32 s0, 0
	s_delay_alu instid0(VALU_DEP_1) | instskip(NEXT) | instid1(VALU_DEP_1)
	v_trunc_f32_e32 v2, v2
	v_mul_f32_e32 v4, 0x2f800000, v2
	s_delay_alu instid0(VALU_DEP_1) | instskip(NEXT) | instid1(VALU_DEP_1)
	v_floor_f32_e32 v4, v4
	v_fmamk_f32 v2, v4, 0xcf800000, v2
	v_cvt_u32_f32_e32 v5, v4
	s_delay_alu instid0(VALU_DEP_2)
	v_cvt_u32_f32_e32 v4, v2
	global_store_b64 v[0:1], v[4:5], off
.LBB35_1007:
	s_mov_b32 s5, 0
.LBB35_1008:
	s_delay_alu instid0(SALU_CYCLE_1)
	s_and_b32 vcc_lo, exec_lo, s5
	s_cbranch_vccz .LBB35_1023
; %bb.1009:
	s_cmp_lt_i32 s4, 27
	s_mov_b32 s5, -1
	s_cbranch_scc1 .LBB35_1015
; %bb.1010:
	s_cmp_gt_i32 s4, 27
	s_cbranch_scc0 .LBB35_1012
; %bb.1011:
	s_wait_xcnt 0x0
	v_lshlrev_b32_e32 v2, 16, v3
	s_mov_b32 s5, 0
	s_delay_alu instid0(VALU_DEP_1)
	v_cvt_u32_f32_e32 v2, v2
	global_store_b32 v[0:1], v2, off
.LBB35_1012:
	s_and_not1_b32 vcc_lo, exec_lo, s5
	s_cbranch_vccnz .LBB35_1014
; %bb.1013:
	s_wait_xcnt 0x0
	v_lshlrev_b32_e32 v2, 16, v3
	s_delay_alu instid0(VALU_DEP_1)
	v_cvt_u32_f32_e32 v2, v2
	global_store_b16 v[0:1], v2, off
.LBB35_1014:
	s_mov_b32 s5, 0
.LBB35_1015:
	s_delay_alu instid0(SALU_CYCLE_1)
	s_and_not1_b32 vcc_lo, exec_lo, s5
	s_cbranch_vccnz .LBB35_1023
; %bb.1016:
	s_wait_xcnt 0x0
	v_dual_mov_b32 v6, 0x80 :: v_dual_lshlrev_b32 v5, 16, v3
	s_mov_b32 s5, exec_lo
	s_delay_alu instid0(VALU_DEP_1) | instskip(NEXT) | instid1(VALU_DEP_1)
	v_and_b32_e32 v4, 0x7fffffff, v5
	v_cmpx_gt_u32_e32 0x43800000, v4
	s_cbranch_execz .LBB35_1022
; %bb.1017:
	v_and_b32_e32 v2, 0xffff, v3
	v_cmp_lt_u32_e32 vcc_lo, 0x3bffffff, v4
	s_mov_b32 s8, 0
                                        ; implicit-def: $vgpr4
	s_and_saveexec_b32 s9, vcc_lo
	s_delay_alu instid0(SALU_CYCLE_1)
	s_xor_b32 s9, exec_lo, s9
	s_cbranch_execz .LBB35_1183
; %bb.1018:
	v_bfe_u32 v4, v2, 4, 1
	s_mov_b32 s8, exec_lo
	s_delay_alu instid0(VALU_DEP_1) | instskip(NEXT) | instid1(VALU_DEP_1)
	v_add3_u32 v4, v5, v4, 0x487ffff
                                        ; implicit-def: $vgpr5
	v_lshrrev_b32_e32 v4, 20, v4
	s_and_not1_saveexec_b32 s9, s9
	s_cbranch_execnz .LBB35_1184
.LBB35_1019:
	s_or_b32 exec_lo, exec_lo, s9
	v_mov_b32_e32 v6, 0
	s_and_saveexec_b32 s9, s8
.LBB35_1020:
	v_lshrrev_b32_e32 v2, 8, v2
	s_delay_alu instid0(VALU_DEP_1)
	v_and_or_b32 v6, 0x80, v2, v4
.LBB35_1021:
	s_or_b32 exec_lo, exec_lo, s9
.LBB35_1022:
	s_delay_alu instid0(SALU_CYCLE_1)
	s_or_b32 exec_lo, exec_lo, s5
	global_store_b8 v[0:1], v6, off
.LBB35_1023:
	s_mov_b32 s5, 0
.LBB35_1024:
	s_delay_alu instid0(SALU_CYCLE_1)
	s_and_b32 vcc_lo, exec_lo, s5
	s_mov_b32 s5, 0
	s_cbranch_vccz .LBB35_1067
; %bb.1025:
	s_cmp_gt_i32 s4, 22
	s_mov_b32 s8, -1
	s_cbranch_scc0 .LBB35_1057
; %bb.1026:
	s_cmp_lt_i32 s4, 24
	s_cbranch_scc1 .LBB35_1046
; %bb.1027:
	s_cmp_gt_i32 s4, 24
	s_cbranch_scc0 .LBB35_1035
; %bb.1028:
	s_wait_xcnt 0x0
	v_dual_mov_b32 v6, 0x80 :: v_dual_lshlrev_b32 v5, 16, v3
	s_mov_b32 s8, exec_lo
	s_delay_alu instid0(VALU_DEP_1) | instskip(NEXT) | instid1(VALU_DEP_1)
	v_and_b32_e32 v4, 0x7fffffff, v5
	v_cmpx_gt_u32_e32 0x47800000, v4
	s_cbranch_execz .LBB35_1034
; %bb.1029:
	v_and_b32_e32 v2, 0xffff, v3
	v_cmp_lt_u32_e32 vcc_lo, 0x37ffffff, v4
	s_mov_b32 s9, 0
                                        ; implicit-def: $vgpr4
	s_and_saveexec_b32 s10, vcc_lo
	s_delay_alu instid0(SALU_CYCLE_1)
	s_xor_b32 s10, exec_lo, s10
	s_cbranch_execz .LBB35_1313
; %bb.1030:
	v_bfe_u32 v4, v2, 5, 1
	s_mov_b32 s9, exec_lo
	s_delay_alu instid0(VALU_DEP_1) | instskip(NEXT) | instid1(VALU_DEP_1)
	v_add3_u32 v4, v5, v4, 0x88fffff
                                        ; implicit-def: $vgpr5
	v_lshrrev_b32_e32 v4, 21, v4
	s_and_not1_saveexec_b32 s10, s10
	s_cbranch_execnz .LBB35_1314
.LBB35_1031:
	s_or_b32 exec_lo, exec_lo, s10
	v_mov_b32_e32 v6, 0
	s_and_saveexec_b32 s10, s9
.LBB35_1032:
	v_lshrrev_b32_e32 v2, 8, v2
	s_delay_alu instid0(VALU_DEP_1)
	v_and_or_b32 v6, 0x80, v2, v4
.LBB35_1033:
	s_or_b32 exec_lo, exec_lo, s10
.LBB35_1034:
	s_delay_alu instid0(SALU_CYCLE_1)
	s_or_b32 exec_lo, exec_lo, s8
	s_mov_b32 s8, 0
	global_store_b8 v[0:1], v6, off
.LBB35_1035:
	s_and_b32 vcc_lo, exec_lo, s8
	s_cbranch_vccz .LBB35_1045
; %bb.1036:
	s_wait_xcnt 0x0
	v_lshlrev_b32_e32 v5, 16, v3
	v_and_b32_e32 v2, 0xffff, v3
	s_mov_b32 s8, exec_lo
                                        ; implicit-def: $vgpr4
	s_delay_alu instid0(VALU_DEP_2) | instskip(NEXT) | instid1(VALU_DEP_1)
	v_and_b32_e32 v6, 0x7fffffff, v5
	v_cmpx_gt_u32_e32 0x43f00000, v6
	s_xor_b32 s8, exec_lo, s8
	s_cbranch_execz .LBB35_1042
; %bb.1037:
	s_mov_b32 s9, exec_lo
                                        ; implicit-def: $vgpr4
	v_cmpx_lt_u32_e32 0x3c7fffff, v6
	s_xor_b32 s9, exec_lo, s9
; %bb.1038:
	v_bfe_u32 v4, v2, 4, 1
	s_delay_alu instid0(VALU_DEP_1) | instskip(NEXT) | instid1(VALU_DEP_1)
	v_add3_u32 v4, v5, v4, 0x407ffff
	v_and_b32_e32 v5, 0xff00000, v4
	v_lshrrev_b32_e32 v4, 20, v4
	s_delay_alu instid0(VALU_DEP_2) | instskip(NEXT) | instid1(VALU_DEP_2)
	v_cmp_ne_u32_e32 vcc_lo, 0x7f00000, v5
                                        ; implicit-def: $vgpr5
	v_cndmask_b32_e32 v4, 0x7e, v4, vcc_lo
; %bb.1039:
	s_and_not1_saveexec_b32 s9, s9
; %bb.1040:
	v_add_f32_e64 v4, 0x46800000, |v5|
; %bb.1041:
	s_or_b32 exec_lo, exec_lo, s9
                                        ; implicit-def: $vgpr6
.LBB35_1042:
	s_and_not1_saveexec_b32 s8, s8
; %bb.1043:
	v_mov_b32_e32 v4, 0x7f
	v_cmp_lt_u32_e32 vcc_lo, 0x7f800000, v6
	s_delay_alu instid0(VALU_DEP_2)
	v_cndmask_b32_e32 v4, 0x7e, v4, vcc_lo
; %bb.1044:
	s_or_b32 exec_lo, exec_lo, s8
	v_lshrrev_b32_e32 v2, 8, v2
	s_delay_alu instid0(VALU_DEP_1)
	v_and_or_b32 v2, 0x80, v2, v4
	global_store_b8 v[0:1], v2, off
.LBB35_1045:
	s_mov_b32 s8, 0
.LBB35_1046:
	s_delay_alu instid0(SALU_CYCLE_1)
	s_and_not1_b32 vcc_lo, exec_lo, s8
	s_cbranch_vccnz .LBB35_1056
; %bb.1047:
	s_wait_xcnt 0x0
	v_lshlrev_b32_e32 v5, 16, v3
	v_and_b32_e32 v2, 0xffff, v3
	s_mov_b32 s8, exec_lo
                                        ; implicit-def: $vgpr4
	s_delay_alu instid0(VALU_DEP_2) | instskip(NEXT) | instid1(VALU_DEP_1)
	v_and_b32_e32 v6, 0x7fffffff, v5
	v_cmpx_gt_u32_e32 0x47800000, v6
	s_xor_b32 s8, exec_lo, s8
	s_cbranch_execz .LBB35_1053
; %bb.1048:
	s_mov_b32 s9, exec_lo
                                        ; implicit-def: $vgpr4
	v_cmpx_lt_u32_e32 0x387fffff, v6
	s_xor_b32 s9, exec_lo, s9
; %bb.1049:
	v_bfe_u32 v4, v2, 5, 1
	s_delay_alu instid0(VALU_DEP_1) | instskip(NEXT) | instid1(VALU_DEP_1)
	v_add3_u32 v4, v5, v4, 0x80fffff
                                        ; implicit-def: $vgpr5
	v_lshrrev_b32_e32 v4, 21, v4
; %bb.1050:
	s_and_not1_saveexec_b32 s9, s9
; %bb.1051:
	v_add_f32_e64 v4, 0x43000000, |v5|
; %bb.1052:
	s_or_b32 exec_lo, exec_lo, s9
                                        ; implicit-def: $vgpr6
.LBB35_1053:
	s_and_not1_saveexec_b32 s8, s8
; %bb.1054:
	v_mov_b32_e32 v4, 0x7f
	v_cmp_lt_u32_e32 vcc_lo, 0x7f800000, v6
	s_delay_alu instid0(VALU_DEP_2)
	v_cndmask_b32_e32 v4, 0x7c, v4, vcc_lo
; %bb.1055:
	s_or_b32 exec_lo, exec_lo, s8
	v_lshrrev_b32_e32 v2, 8, v2
	s_delay_alu instid0(VALU_DEP_1)
	v_and_or_b32 v2, 0x80, v2, v4
	global_store_b8 v[0:1], v2, off
.LBB35_1056:
	s_mov_b32 s8, 0
.LBB35_1057:
	s_delay_alu instid0(SALU_CYCLE_1)
	s_and_not1_b32 vcc_lo, exec_lo, s8
	s_mov_b32 s9, 0
	s_cbranch_vccnz .LBB35_1068
; %bb.1058:
	s_cmp_gt_i32 s4, 14
	s_mov_b32 s8, -1
	s_cbranch_scc0 .LBB35_1062
; %bb.1059:
	s_cmp_eq_u32 s4, 15
	s_mov_b32 s0, -1
	s_cbranch_scc0 .LBB35_1061
; %bb.1060:
	s_mov_b32 s0, 0
	global_store_b16 v[0:1], v3, off
.LBB35_1061:
	s_mov_b32 s8, 0
.LBB35_1062:
	s_delay_alu instid0(SALU_CYCLE_1)
	s_and_b32 vcc_lo, exec_lo, s8
	s_cbranch_vccz .LBB35_1068
; %bb.1063:
	s_cmp_lg_u32 s4, 11
	s_mov_b32 s9, -1
	s_cselect_b32 s4, -1, 0
	s_and_not1_b32 s0, s0, exec_lo
	s_and_b32 s4, s4, exec_lo
	s_delay_alu instid0(SALU_CYCLE_1)
	s_or_b32 s0, s0, s4
	s_branch .LBB35_1068
.LBB35_1064:
	s_or_b32 exec_lo, exec_lo, s7
	s_and_saveexec_b32 s0, s18
	s_cbranch_execnz .LBB35_1069
.LBB35_1065:
	s_or_b32 exec_lo, exec_lo, s0
	s_and_saveexec_b32 s0, s9
	s_delay_alu instid0(SALU_CYCLE_1)
	s_xor_b32 s0, exec_lo, s0
	s_cbranch_execz .LBB35_1070
.LBB35_1066:
	v_and_b32_e32 v2, 0x7fff, v3
	s_delay_alu instid0(VALU_DEP_1)
	v_cmp_ne_u16_e32 vcc_lo, 0, v2
	v_cndmask_b32_e64 v2, 0, 1, vcc_lo
	s_wait_loadcnt 0x0
	global_store_b8 v[0:1], v2, off
	s_wait_xcnt 0x0
	s_or_b32 exec_lo, exec_lo, s0
	s_and_saveexec_b32 s0, s8
	s_delay_alu instid0(SALU_CYCLE_1)
	s_xor_b32 s0, exec_lo, s0
	s_cbranch_execz .LBB35_1108
	s_branch .LBB35_1071
.LBB35_1067:
	s_mov_b32 s9, 0
.LBB35_1068:
	s_and_not1_b32 s4, s18, exec_lo
	s_and_b32 s0, s0, exec_lo
	s_and_b32 s8, s5, exec_lo
	s_and_b32 s9, s9, exec_lo
	s_or_b32 s18, s4, s0
	s_wait_xcnt 0x0
	s_or_b32 exec_lo, exec_lo, s7
	s_and_saveexec_b32 s0, s18
	s_cbranch_execz .LBB35_1065
.LBB35_1069:
	s_or_b32 s6, s6, exec_lo
	s_and_not1_b32 s9, s9, exec_lo
	s_trap 2
	s_or_b32 exec_lo, exec_lo, s0
	s_and_saveexec_b32 s0, s9
	s_delay_alu instid0(SALU_CYCLE_1)
	s_xor_b32 s0, exec_lo, s0
	s_cbranch_execnz .LBB35_1066
.LBB35_1070:
	s_or_b32 exec_lo, exec_lo, s0
	s_and_saveexec_b32 s0, s8
	s_delay_alu instid0(SALU_CYCLE_1)
	s_xor_b32 s0, exec_lo, s0
	s_cbranch_execz .LBB35_1108
.LBB35_1071:
	s_sext_i32_i16 s5, s1
	s_mov_b32 s4, -1
	s_cmp_lt_i32 s5, 5
	s_cbranch_scc1 .LBB35_1092
; %bb.1072:
	s_cmp_lt_i32 s5, 8
	s_cbranch_scc1 .LBB35_1082
; %bb.1073:
	;; [unrolled: 3-line block ×3, first 2 shown]
	s_cmp_gt_i32 s5, 9
	s_cbranch_scc0 .LBB35_1076
; %bb.1075:
	s_wait_loadcnt 0x0
	v_dual_lshlrev_b32 v2, 16, v3 :: v_dual_mov_b32 v6, 0
	s_mov_b32 s4, 0
	s_delay_alu instid0(VALU_DEP_1) | instskip(NEXT) | instid1(VALU_DEP_2)
	v_cvt_f64_f32_e32 v[4:5], v2
	v_mov_b32_e32 v7, v6
	global_store_b128 v[0:1], v[4:7], off
.LBB35_1076:
	s_and_not1_b32 vcc_lo, exec_lo, s4
	s_cbranch_vccnz .LBB35_1078
; %bb.1077:
	s_wait_xcnt 0x0
	v_dual_mov_b32 v5, 0 :: v_dual_lshlrev_b32 v4, 16, v3
	s_wait_loadcnt 0x0
	global_store_b64 v[0:1], v[4:5], off
.LBB35_1078:
	s_mov_b32 s4, 0
.LBB35_1079:
	s_delay_alu instid0(SALU_CYCLE_1)
	s_and_not1_b32 vcc_lo, exec_lo, s4
	s_cbranch_vccnz .LBB35_1081
; %bb.1080:
	v_lshlrev_b32_e32 v2, 16, v3
	s_delay_alu instid0(VALU_DEP_1) | instskip(NEXT) | instid1(VALU_DEP_1)
	v_cvt_f16_f32_e32 v2, v2
	v_and_b32_e32 v2, 0xffff, v2
	s_wait_loadcnt 0x0
	global_store_b32 v[0:1], v2, off
.LBB35_1081:
	s_mov_b32 s4, 0
.LBB35_1082:
	s_delay_alu instid0(SALU_CYCLE_1)
	s_and_not1_b32 vcc_lo, exec_lo, s4
	s_cbranch_vccnz .LBB35_1091
; %bb.1083:
	s_sext_i32_i16 s5, s1
	s_mov_b32 s4, -1
	s_cmp_lt_i32 s5, 6
	s_cbranch_scc1 .LBB35_1089
; %bb.1084:
	s_cmp_gt_i32 s5, 6
	s_cbranch_scc0 .LBB35_1086
; %bb.1085:
	s_wait_xcnt 0x0
	v_lshlrev_b32_e32 v2, 16, v3
	s_mov_b32 s4, 0
	s_delay_alu instid0(VALU_DEP_1)
	v_cvt_f64_f32_e32 v[4:5], v2
	s_wait_loadcnt 0x0
	global_store_b64 v[0:1], v[4:5], off
.LBB35_1086:
	s_and_not1_b32 vcc_lo, exec_lo, s4
	s_cbranch_vccnz .LBB35_1088
; %bb.1087:
	s_wait_xcnt 0x0
	v_lshlrev_b32_e32 v2, 16, v3
	s_wait_loadcnt 0x0
	global_store_b32 v[0:1], v2, off
.LBB35_1088:
	s_mov_b32 s4, 0
.LBB35_1089:
	s_delay_alu instid0(SALU_CYCLE_1)
	s_and_not1_b32 vcc_lo, exec_lo, s4
	s_cbranch_vccnz .LBB35_1091
; %bb.1090:
	s_wait_xcnt 0x0
	v_lshlrev_b32_e32 v2, 16, v3
	s_delay_alu instid0(VALU_DEP_1)
	v_cvt_f16_f32_e32 v2, v2
	s_wait_loadcnt 0x0
	global_store_b16 v[0:1], v2, off
.LBB35_1091:
	s_mov_b32 s4, 0
.LBB35_1092:
	s_delay_alu instid0(SALU_CYCLE_1)
	s_and_not1_b32 vcc_lo, exec_lo, s4
	s_cbranch_vccnz .LBB35_1108
; %bb.1093:
	s_sext_i32_i16 s5, s1
	s_mov_b32 s4, -1
	s_cmp_lt_i32 s5, 2
	s_cbranch_scc1 .LBB35_1103
; %bb.1094:
	s_cmp_lt_i32 s5, 3
	s_cbranch_scc1 .LBB35_1100
; %bb.1095:
	s_cmp_gt_i32 s5, 3
	s_cbranch_scc0 .LBB35_1097
; %bb.1096:
	s_wait_xcnt 0x0
	v_lshlrev_b32_e32 v2, 16, v3
	s_mov_b32 s4, 0
	s_delay_alu instid0(VALU_DEP_1) | instskip(NEXT) | instid1(VALU_DEP_1)
	v_trunc_f32_e32 v2, v2
	v_mul_f32_e64 v4, 0x2f800000, |v2|
	s_delay_alu instid0(VALU_DEP_1) | instskip(SKIP_2) | instid1(VALU_DEP_2)
	v_floor_f32_e32 v5, v4
	v_ashrrev_i32_e32 v4, 31, v2
	s_wait_loadcnt 0x0
	v_fma_f32 v6, 0xcf800000, v5, |v2|
	v_cvt_u32_f32_e32 v2, v5
	s_delay_alu instid0(VALU_DEP_3) | instskip(NEXT) | instid1(VALU_DEP_3)
	v_mov_b32_e32 v5, v4
	v_cvt_u32_f32_e32 v6, v6
	s_delay_alu instid0(VALU_DEP_3) | instskip(NEXT) | instid1(VALU_DEP_2)
	v_xor_b32_e32 v7, v2, v4
	v_xor_b32_e32 v6, v6, v4
	s_delay_alu instid0(VALU_DEP_1)
	v_sub_nc_u64_e32 v[4:5], v[6:7], v[4:5]
	global_store_b64 v[0:1], v[4:5], off
.LBB35_1097:
	s_and_not1_b32 vcc_lo, exec_lo, s4
	s_cbranch_vccnz .LBB35_1099
; %bb.1098:
	s_wait_xcnt 0x0
	v_lshlrev_b32_e32 v2, 16, v3
	s_delay_alu instid0(VALU_DEP_1)
	v_cvt_i32_f32_e32 v2, v2
	s_wait_loadcnt 0x0
	global_store_b32 v[0:1], v2, off
.LBB35_1099:
	s_mov_b32 s4, 0
.LBB35_1100:
	s_delay_alu instid0(SALU_CYCLE_1)
	s_and_not1_b32 vcc_lo, exec_lo, s4
	s_cbranch_vccnz .LBB35_1102
; %bb.1101:
	s_wait_xcnt 0x0
	v_lshlrev_b32_e32 v2, 16, v3
	s_delay_alu instid0(VALU_DEP_1)
	v_cvt_i32_f32_e32 v2, v2
	s_wait_loadcnt 0x0
	global_store_b16 v[0:1], v2, off
.LBB35_1102:
	s_mov_b32 s4, 0
.LBB35_1103:
	s_delay_alu instid0(SALU_CYCLE_1)
	s_and_not1_b32 vcc_lo, exec_lo, s4
	s_cbranch_vccnz .LBB35_1108
; %bb.1104:
	s_sext_i32_i16 s1, s1
	s_delay_alu instid0(SALU_CYCLE_1)
	s_cmp_gt_i32 s1, 0
	s_mov_b32 s1, -1
	s_cbranch_scc0 .LBB35_1106
; %bb.1105:
	s_wait_xcnt 0x0
	v_lshlrev_b32_e32 v2, 16, v3
	s_mov_b32 s1, 0
	s_delay_alu instid0(VALU_DEP_1)
	v_cvt_i32_f32_e32 v2, v2
	s_wait_loadcnt 0x0
	global_store_b8 v[0:1], v2, off
.LBB35_1106:
	s_and_not1_b32 vcc_lo, exec_lo, s1
	s_cbranch_vccnz .LBB35_1108
; %bb.1107:
	s_wait_xcnt 0x0
	v_lshlrev_b32_e32 v2, 16, v3
	s_delay_alu instid0(VALU_DEP_1) | instskip(NEXT) | instid1(VALU_DEP_1)
	v_trunc_f32_e32 v2, v2
	v_mul_f32_e64 v3, 0x2f800000, |v2|
	s_delay_alu instid0(VALU_DEP_1) | instskip(NEXT) | instid1(VALU_DEP_1)
	v_floor_f32_e32 v3, v3
	v_fma_f32 v3, 0xcf800000, v3, |v2|
	v_ashrrev_i32_e32 v2, 31, v2
	s_delay_alu instid0(VALU_DEP_2) | instskip(NEXT) | instid1(VALU_DEP_1)
	v_cvt_u32_f32_e32 v3, v3
	v_xor_b32_e32 v3, v3, v2
	s_delay_alu instid0(VALU_DEP_1)
	v_sub_nc_u32_e32 v2, v3, v2
	s_wait_loadcnt 0x0
	global_store_b8 v[0:1], v2, off
.LBB35_1108:
	s_wait_xcnt 0x0
	s_or_b32 exec_lo, exec_lo, s0
	s_delay_alu instid0(SALU_CYCLE_1)
	s_and_b32 s8, s6, exec_lo
                                        ; implicit-def: $vgpr9
                                        ; implicit-def: $vgpr0
.LBB35_1109:
	s_or_saveexec_b32 s9, s33
	s_mov_b32 s0, 0
                                        ; implicit-def: $vgpr2_vgpr3
                                        ; implicit-def: $sgpr1
                                        ; implicit-def: $vgpr1
	s_xor_b32 exec_lo, exec_lo, s9
	s_cbranch_execz .LBB35_2134
; %bb.1110:
	s_wait_loadcnt 0x0
	v_cndmask_b32_e64 v1, 0, 1, s31
	s_and_not1_b32 vcc_lo, exec_lo, s31
	s_cbranch_vccnz .LBB35_1116
; %bb.1111:
	s_cmp_lg_u32 s28, 0
	s_mov_b32 s10, 0
	s_cbranch_scc0 .LBB35_1117
; %bb.1112:
	s_min_u32 s1, s29, 15
	s_delay_alu instid0(SALU_CYCLE_1)
	s_add_co_i32 s1, s1, 1
	s_cmp_eq_u32 s29, 2
	s_cbranch_scc1 .LBB35_1118
; %bb.1113:
	v_dual_mov_b32 v6, 0 :: v_dual_mov_b32 v14, 0
	v_mov_b32_e32 v2, v0
	s_and_b32 s0, s1, 28
	s_add_nc_u64 s[4:5], s[2:3], 0xc4
	s_mov_b32 s11, 0
	s_mov_b64 s[6:7], s[2:3]
.LBB35_1114:                            ; =>This Inner Loop Header: Depth=1
	s_clause 0x1
	s_load_b256 s[12:19], s[6:7], 0x4
	s_load_b128 s[36:39], s[6:7], 0x24
	s_load_b256 s[20:27], s[4:5], 0x0
	s_add_co_i32 s11, s11, 4
	s_wait_xcnt 0x0
	s_add_nc_u64 s[6:7], s[6:7], 48
	s_cmp_lg_u32 s0, s11
	s_add_nc_u64 s[4:5], s[4:5], 32
	s_wait_kmcnt 0x0
	v_mul_hi_u32 v3, s13, v2
	s_delay_alu instid0(VALU_DEP_1) | instskip(NEXT) | instid1(VALU_DEP_1)
	v_add_nc_u32_e32 v3, v2, v3
	v_lshrrev_b32_e32 v3, s14, v3
	s_delay_alu instid0(VALU_DEP_1) | instskip(NEXT) | instid1(VALU_DEP_1)
	v_mul_hi_u32 v4, s16, v3
	v_add_nc_u32_e32 v4, v3, v4
	s_delay_alu instid0(VALU_DEP_1) | instskip(NEXT) | instid1(VALU_DEP_1)
	v_lshrrev_b32_e32 v4, s17, v4
	v_mul_hi_u32 v5, s19, v4
	s_delay_alu instid0(VALU_DEP_1) | instskip(SKIP_1) | instid1(VALU_DEP_1)
	v_add_nc_u32_e32 v5, v4, v5
	v_mul_lo_u32 v7, v3, s12
	v_sub_nc_u32_e32 v2, v2, v7
	v_mul_lo_u32 v7, v4, s15
	s_delay_alu instid0(VALU_DEP_4) | instskip(NEXT) | instid1(VALU_DEP_3)
	v_lshrrev_b32_e32 v5, s36, v5
	v_mad_u32 v10, v2, s21, v14
	v_mad_u32 v2, v2, s20, v6
	s_delay_alu instid0(VALU_DEP_4) | instskip(NEXT) | instid1(VALU_DEP_4)
	v_sub_nc_u32_e32 v3, v3, v7
	v_mul_hi_u32 v8, s38, v5
	v_mul_lo_u32 v6, v5, s18
	s_delay_alu instid0(VALU_DEP_1) | instskip(NEXT) | instid1(VALU_DEP_4)
	v_dual_add_nc_u32 v7, v5, v8 :: v_dual_sub_nc_u32 v4, v4, v6
	v_mad_u32 v8, v3, s23, v10
	v_mad_u32 v3, v3, s22, v2
	s_delay_alu instid0(VALU_DEP_3) | instskip(NEXT) | instid1(VALU_DEP_1)
	v_lshrrev_b32_e32 v2, s39, v7
	v_mul_lo_u32 v6, v2, s37
	s_delay_alu instid0(VALU_DEP_4) | instskip(NEXT) | instid1(VALU_DEP_4)
	v_mad_u32 v7, v4, s25, v8
	v_mad_u32 v3, v4, s24, v3
	s_delay_alu instid0(VALU_DEP_3) | instskip(NEXT) | instid1(VALU_DEP_1)
	v_sub_nc_u32_e32 v4, v5, v6
	v_mad_u32 v14, v4, s27, v7
	s_delay_alu instid0(VALU_DEP_3)
	v_mad_u32 v6, v4, s26, v3
	s_cbranch_scc1 .LBB35_1114
; %bb.1115:
	s_delay_alu instid0(VALU_DEP_2)
	v_mov_b32_e32 v7, v14
	s_and_b32 s6, s1, 3
	s_mov_b32 s1, 0
	s_cmp_eq_u32 s6, 0
	s_cbranch_scc0 .LBB35_1119
	s_branch .LBB35_1122
.LBB35_1116:
	s_mov_b32 s10, -1
                                        ; implicit-def: $vgpr14
                                        ; implicit-def: $vgpr6
	s_branch .LBB35_1122
.LBB35_1117:
	v_dual_mov_b32 v14, 0 :: v_dual_mov_b32 v6, 0
	s_branch .LBB35_1122
.LBB35_1118:
	v_mov_b64_e32 v[6:7], 0
	v_mov_b32_e32 v2, v0
                                        ; implicit-def: $vgpr14
	s_and_b32 s6, s1, 3
	s_mov_b32 s1, 0
	s_cmp_eq_u32 s6, 0
	s_cbranch_scc1 .LBB35_1122
.LBB35_1119:
	s_lshl_b32 s4, s0, 3
	s_mov_b32 s5, s1
	s_mul_u64 s[12:13], s[0:1], 12
	s_add_nc_u64 s[4:5], s[2:3], s[4:5]
	s_delay_alu instid0(SALU_CYCLE_1)
	s_add_nc_u64 s[0:1], s[4:5], 0xc4
	s_add_nc_u64 s[4:5], s[2:3], s[12:13]
.LBB35_1120:                            ; =>This Inner Loop Header: Depth=1
	s_load_b96 s[12:14], s[4:5], 0x4
	s_add_co_i32 s6, s6, -1
	s_wait_xcnt 0x0
	s_add_nc_u64 s[4:5], s[4:5], 12
	s_cmp_lg_u32 s6, 0
	s_wait_kmcnt 0x0
	v_mul_hi_u32 v3, s13, v2
	s_delay_alu instid0(VALU_DEP_1) | instskip(NEXT) | instid1(VALU_DEP_1)
	v_add_nc_u32_e32 v3, v2, v3
	v_lshrrev_b32_e32 v3, s14, v3
	s_load_b64 s[14:15], s[0:1], 0x0
	s_wait_xcnt 0x0
	s_add_nc_u64 s[0:1], s[0:1], 8
	s_delay_alu instid0(VALU_DEP_1) | instskip(NEXT) | instid1(VALU_DEP_1)
	v_mul_lo_u32 v4, v3, s12
	v_sub_nc_u32_e32 v2, v2, v4
	s_wait_kmcnt 0x0
	s_delay_alu instid0(VALU_DEP_1)
	v_mad_u32 v7, v2, s15, v7
	v_mad_u32 v6, v2, s14, v6
	v_mov_b32_e32 v2, v3
	s_cbranch_scc1 .LBB35_1120
; %bb.1121:
	s_delay_alu instid0(VALU_DEP_3)
	v_mov_b32_e32 v14, v7
.LBB35_1122:
	s_and_not1_b32 vcc_lo, exec_lo, s10
	s_cbranch_vccnz .LBB35_1125
; %bb.1123:
	s_clause 0x1
	s_load_b96 s[4:6], s[2:3], 0x4
	s_load_b64 s[0:1], s[2:3], 0xc4
	s_cmp_lt_u32 s28, 2
	s_wait_kmcnt 0x0
	v_mul_hi_u32 v2, s5, v0
	s_delay_alu instid0(VALU_DEP_1) | instskip(NEXT) | instid1(VALU_DEP_1)
	v_add_nc_u32_e32 v2, v0, v2
	v_lshrrev_b32_e32 v2, s6, v2
	s_delay_alu instid0(VALU_DEP_1) | instskip(NEXT) | instid1(VALU_DEP_1)
	v_mul_lo_u32 v3, v2, s4
	v_sub_nc_u32_e32 v3, v0, v3
	s_delay_alu instid0(VALU_DEP_1)
	v_mul_lo_u32 v14, v3, s1
	v_mul_lo_u32 v6, v3, s0
	s_cbranch_scc1 .LBB35_1125
; %bb.1124:
	s_clause 0x1
	s_load_b96 s[4:6], s[2:3], 0x10
	s_load_b64 s[0:1], s[2:3], 0xcc
	s_wait_kmcnt 0x0
	v_mul_hi_u32 v3, s5, v2
	s_delay_alu instid0(VALU_DEP_1) | instskip(NEXT) | instid1(VALU_DEP_1)
	v_add_nc_u32_e32 v3, v2, v3
	v_lshrrev_b32_e32 v3, s6, v3
	s_delay_alu instid0(VALU_DEP_1) | instskip(NEXT) | instid1(VALU_DEP_1)
	v_mul_lo_u32 v3, v3, s4
	v_sub_nc_u32_e32 v2, v2, v3
	s_delay_alu instid0(VALU_DEP_1)
	v_mad_u32 v6, v2, s0, v6
	v_mad_u32 v14, v2, s1, v14
.LBB35_1125:
	v_cmp_ne_u32_e32 vcc_lo, 1, v1
	v_add_nc_u32_e32 v2, 0x80, v0
	s_cbranch_vccnz .LBB35_1131
; %bb.1126:
	s_cmp_lg_u32 s28, 0
	s_mov_b32 s10, 0
	s_cbranch_scc0 .LBB35_1132
; %bb.1127:
	s_min_u32 s1, s29, 15
	s_delay_alu instid0(SALU_CYCLE_1)
	s_add_co_i32 s1, s1, 1
	s_cmp_eq_u32 s29, 2
	s_cbranch_scc1 .LBB35_1133
; %bb.1128:
	v_dual_mov_b32 v4, 0 :: v_dual_mov_b32 v12, 0
	v_mov_b32_e32 v3, v2
	s_and_b32 s0, s1, 28
	s_add_nc_u64 s[4:5], s[2:3], 0xc4
	s_mov_b32 s11, 0
	s_mov_b64 s[6:7], s[2:3]
.LBB35_1129:                            ; =>This Inner Loop Header: Depth=1
	s_clause 0x1
	s_load_b256 s[12:19], s[6:7], 0x4
	s_load_b128 s[36:39], s[6:7], 0x24
	s_load_b256 s[20:27], s[4:5], 0x0
	s_add_co_i32 s11, s11, 4
	s_wait_xcnt 0x0
	s_add_nc_u64 s[6:7], s[6:7], 48
	s_cmp_lg_u32 s0, s11
	s_add_nc_u64 s[4:5], s[4:5], 32
	s_wait_kmcnt 0x0
	v_mul_hi_u32 v5, s13, v3
	s_delay_alu instid0(VALU_DEP_1) | instskip(NEXT) | instid1(VALU_DEP_1)
	v_add_nc_u32_e32 v5, v3, v5
	v_lshrrev_b32_e32 v5, s14, v5
	s_delay_alu instid0(VALU_DEP_1) | instskip(NEXT) | instid1(VALU_DEP_1)
	v_mul_hi_u32 v7, s16, v5
	v_add_nc_u32_e32 v7, v5, v7
	s_delay_alu instid0(VALU_DEP_1) | instskip(NEXT) | instid1(VALU_DEP_1)
	v_lshrrev_b32_e32 v7, s17, v7
	v_mul_hi_u32 v8, s19, v7
	s_delay_alu instid0(VALU_DEP_1) | instskip(SKIP_1) | instid1(VALU_DEP_1)
	v_add_nc_u32_e32 v8, v7, v8
	v_mul_lo_u32 v10, v5, s12
	v_sub_nc_u32_e32 v3, v3, v10
	v_mul_lo_u32 v10, v7, s15
	s_delay_alu instid0(VALU_DEP_4) | instskip(NEXT) | instid1(VALU_DEP_3)
	v_lshrrev_b32_e32 v8, s36, v8
	v_mad_u32 v12, v3, s21, v12
	v_mad_u32 v3, v3, s20, v4
	s_delay_alu instid0(VALU_DEP_4) | instskip(NEXT) | instid1(VALU_DEP_4)
	v_sub_nc_u32_e32 v4, v5, v10
	v_mul_hi_u32 v11, s38, v8
	v_mul_lo_u32 v5, v8, s18
	s_delay_alu instid0(VALU_DEP_1) | instskip(NEXT) | instid1(VALU_DEP_4)
	v_dual_add_nc_u32 v10, v8, v11 :: v_dual_sub_nc_u32 v5, v7, v5
	v_mad_u32 v11, v4, s23, v12
	v_mad_u32 v4, v4, s22, v3
	s_delay_alu instid0(VALU_DEP_3) | instskip(NEXT) | instid1(VALU_DEP_1)
	v_lshrrev_b32_e32 v3, s39, v10
	v_mul_lo_u32 v7, v3, s37
	s_delay_alu instid0(VALU_DEP_4) | instskip(NEXT) | instid1(VALU_DEP_4)
	v_mad_u32 v10, v5, s25, v11
	v_mad_u32 v4, v5, s24, v4
	s_delay_alu instid0(VALU_DEP_3) | instskip(NEXT) | instid1(VALU_DEP_1)
	v_sub_nc_u32_e32 v5, v8, v7
	v_mad_u32 v12, v5, s27, v10
	s_delay_alu instid0(VALU_DEP_3)
	v_mad_u32 v4, v5, s26, v4
	s_cbranch_scc1 .LBB35_1129
; %bb.1130:
	s_delay_alu instid0(VALU_DEP_2)
	v_mov_b32_e32 v5, v12
	s_and_b32 s6, s1, 3
	s_mov_b32 s1, 0
	s_cmp_eq_u32 s6, 0
	s_cbranch_scc0 .LBB35_1134
	s_branch .LBB35_1137
.LBB35_1131:
	s_mov_b32 s10, -1
                                        ; implicit-def: $vgpr12
                                        ; implicit-def: $vgpr4
	s_branch .LBB35_1137
.LBB35_1132:
	v_dual_mov_b32 v12, 0 :: v_dual_mov_b32 v4, 0
	s_branch .LBB35_1137
.LBB35_1133:
	v_mov_b64_e32 v[4:5], 0
	v_mov_b32_e32 v3, v2
	s_mov_b32 s0, 0
                                        ; implicit-def: $vgpr12
	s_and_b32 s6, s1, 3
	s_mov_b32 s1, 0
	s_cmp_eq_u32 s6, 0
	s_cbranch_scc1 .LBB35_1137
.LBB35_1134:
	s_lshl_b32 s4, s0, 3
	s_mov_b32 s5, s1
	s_mul_u64 s[12:13], s[0:1], 12
	s_add_nc_u64 s[4:5], s[2:3], s[4:5]
	s_delay_alu instid0(SALU_CYCLE_1)
	s_add_nc_u64 s[0:1], s[4:5], 0xc4
	s_add_nc_u64 s[4:5], s[2:3], s[12:13]
.LBB35_1135:                            ; =>This Inner Loop Header: Depth=1
	s_load_b96 s[12:14], s[4:5], 0x4
	s_add_co_i32 s6, s6, -1
	s_wait_xcnt 0x0
	s_add_nc_u64 s[4:5], s[4:5], 12
	s_cmp_lg_u32 s6, 0
	s_wait_kmcnt 0x0
	v_mul_hi_u32 v7, s13, v3
	s_delay_alu instid0(VALU_DEP_1) | instskip(NEXT) | instid1(VALU_DEP_1)
	v_add_nc_u32_e32 v7, v3, v7
	v_lshrrev_b32_e32 v7, s14, v7
	s_load_b64 s[14:15], s[0:1], 0x0
	s_wait_xcnt 0x0
	s_add_nc_u64 s[0:1], s[0:1], 8
	s_delay_alu instid0(VALU_DEP_1) | instskip(NEXT) | instid1(VALU_DEP_1)
	v_mul_lo_u32 v8, v7, s12
	v_sub_nc_u32_e32 v3, v3, v8
	s_wait_kmcnt 0x0
	s_delay_alu instid0(VALU_DEP_1)
	v_mad_u32 v5, v3, s15, v5
	v_mad_u32 v4, v3, s14, v4
	v_mov_b32_e32 v3, v7
	s_cbranch_scc1 .LBB35_1135
; %bb.1136:
	s_delay_alu instid0(VALU_DEP_3)
	v_mov_b32_e32 v12, v5
.LBB35_1137:
	s_and_not1_b32 vcc_lo, exec_lo, s10
	s_cbranch_vccnz .LBB35_1140
; %bb.1138:
	s_clause 0x1
	s_load_b96 s[4:6], s[2:3], 0x4
	s_load_b64 s[0:1], s[2:3], 0xc4
	s_cmp_lt_u32 s28, 2
	s_wait_kmcnt 0x0
	v_mul_hi_u32 v3, s5, v2
	s_delay_alu instid0(VALU_DEP_1) | instskip(NEXT) | instid1(VALU_DEP_1)
	v_add_nc_u32_e32 v3, v2, v3
	v_lshrrev_b32_e32 v3, s6, v3
	s_delay_alu instid0(VALU_DEP_1) | instskip(NEXT) | instid1(VALU_DEP_1)
	v_mul_lo_u32 v4, v3, s4
	v_sub_nc_u32_e32 v2, v2, v4
	s_delay_alu instid0(VALU_DEP_1)
	v_mul_lo_u32 v12, v2, s1
	v_mul_lo_u32 v4, v2, s0
	s_cbranch_scc1 .LBB35_1140
; %bb.1139:
	s_clause 0x1
	s_load_b96 s[4:6], s[2:3], 0x10
	s_load_b64 s[0:1], s[2:3], 0xcc
	s_wait_kmcnt 0x0
	v_mul_hi_u32 v2, s5, v3
	s_delay_alu instid0(VALU_DEP_1) | instskip(NEXT) | instid1(VALU_DEP_1)
	v_add_nc_u32_e32 v2, v3, v2
	v_lshrrev_b32_e32 v2, s6, v2
	s_delay_alu instid0(VALU_DEP_1) | instskip(NEXT) | instid1(VALU_DEP_1)
	v_mul_lo_u32 v2, v2, s4
	v_sub_nc_u32_e32 v2, v3, v2
	s_delay_alu instid0(VALU_DEP_1)
	v_mad_u32 v4, v2, s0, v4
	v_mad_u32 v12, v2, s1, v12
.LBB35_1140:
	v_cmp_ne_u32_e32 vcc_lo, 1, v1
	v_add_nc_u32_e32 v0, 0x100, v0
	s_cbranch_vccnz .LBB35_1146
; %bb.1141:
	s_cmp_lg_u32 s28, 0
	s_mov_b32 s10, 0
	s_cbranch_scc0 .LBB35_1147
; %bb.1142:
	s_min_u32 s1, s29, 15
	s_delay_alu instid0(SALU_CYCLE_1)
	s_add_co_i32 s1, s1, 1
	s_cmp_eq_u32 s29, 2
	s_cbranch_scc1 .LBB35_1148
; %bb.1143:
	v_dual_mov_b32 v2, 0 :: v_dual_mov_b32 v10, 0
	v_mov_b32_e32 v5, v0
	s_and_b32 s0, s1, 28
	s_add_nc_u64 s[4:5], s[2:3], 0xc4
	s_mov_b32 s11, 0
	s_mov_b64 s[6:7], s[2:3]
.LBB35_1144:                            ; =>This Inner Loop Header: Depth=1
	s_clause 0x1
	s_load_b256 s[12:19], s[6:7], 0x4
	s_load_b128 s[36:39], s[6:7], 0x24
	s_load_b256 s[20:27], s[4:5], 0x0
	s_add_co_i32 s11, s11, 4
	s_wait_xcnt 0x0
	s_add_nc_u64 s[6:7], s[6:7], 48
	s_cmp_lg_u32 s0, s11
	s_add_nc_u64 s[4:5], s[4:5], 32
	s_wait_kmcnt 0x0
	v_mul_hi_u32 v3, s13, v5
	s_delay_alu instid0(VALU_DEP_1) | instskip(NEXT) | instid1(VALU_DEP_1)
	v_add_nc_u32_e32 v3, v5, v3
	v_lshrrev_b32_e32 v3, s14, v3
	s_delay_alu instid0(VALU_DEP_1) | instskip(NEXT) | instid1(VALU_DEP_1)
	v_mul_hi_u32 v7, s16, v3
	v_add_nc_u32_e32 v7, v3, v7
	s_delay_alu instid0(VALU_DEP_1) | instskip(NEXT) | instid1(VALU_DEP_1)
	v_lshrrev_b32_e32 v7, s17, v7
	v_mul_hi_u32 v8, s19, v7
	s_delay_alu instid0(VALU_DEP_1) | instskip(NEXT) | instid1(VALU_DEP_1)
	v_add_nc_u32_e32 v8, v7, v8
	v_lshrrev_b32_e32 v8, s36, v8
	v_mul_lo_u32 v11, v3, s12
	s_delay_alu instid0(VALU_DEP_2) | instskip(NEXT) | instid1(VALU_DEP_2)
	v_mul_hi_u32 v13, s38, v8
	v_sub_nc_u32_e32 v5, v5, v11
	s_delay_alu instid0(VALU_DEP_1) | instskip(SKIP_1) | instid1(VALU_DEP_4)
	v_mad_u32 v10, v5, s21, v10
	v_mad_u32 v2, v5, s20, v2
	v_add_nc_u32_e32 v5, v8, v13
	s_delay_alu instid0(VALU_DEP_1) | instskip(SKIP_1) | instid1(VALU_DEP_1)
	v_lshrrev_b32_e32 v5, s39, v5
	v_mul_lo_u32 v11, v7, s15
	v_sub_nc_u32_e32 v3, v3, v11
	v_mul_lo_u32 v11, v8, s18
	s_delay_alu instid0(VALU_DEP_2) | instskip(SKIP_1) | instid1(VALU_DEP_3)
	v_mad_u32 v10, v3, s23, v10
	v_mad_u32 v2, v3, s22, v2
	v_sub_nc_u32_e32 v3, v7, v11
	v_mul_lo_u32 v7, v5, s37
	s_delay_alu instid0(VALU_DEP_2) | instskip(NEXT) | instid1(VALU_DEP_4)
	v_mad_u32 v10, v3, s25, v10
	v_mad_u32 v2, v3, s24, v2
	s_delay_alu instid0(VALU_DEP_3) | instskip(NEXT) | instid1(VALU_DEP_1)
	v_sub_nc_u32_e32 v3, v8, v7
	v_mad_u32 v10, v3, s27, v10
	s_delay_alu instid0(VALU_DEP_3)
	v_mad_u32 v2, v3, s26, v2
	s_cbranch_scc1 .LBB35_1144
; %bb.1145:
	s_delay_alu instid0(VALU_DEP_2)
	v_mov_b32_e32 v3, v10
	s_and_b32 s6, s1, 3
	s_mov_b32 s1, 0
	s_cmp_eq_u32 s6, 0
	s_cbranch_scc0 .LBB35_1149
	s_branch .LBB35_1152
.LBB35_1146:
	s_mov_b32 s10, -1
                                        ; implicit-def: $vgpr10
                                        ; implicit-def: $vgpr2
	s_branch .LBB35_1152
.LBB35_1147:
	v_dual_mov_b32 v10, 0 :: v_dual_mov_b32 v2, 0
	s_branch .LBB35_1152
.LBB35_1148:
	v_mov_b64_e32 v[2:3], 0
	v_mov_b32_e32 v5, v0
	s_mov_b32 s0, 0
                                        ; implicit-def: $vgpr10
	s_and_b32 s6, s1, 3
	s_mov_b32 s1, 0
	s_cmp_eq_u32 s6, 0
	s_cbranch_scc1 .LBB35_1152
.LBB35_1149:
	s_lshl_b32 s4, s0, 3
	s_mov_b32 s5, s1
	s_mul_u64 s[12:13], s[0:1], 12
	s_add_nc_u64 s[4:5], s[2:3], s[4:5]
	s_delay_alu instid0(SALU_CYCLE_1)
	s_add_nc_u64 s[0:1], s[4:5], 0xc4
	s_add_nc_u64 s[4:5], s[2:3], s[12:13]
.LBB35_1150:                            ; =>This Inner Loop Header: Depth=1
	s_load_b96 s[12:14], s[4:5], 0x4
	s_add_co_i32 s6, s6, -1
	s_wait_xcnt 0x0
	s_add_nc_u64 s[4:5], s[4:5], 12
	s_cmp_lg_u32 s6, 0
	s_wait_kmcnt 0x0
	v_mul_hi_u32 v7, s13, v5
	s_delay_alu instid0(VALU_DEP_1) | instskip(NEXT) | instid1(VALU_DEP_1)
	v_add_nc_u32_e32 v7, v5, v7
	v_lshrrev_b32_e32 v7, s14, v7
	s_load_b64 s[14:15], s[0:1], 0x0
	s_wait_xcnt 0x0
	s_add_nc_u64 s[0:1], s[0:1], 8
	s_delay_alu instid0(VALU_DEP_1) | instskip(NEXT) | instid1(VALU_DEP_1)
	v_mul_lo_u32 v8, v7, s12
	v_sub_nc_u32_e32 v5, v5, v8
	s_wait_kmcnt 0x0
	s_delay_alu instid0(VALU_DEP_1)
	v_mad_u32 v3, v5, s15, v3
	v_mad_u32 v2, v5, s14, v2
	v_mov_b32_e32 v5, v7
	s_cbranch_scc1 .LBB35_1150
; %bb.1151:
	s_delay_alu instid0(VALU_DEP_3)
	v_mov_b32_e32 v10, v3
.LBB35_1152:
	s_and_not1_b32 vcc_lo, exec_lo, s10
	s_cbranch_vccnz .LBB35_1155
; %bb.1153:
	s_clause 0x1
	s_load_b96 s[4:6], s[2:3], 0x4
	s_load_b64 s[0:1], s[2:3], 0xc4
	s_cmp_lt_u32 s28, 2
	s_wait_kmcnt 0x0
	v_mul_hi_u32 v2, s5, v0
	s_delay_alu instid0(VALU_DEP_1) | instskip(NEXT) | instid1(VALU_DEP_1)
	v_add_nc_u32_e32 v2, v0, v2
	v_lshrrev_b32_e32 v3, s6, v2
	s_delay_alu instid0(VALU_DEP_1) | instskip(NEXT) | instid1(VALU_DEP_1)
	v_mul_lo_u32 v2, v3, s4
	v_sub_nc_u32_e32 v0, v0, v2
	s_delay_alu instid0(VALU_DEP_1)
	v_mul_lo_u32 v10, v0, s1
	v_mul_lo_u32 v2, v0, s0
	s_cbranch_scc1 .LBB35_1155
; %bb.1154:
	s_clause 0x1
	s_load_b96 s[4:6], s[2:3], 0x10
	s_load_b64 s[0:1], s[2:3], 0xcc
	s_wait_kmcnt 0x0
	v_mul_hi_u32 v0, s5, v3
	s_delay_alu instid0(VALU_DEP_1) | instskip(NEXT) | instid1(VALU_DEP_1)
	v_add_nc_u32_e32 v0, v3, v0
	v_lshrrev_b32_e32 v0, s6, v0
	s_delay_alu instid0(VALU_DEP_1) | instskip(NEXT) | instid1(VALU_DEP_1)
	v_mul_lo_u32 v0, v0, s4
	v_sub_nc_u32_e32 v0, v3, v0
	s_delay_alu instid0(VALU_DEP_1)
	v_mad_u32 v2, v0, s0, v2
	v_mad_u32 v10, v0, s1, v10
.LBB35_1155:
	v_cmp_ne_u32_e32 vcc_lo, 1, v1
	s_cbranch_vccnz .LBB35_1161
; %bb.1156:
	s_cmp_lg_u32 s28, 0
	s_mov_b32 s10, 0
	s_cbranch_scc0 .LBB35_1162
; %bb.1157:
	s_min_u32 s1, s29, 15
	s_delay_alu instid0(SALU_CYCLE_1)
	s_add_co_i32 s1, s1, 1
	s_cmp_eq_u32 s29, 2
	s_cbranch_scc1 .LBB35_1163
; %bb.1158:
	v_dual_mov_b32 v0, 0 :: v_dual_mov_b32 v8, 0
	v_mov_b32_e32 v3, v9
	s_and_b32 s0, s1, 28
	s_add_nc_u64 s[4:5], s[2:3], 0xc4
	s_mov_b32 s11, 0
	s_mov_b64 s[6:7], s[2:3]
.LBB35_1159:                            ; =>This Inner Loop Header: Depth=1
	s_clause 0x1
	s_load_b256 s[12:19], s[6:7], 0x4
	s_load_b128 s[36:39], s[6:7], 0x24
	s_load_b256 s[20:27], s[4:5], 0x0
	s_add_co_i32 s11, s11, 4
	s_wait_xcnt 0x0
	s_add_nc_u64 s[6:7], s[6:7], 48
	s_cmp_lg_u32 s0, s11
	s_add_nc_u64 s[4:5], s[4:5], 32
	s_wait_kmcnt 0x0
	v_mul_hi_u32 v1, s13, v3
	s_delay_alu instid0(VALU_DEP_1) | instskip(NEXT) | instid1(VALU_DEP_1)
	v_add_nc_u32_e32 v1, v3, v1
	v_lshrrev_b32_e32 v1, s14, v1
	s_delay_alu instid0(VALU_DEP_1) | instskip(NEXT) | instid1(VALU_DEP_1)
	v_mul_lo_u32 v11, v1, s12
	v_sub_nc_u32_e32 v3, v3, v11
	v_mul_hi_u32 v5, s16, v1
	s_delay_alu instid0(VALU_DEP_2) | instskip(SKIP_1) | instid1(VALU_DEP_3)
	v_mad_u32 v8, v3, s21, v8
	v_mad_u32 v0, v3, s20, v0
	v_add_nc_u32_e32 v5, v1, v5
	s_delay_alu instid0(VALU_DEP_1) | instskip(NEXT) | instid1(VALU_DEP_1)
	v_lshrrev_b32_e32 v5, s17, v5
	v_mul_lo_u32 v11, v5, s15
	s_delay_alu instid0(VALU_DEP_1) | instskip(SKIP_1) | instid1(VALU_DEP_2)
	v_sub_nc_u32_e32 v1, v1, v11
	v_mul_hi_u32 v7, s19, v5
	v_mad_u32 v8, v1, s23, v8
	v_mad_u32 v0, v1, s22, v0
	s_delay_alu instid0(VALU_DEP_3) | instskip(NEXT) | instid1(VALU_DEP_1)
	v_add_nc_u32_e32 v7, v5, v7
	v_lshrrev_b32_e32 v7, s36, v7
	s_delay_alu instid0(VALU_DEP_1) | instskip(SKIP_1) | instid1(VALU_DEP_1)
	v_mul_hi_u32 v13, s38, v7
	v_mul_lo_u32 v11, v7, s18
	v_dual_add_nc_u32 v3, v7, v13 :: v_dual_sub_nc_u32 v1, v5, v11
	s_delay_alu instid0(VALU_DEP_1) | instskip(NEXT) | instid1(VALU_DEP_2)
	v_lshrrev_b32_e32 v3, s39, v3
	v_mad_u32 v8, v1, s25, v8
	v_mad_u32 v0, v1, s24, v0
	s_delay_alu instid0(VALU_DEP_3) | instskip(NEXT) | instid1(VALU_DEP_1)
	v_mul_lo_u32 v5, v3, s37
	v_sub_nc_u32_e32 v1, v7, v5
	s_delay_alu instid0(VALU_DEP_1) | instskip(NEXT) | instid1(VALU_DEP_4)
	v_mad_u32 v8, v1, s27, v8
	v_mad_u32 v0, v1, s26, v0
	s_cbranch_scc1 .LBB35_1159
; %bb.1160:
	s_delay_alu instid0(VALU_DEP_2)
	v_mov_b32_e32 v1, v8
	s_and_b32 s6, s1, 3
	s_mov_b32 s1, 0
	s_cmp_eq_u32 s6, 0
	s_cbranch_scc0 .LBB35_1164
	s_branch .LBB35_1167
.LBB35_1161:
	s_mov_b32 s10, -1
                                        ; implicit-def: $vgpr8
                                        ; implicit-def: $vgpr0
	s_branch .LBB35_1167
.LBB35_1162:
	v_dual_mov_b32 v8, 0 :: v_dual_mov_b32 v0, 0
	s_branch .LBB35_1167
.LBB35_1163:
	v_mov_b64_e32 v[0:1], 0
	v_mov_b32_e32 v3, v9
	s_mov_b32 s0, 0
                                        ; implicit-def: $vgpr8
	s_and_b32 s6, s1, 3
	s_mov_b32 s1, 0
	s_cmp_eq_u32 s6, 0
	s_cbranch_scc1 .LBB35_1167
.LBB35_1164:
	s_lshl_b32 s4, s0, 3
	s_mov_b32 s5, s1
	s_mul_u64 s[12:13], s[0:1], 12
	s_add_nc_u64 s[4:5], s[2:3], s[4:5]
	s_delay_alu instid0(SALU_CYCLE_1)
	s_add_nc_u64 s[0:1], s[4:5], 0xc4
	s_add_nc_u64 s[4:5], s[2:3], s[12:13]
.LBB35_1165:                            ; =>This Inner Loop Header: Depth=1
	s_load_b96 s[12:14], s[4:5], 0x4
	s_add_co_i32 s6, s6, -1
	s_wait_xcnt 0x0
	s_add_nc_u64 s[4:5], s[4:5], 12
	s_cmp_lg_u32 s6, 0
	s_wait_kmcnt 0x0
	v_mul_hi_u32 v5, s13, v3
	s_delay_alu instid0(VALU_DEP_1) | instskip(NEXT) | instid1(VALU_DEP_1)
	v_add_nc_u32_e32 v5, v3, v5
	v_lshrrev_b32_e32 v5, s14, v5
	s_load_b64 s[14:15], s[0:1], 0x0
	s_wait_xcnt 0x0
	s_add_nc_u64 s[0:1], s[0:1], 8
	s_delay_alu instid0(VALU_DEP_1) | instskip(NEXT) | instid1(VALU_DEP_1)
	v_mul_lo_u32 v7, v5, s12
	v_sub_nc_u32_e32 v3, v3, v7
	s_wait_kmcnt 0x0
	s_delay_alu instid0(VALU_DEP_1)
	v_mad_u32 v1, v3, s15, v1
	v_mad_u32 v0, v3, s14, v0
	v_mov_b32_e32 v3, v5
	s_cbranch_scc1 .LBB35_1165
; %bb.1166:
	s_delay_alu instid0(VALU_DEP_3)
	v_mov_b32_e32 v8, v1
.LBB35_1167:
	s_and_not1_b32 vcc_lo, exec_lo, s10
	s_cbranch_vccnz .LBB35_1170
; %bb.1168:
	s_clause 0x1
	s_load_b96 s[4:6], s[2:3], 0x4
	s_load_b64 s[0:1], s[2:3], 0xc4
	s_cmp_lt_u32 s28, 2
	s_wait_kmcnt 0x0
	v_mul_hi_u32 v0, s5, v9
	s_delay_alu instid0(VALU_DEP_1) | instskip(NEXT) | instid1(VALU_DEP_1)
	v_add_nc_u32_e32 v0, v9, v0
	v_lshrrev_b32_e32 v1, s6, v0
	s_delay_alu instid0(VALU_DEP_1) | instskip(NEXT) | instid1(VALU_DEP_1)
	v_mul_lo_u32 v0, v1, s4
	v_sub_nc_u32_e32 v0, v9, v0
	s_delay_alu instid0(VALU_DEP_1)
	v_mul_lo_u32 v8, v0, s1
	v_mul_lo_u32 v0, v0, s0
	s_cbranch_scc1 .LBB35_1170
; %bb.1169:
	s_clause 0x1
	s_load_b96 s[4:6], s[2:3], 0x10
	s_load_b64 s[0:1], s[2:3], 0xcc
	s_wait_kmcnt 0x0
	v_mul_hi_u32 v3, s5, v1
	s_delay_alu instid0(VALU_DEP_1) | instskip(NEXT) | instid1(VALU_DEP_1)
	v_add_nc_u32_e32 v3, v1, v3
	v_lshrrev_b32_e32 v3, s6, v3
	s_delay_alu instid0(VALU_DEP_1) | instskip(NEXT) | instid1(VALU_DEP_1)
	v_mul_lo_u32 v3, v3, s4
	v_sub_nc_u32_e32 v1, v1, v3
	s_delay_alu instid0(VALU_DEP_1)
	v_mad_u32 v0, v1, s0, v0
	v_mad_u32 v8, v1, s1, v8
.LBB35_1170:
	v_mov_b32_e32 v15, 0
	s_load_b128 s[4:7], s[2:3], 0x148
	global_load_u8 v1, v15, s[2:3] offset:346
	s_wait_kmcnt 0x0
	v_add_nc_u64_e32 v[14:15], s[6:7], v[14:15]
	s_wait_loadcnt 0x0
	v_and_b32_e32 v3, 0xffff, v1
	v_readfirstlane_b32 s11, v1
	s_delay_alu instid0(VALU_DEP_2)
	v_cmp_gt_i32_e32 vcc_lo, 11, v3
	s_cbranch_vccnz .LBB35_1177
; %bb.1171:
	s_and_b32 s0, 0xffff, s11
	s_mov_b32 s12, 0
	s_cmp_gt_i32 s0, 25
	s_cbranch_scc0 .LBB35_1179
; %bb.1172:
	s_cmp_gt_i32 s0, 28
	s_cbranch_scc0 .LBB35_1180
; %bb.1173:
	;; [unrolled: 3-line block ×4, first 2 shown]
	s_cmp_eq_u32 s0, 46
	s_mov_b32 s10, 0
	s_cbranch_scc0 .LBB35_1185
; %bb.1176:
	global_load_b32 v1, v[14:15], off
	s_mov_b32 s1, 0
	s_mov_b32 s13, -1
	s_branch .LBB35_1187
.LBB35_1177:
	s_mov_b32 s13, 0
	s_mov_b32 s10, s8
                                        ; implicit-def: $vgpr1
	s_cbranch_execnz .LBB35_1250
.LBB35_1178:
	s_and_not1_b32 vcc_lo, exec_lo, s13
	s_cbranch_vccz .LBB35_1295
	s_branch .LBB35_2132
.LBB35_1179:
	s_mov_b32 s13, 0
	s_mov_b32 s1, 0
                                        ; implicit-def: $vgpr1
	s_cbranch_execnz .LBB35_1215
	s_branch .LBB35_1246
.LBB35_1180:
	s_mov_b32 s10, -1
	s_mov_b32 s13, 0
	s_mov_b32 s1, 0
                                        ; implicit-def: $vgpr1
	s_branch .LBB35_1196
.LBB35_1181:
	s_mov_b32 s13, 0
	s_mov_b32 s1, 0
                                        ; implicit-def: $vgpr1
	s_cbranch_execnz .LBB35_1192
	s_branch .LBB35_1195
.LBB35_1182:
	s_mov_b32 s10, -1
	s_mov_b32 s13, 0
	s_mov_b32 s1, 0
	s_branch .LBB35_1186
.LBB35_1183:
	s_and_not1_saveexec_b32 s9, s9
	s_cbranch_execz .LBB35_1019
.LBB35_1184:
	v_add_f32_e64 v4, 0x46000000, |v5|
	s_and_not1_b32 s8, s8, exec_lo
	s_delay_alu instid0(VALU_DEP_1) | instskip(NEXT) | instid1(VALU_DEP_1)
	v_and_b32_e32 v4, 0xff, v4
	v_cmp_ne_u32_e32 vcc_lo, 0, v4
	s_and_b32 s10, vcc_lo, exec_lo
	s_delay_alu instid0(SALU_CYCLE_1)
	s_or_b32 s8, s8, s10
	s_or_b32 exec_lo, exec_lo, s9
	v_mov_b32_e32 v6, 0
	s_and_saveexec_b32 s9, s8
	s_cbranch_execnz .LBB35_1020
	s_branch .LBB35_1021
.LBB35_1185:
	s_mov_b32 s1, -1
	s_mov_b32 s13, 0
.LBB35_1186:
                                        ; implicit-def: $vgpr1
.LBB35_1187:
	s_and_b32 vcc_lo, exec_lo, s10
	s_cbranch_vccz .LBB35_1190
; %bb.1188:
	s_cmp_eq_u32 s0, 44
	s_cbranch_scc0 .LBB35_1191
; %bb.1189:
	s_wait_loadcnt 0x0
	global_load_u8 v1, v[14:15], off
	s_mov_b32 s1, 0
	s_mov_b32 s13, -1
	s_wait_loadcnt 0x0
	v_lshlrev_b32_e32 v3, 23, v1
	v_cmp_ne_u32_e32 vcc_lo, 0xff, v1
	s_delay_alu instid0(VALU_DEP_2) | instskip(SKIP_1) | instid1(VALU_DEP_2)
	v_cndmask_b32_e32 v3, 0x7f800001, v3, vcc_lo
	v_cmp_ne_u32_e32 vcc_lo, 0, v1
	v_cndmask_b32_e32 v1, 0x400000, v3, vcc_lo
	s_delay_alu instid0(VALU_DEP_1) | instskip(SKIP_1) | instid1(VALU_DEP_2)
	v_add_nc_u32_e32 v3, 0x7fff, v1
	v_cmp_o_f32_e32 vcc_lo, v1, v1
	v_lshrrev_b32_e32 v3, 16, v3
	s_delay_alu instid0(VALU_DEP_1)
	v_cndmask_b32_e32 v1, 0x7fc0, v3, vcc_lo
.LBB35_1190:
	s_branch .LBB35_1195
.LBB35_1191:
	s_mov_b32 s1, -1
                                        ; implicit-def: $vgpr1
	s_branch .LBB35_1195
.LBB35_1192:
	s_cmp_eq_u32 s0, 29
	s_cbranch_scc0 .LBB35_1194
; %bb.1193:
	global_load_b64 v[16:17], v[14:15], off
	s_mov_b32 s1, 0
	s_mov_b32 s13, -1
	s_mov_b32 s10, 0
	s_wait_loadcnt 0x0
	v_clz_i32_u32_e32 v1, v17
	s_delay_alu instid0(VALU_DEP_1) | instskip(NEXT) | instid1(VALU_DEP_1)
	v_min_u32_e32 v1, 32, v1
	v_lshlrev_b64_e32 v[16:17], v1, v[16:17]
	v_sub_nc_u32_e32 v1, 32, v1
	s_delay_alu instid0(VALU_DEP_2) | instskip(NEXT) | instid1(VALU_DEP_1)
	v_min_u32_e32 v3, 1, v16
	v_or_b32_e32 v3, v17, v3
	s_delay_alu instid0(VALU_DEP_1) | instskip(NEXT) | instid1(VALU_DEP_1)
	v_cvt_f32_u32_e32 v3, v3
	v_ldexp_f32 v1, v3, v1
	s_delay_alu instid0(VALU_DEP_1) | instskip(NEXT) | instid1(VALU_DEP_1)
	v_bfe_u32 v3, v1, 16, 1
	v_add3_u32 v1, v1, v3, 0x7fff
	s_delay_alu instid0(VALU_DEP_1)
	v_lshrrev_b32_e32 v1, 16, v1
	s_branch .LBB35_1196
.LBB35_1194:
	s_mov_b32 s1, -1
                                        ; implicit-def: $vgpr1
.LBB35_1195:
	s_mov_b32 s10, 0
.LBB35_1196:
	s_delay_alu instid0(SALU_CYCLE_1)
	s_and_b32 vcc_lo, exec_lo, s10
	s_cbranch_vccz .LBB35_1214
; %bb.1197:
	s_cmp_lt_i32 s0, 27
	s_cbranch_scc1 .LBB35_1200
; %bb.1198:
	s_cmp_gt_i32 s0, 27
	s_cbranch_scc0 .LBB35_1201
; %bb.1199:
	s_wait_loadcnt 0x0
	global_load_b32 v1, v[14:15], off
	s_mov_b32 s10, 0
	s_wait_loadcnt 0x0
	v_cvt_f32_u32_e32 v1, v1
	s_delay_alu instid0(VALU_DEP_1) | instskip(NEXT) | instid1(VALU_DEP_1)
	v_bfe_u32 v3, v1, 16, 1
	v_add3_u32 v1, v1, v3, 0x7fff
	s_delay_alu instid0(VALU_DEP_1)
	v_lshrrev_b32_e32 v1, 16, v1
	s_branch .LBB35_1202
.LBB35_1200:
	s_mov_b32 s10, -1
                                        ; implicit-def: $vgpr1
	s_branch .LBB35_1205
.LBB35_1201:
	s_mov_b32 s10, -1
                                        ; implicit-def: $vgpr1
.LBB35_1202:
	s_delay_alu instid0(SALU_CYCLE_1)
	s_and_not1_b32 vcc_lo, exec_lo, s10
	s_cbranch_vccnz .LBB35_1204
; %bb.1203:
	s_wait_loadcnt 0x0
	global_load_u16 v1, v[14:15], off
	s_wait_loadcnt 0x0
	v_cvt_f32_u32_e32 v1, v1
	s_delay_alu instid0(VALU_DEP_1) | instskip(NEXT) | instid1(VALU_DEP_1)
	v_bfe_u32 v3, v1, 16, 1
	v_add3_u32 v1, v1, v3, 0x7fff
	s_delay_alu instid0(VALU_DEP_1)
	v_lshrrev_b32_e32 v1, 16, v1
.LBB35_1204:
	s_mov_b32 s10, 0
.LBB35_1205:
	s_delay_alu instid0(SALU_CYCLE_1)
	s_and_not1_b32 vcc_lo, exec_lo, s10
	s_cbranch_vccnz .LBB35_1213
; %bb.1206:
	s_wait_loadcnt 0x0
	global_load_u8 v1, v[14:15], off
	s_mov_b32 s10, 0
	s_mov_b32 s13, exec_lo
	s_wait_loadcnt 0x0
	v_cmpx_lt_i16_e32 0x7f, v1
	s_xor_b32 s13, exec_lo, s13
	s_cbranch_execz .LBB35_1226
; %bb.1207:
	s_mov_b32 s10, -1
	s_mov_b32 s14, exec_lo
	v_cmpx_eq_u16_e32 0x80, v1
; %bb.1208:
	s_xor_b32 s10, exec_lo, -1
; %bb.1209:
	s_or_b32 exec_lo, exec_lo, s14
	s_delay_alu instid0(SALU_CYCLE_1)
	s_and_b32 s10, s10, exec_lo
	s_or_saveexec_b32 s13, s13
	v_mov_b32_e32 v3, 0x7f800001
	s_xor_b32 exec_lo, exec_lo, s13
	s_cbranch_execnz .LBB35_1227
.LBB35_1210:
	s_or_b32 exec_lo, exec_lo, s13
	s_and_saveexec_b32 s13, s10
	s_cbranch_execz .LBB35_1212
.LBB35_1211:
	v_and_b32_e32 v3, 0xffff, v1
	s_delay_alu instid0(VALU_DEP_1) | instskip(SKIP_1) | instid1(VALU_DEP_2)
	v_dual_lshlrev_b32 v1, 24, v1 :: v_dual_bitop2_b32 v5, 7, v3 bitop3:0x40
	v_bfe_u32 v11, v3, 3, 4
	v_and_b32_e32 v1, 0x80000000, v1
	s_delay_alu instid0(VALU_DEP_3) | instskip(NEXT) | instid1(VALU_DEP_3)
	v_clz_i32_u32_e32 v7, v5
	v_cmp_eq_u32_e32 vcc_lo, 0, v11
	s_delay_alu instid0(VALU_DEP_2) | instskip(NEXT) | instid1(VALU_DEP_1)
	v_min_u32_e32 v7, 32, v7
	v_subrev_nc_u32_e32 v9, 28, v7
	v_sub_nc_u32_e32 v7, 29, v7
	s_delay_alu instid0(VALU_DEP_2) | instskip(NEXT) | instid1(VALU_DEP_2)
	v_lshlrev_b32_e32 v3, v9, v3
	v_cndmask_b32_e32 v7, v11, v7, vcc_lo
	s_delay_alu instid0(VALU_DEP_2) | instskip(NEXT) | instid1(VALU_DEP_1)
	v_and_b32_e32 v3, 7, v3
	v_cndmask_b32_e32 v3, v5, v3, vcc_lo
	s_delay_alu instid0(VALU_DEP_3) | instskip(NEXT) | instid1(VALU_DEP_2)
	v_lshl_add_u32 v5, v7, 23, 0x3b800000
	v_lshlrev_b32_e32 v3, 20, v3
	s_delay_alu instid0(VALU_DEP_1)
	v_or3_b32 v3, v1, v5, v3
.LBB35_1212:
	s_or_b32 exec_lo, exec_lo, s13
	s_delay_alu instid0(VALU_DEP_1) | instskip(SKIP_1) | instid1(VALU_DEP_2)
	v_bfe_u32 v1, v3, 16, 1
	v_cmp_o_f32_e32 vcc_lo, v3, v3
	v_add3_u32 v1, v3, v1, 0x7fff
	s_delay_alu instid0(VALU_DEP_1) | instskip(NEXT) | instid1(VALU_DEP_1)
	v_lshrrev_b32_e32 v1, 16, v1
	v_cndmask_b32_e32 v1, 0x7fc0, v1, vcc_lo
.LBB35_1213:
	s_mov_b32 s13, -1
.LBB35_1214:
	s_branch .LBB35_1246
.LBB35_1215:
	s_cmp_gt_i32 s0, 22
	s_cbranch_scc0 .LBB35_1225
; %bb.1216:
	s_cmp_lt_i32 s0, 24
	s_cbranch_scc1 .LBB35_1228
; %bb.1217:
	s_cmp_gt_i32 s0, 24
	s_cbranch_scc0 .LBB35_1229
; %bb.1218:
	s_wait_loadcnt 0x0
	global_load_u8 v1, v[14:15], off
	s_mov_b32 s10, 0
	s_mov_b32 s12, exec_lo
	s_wait_loadcnt 0x0
	v_cmpx_lt_i16_e32 0x7f, v1
	s_xor_b32 s12, exec_lo, s12
	s_cbranch_execz .LBB35_1240
; %bb.1219:
	s_mov_b32 s10, -1
	s_mov_b32 s13, exec_lo
	v_cmpx_eq_u16_e32 0x80, v1
; %bb.1220:
	s_xor_b32 s10, exec_lo, -1
; %bb.1221:
	s_or_b32 exec_lo, exec_lo, s13
	s_delay_alu instid0(SALU_CYCLE_1)
	s_and_b32 s10, s10, exec_lo
	s_or_saveexec_b32 s12, s12
	v_mov_b32_e32 v3, 0x7f800001
	s_xor_b32 exec_lo, exec_lo, s12
	s_cbranch_execnz .LBB35_1241
.LBB35_1222:
	s_or_b32 exec_lo, exec_lo, s12
	s_and_saveexec_b32 s12, s10
	s_cbranch_execz .LBB35_1224
.LBB35_1223:
	v_and_b32_e32 v3, 0xffff, v1
	s_delay_alu instid0(VALU_DEP_1) | instskip(SKIP_1) | instid1(VALU_DEP_2)
	v_dual_lshlrev_b32 v1, 24, v1 :: v_dual_bitop2_b32 v5, 3, v3 bitop3:0x40
	v_bfe_u32 v11, v3, 2, 5
	v_and_b32_e32 v1, 0x80000000, v1
	s_delay_alu instid0(VALU_DEP_3) | instskip(NEXT) | instid1(VALU_DEP_3)
	v_clz_i32_u32_e32 v7, v5
	v_cmp_eq_u32_e32 vcc_lo, 0, v11
	s_delay_alu instid0(VALU_DEP_2) | instskip(NEXT) | instid1(VALU_DEP_1)
	v_min_u32_e32 v7, 32, v7
	v_subrev_nc_u32_e32 v9, 29, v7
	v_sub_nc_u32_e32 v7, 30, v7
	s_delay_alu instid0(VALU_DEP_2) | instskip(NEXT) | instid1(VALU_DEP_2)
	v_lshlrev_b32_e32 v3, v9, v3
	v_cndmask_b32_e32 v7, v11, v7, vcc_lo
	s_delay_alu instid0(VALU_DEP_2) | instskip(NEXT) | instid1(VALU_DEP_1)
	v_and_b32_e32 v3, 3, v3
	v_cndmask_b32_e32 v3, v5, v3, vcc_lo
	s_delay_alu instid0(VALU_DEP_3) | instskip(NEXT) | instid1(VALU_DEP_2)
	v_lshl_add_u32 v5, v7, 23, 0x37800000
	v_lshlrev_b32_e32 v3, 21, v3
	s_delay_alu instid0(VALU_DEP_1)
	v_or3_b32 v3, v1, v5, v3
.LBB35_1224:
	s_or_b32 exec_lo, exec_lo, s12
	s_delay_alu instid0(VALU_DEP_1) | instskip(SKIP_2) | instid1(VALU_DEP_2)
	v_bfe_u32 v1, v3, 16, 1
	v_cmp_o_f32_e32 vcc_lo, v3, v3
	s_mov_b32 s10, 0
	v_add3_u32 v1, v3, v1, 0x7fff
	s_delay_alu instid0(VALU_DEP_1) | instskip(NEXT) | instid1(VALU_DEP_1)
	v_lshrrev_b32_e32 v1, 16, v1
	v_cndmask_b32_e32 v1, 0x7fc0, v1, vcc_lo
	s_branch .LBB35_1230
.LBB35_1225:
                                        ; implicit-def: $vgpr1
	s_mov_b32 s12, 0
	s_branch .LBB35_1236
.LBB35_1226:
	s_or_saveexec_b32 s13, s13
	v_mov_b32_e32 v3, 0x7f800001
	s_xor_b32 exec_lo, exec_lo, s13
	s_cbranch_execz .LBB35_1210
.LBB35_1227:
	v_cmp_ne_u16_e32 vcc_lo, 0, v1
	v_mov_b32_e32 v3, 0
	s_and_not1_b32 s10, s10, exec_lo
	s_and_b32 s14, vcc_lo, exec_lo
	s_delay_alu instid0(SALU_CYCLE_1)
	s_or_b32 s10, s10, s14
	s_or_b32 exec_lo, exec_lo, s13
	s_and_saveexec_b32 s13, s10
	s_cbranch_execnz .LBB35_1211
	s_branch .LBB35_1212
.LBB35_1228:
	s_mov_b32 s10, -1
                                        ; implicit-def: $vgpr1
	s_branch .LBB35_1233
.LBB35_1229:
	s_mov_b32 s10, -1
                                        ; implicit-def: $vgpr1
.LBB35_1230:
	s_delay_alu instid0(SALU_CYCLE_1)
	s_and_b32 vcc_lo, exec_lo, s10
	s_cbranch_vccz .LBB35_1232
; %bb.1231:
	s_wait_loadcnt 0x0
	global_load_u8 v1, v[14:15], off
	s_wait_loadcnt 0x0
	v_lshlrev_b32_e32 v1, 24, v1
	s_delay_alu instid0(VALU_DEP_1) | instskip(NEXT) | instid1(VALU_DEP_1)
	v_and_b32_e32 v3, 0x7f000000, v1
	v_clz_i32_u32_e32 v5, v3
	v_add_nc_u32_e32 v9, 0x1000000, v3
	v_cmp_ne_u32_e32 vcc_lo, 0, v3
	s_delay_alu instid0(VALU_DEP_3) | instskip(NEXT) | instid1(VALU_DEP_1)
	v_min_u32_e32 v5, 32, v5
	v_sub_nc_u32_e64 v5, v5, 4 clamp
	s_delay_alu instid0(VALU_DEP_1) | instskip(NEXT) | instid1(VALU_DEP_1)
	v_dual_lshlrev_b32 v7, v5, v3 :: v_dual_lshlrev_b32 v5, 23, v5
	v_lshrrev_b32_e32 v7, 4, v7
	s_delay_alu instid0(VALU_DEP_1) | instskip(SKIP_1) | instid1(VALU_DEP_2)
	v_sub_nc_u32_e32 v5, v7, v5
	v_ashrrev_i32_e32 v7, 8, v9
	v_add_nc_u32_e32 v5, 0x3c000000, v5
	s_delay_alu instid0(VALU_DEP_1) | instskip(NEXT) | instid1(VALU_DEP_1)
	v_and_or_b32 v5, 0x7f800000, v7, v5
	v_cndmask_b32_e32 v3, 0, v5, vcc_lo
	s_delay_alu instid0(VALU_DEP_1) | instskip(SKIP_1) | instid1(VALU_DEP_2)
	v_and_or_b32 v1, 0x80000000, v1, v3
	v_bfe_u32 v3, v3, 16, 1
	v_cmp_o_f32_e32 vcc_lo, v1, v1
	s_delay_alu instid0(VALU_DEP_2) | instskip(NEXT) | instid1(VALU_DEP_1)
	v_add3_u32 v3, v1, v3, 0x7fff
	v_lshrrev_b32_e32 v3, 16, v3
	s_delay_alu instid0(VALU_DEP_1)
	v_cndmask_b32_e32 v1, 0x7fc0, v3, vcc_lo
.LBB35_1232:
	s_mov_b32 s10, 0
.LBB35_1233:
	s_delay_alu instid0(SALU_CYCLE_1)
	s_and_not1_b32 vcc_lo, exec_lo, s10
	s_cbranch_vccnz .LBB35_1235
; %bb.1234:
	s_wait_loadcnt 0x0
	global_load_u8 v1, v[14:15], off
	s_wait_loadcnt 0x0
	v_lshlrev_b32_e32 v3, 25, v1
	v_lshlrev_b16 v1, 8, v1
	s_delay_alu instid0(VALU_DEP_1) | instskip(SKIP_1) | instid1(VALU_DEP_2)
	v_and_or_b32 v7, 0x7f00, v1, 0.5
	v_bfe_i32 v1, v1, 0, 16
	v_add_f32_e32 v7, -0.5, v7
	v_lshrrev_b32_e32 v5, 4, v3
	v_cmp_gt_u32_e32 vcc_lo, 0x8000000, v3
	s_delay_alu instid0(VALU_DEP_2) | instskip(NEXT) | instid1(VALU_DEP_1)
	v_or_b32_e32 v5, 0x70000000, v5
	v_mul_f32_e32 v5, 0x7800000, v5
	s_delay_alu instid0(VALU_DEP_1) | instskip(NEXT) | instid1(VALU_DEP_1)
	v_cndmask_b32_e32 v3, v5, v7, vcc_lo
	v_and_or_b32 v1, 0x80000000, v1, v3
	v_bfe_u32 v3, v3, 16, 1
	s_delay_alu instid0(VALU_DEP_2) | instskip(NEXT) | instid1(VALU_DEP_2)
	v_cmp_o_f32_e32 vcc_lo, v1, v1
	v_add3_u32 v3, v1, v3, 0x7fff
	s_delay_alu instid0(VALU_DEP_1) | instskip(NEXT) | instid1(VALU_DEP_1)
	v_lshrrev_b32_e32 v3, 16, v3
	v_cndmask_b32_e32 v1, 0x7fc0, v3, vcc_lo
.LBB35_1235:
	s_mov_b32 s13, -1
	s_mov_b32 s12, 0
	s_cbranch_execnz .LBB35_1246
.LBB35_1236:
	s_cmp_gt_i32 s0, 14
	s_cbranch_scc0 .LBB35_1239
; %bb.1237:
	s_cmp_eq_u32 s0, 15
	s_cbranch_scc0 .LBB35_1242
; %bb.1238:
	s_wait_loadcnt 0x0
	global_load_u16 v1, v[14:15], off
	s_mov_b32 s1, 0
	s_mov_b32 s13, -1
	s_branch .LBB35_1243
.LBB35_1239:
	s_mov_b32 s10, -1
                                        ; implicit-def: $vgpr1
	s_branch .LBB35_1244
.LBB35_1240:
	s_or_saveexec_b32 s12, s12
	v_mov_b32_e32 v3, 0x7f800001
	s_xor_b32 exec_lo, exec_lo, s12
	s_cbranch_execz .LBB35_1222
.LBB35_1241:
	v_cmp_ne_u16_e32 vcc_lo, 0, v1
	v_mov_b32_e32 v3, 0
	s_and_not1_b32 s10, s10, exec_lo
	s_and_b32 s13, vcc_lo, exec_lo
	s_delay_alu instid0(SALU_CYCLE_1)
	s_or_b32 s10, s10, s13
	s_or_b32 exec_lo, exec_lo, s12
	s_and_saveexec_b32 s12, s10
	s_cbranch_execnz .LBB35_1223
	s_branch .LBB35_1224
.LBB35_1242:
	s_mov_b32 s1, -1
                                        ; implicit-def: $vgpr1
.LBB35_1243:
	s_mov_b32 s10, 0
.LBB35_1244:
	s_delay_alu instid0(SALU_CYCLE_1)
	s_and_b32 vcc_lo, exec_lo, s10
	s_cbranch_vccz .LBB35_1246
; %bb.1245:
	s_cmp_lg_u32 s0, 11
	s_mov_b32 s12, -1
	s_cselect_b32 s1, -1, 0
.LBB35_1246:
	s_delay_alu instid0(SALU_CYCLE_1)
	s_and_b32 vcc_lo, exec_lo, s1
	s_mov_b32 s10, s8
	s_cbranch_vccnz .LBB35_1311
; %bb.1247:
	s_and_not1_b32 vcc_lo, exec_lo, s12
	s_cbranch_vccnz .LBB35_1249
.LBB35_1248:
	s_wait_loadcnt 0x0
	global_load_u8 v1, v[14:15], off
	s_mov_b32 s13, -1
	s_wait_loadcnt 0x0
	v_cmp_ne_u16_e32 vcc_lo, 0, v1
	v_cndmask_b32_e64 v1, 0, 1.0, vcc_lo
	s_delay_alu instid0(VALU_DEP_1)
	v_lshrrev_b32_e32 v1, 16, v1
.LBB35_1249:
	s_branch .LBB35_1178
.LBB35_1250:
	s_and_b32 s0, 0xffff, s11
	s_delay_alu instid0(SALU_CYCLE_1)
	s_cmp_lt_i32 s0, 5
	s_cbranch_scc1 .LBB35_1255
; %bb.1251:
	s_cmp_lt_i32 s0, 8
	s_cbranch_scc1 .LBB35_1256
; %bb.1252:
	;; [unrolled: 3-line block ×3, first 2 shown]
	s_cmp_gt_i32 s0, 9
	s_cbranch_scc0 .LBB35_1258
; %bb.1254:
	global_load_b64 v[16:17], v[14:15], off
	s_mov_b32 s1, 0
	s_wait_loadcnt 0x0
	v_cvt_f32_f64_e32 v1, v[16:17]
	s_delay_alu instid0(VALU_DEP_1) | instskip(SKIP_1) | instid1(VALU_DEP_2)
	v_bfe_u32 v3, v1, 16, 1
	v_cmp_o_f32_e32 vcc_lo, v1, v1
	v_add3_u32 v3, v1, v3, 0x7fff
	s_delay_alu instid0(VALU_DEP_1) | instskip(NEXT) | instid1(VALU_DEP_1)
	v_lshrrev_b32_e32 v3, 16, v3
	v_cndmask_b32_e32 v1, 0x7fc0, v3, vcc_lo
	s_branch .LBB35_1259
.LBB35_1255:
                                        ; implicit-def: $vgpr1
	s_branch .LBB35_1276
.LBB35_1256:
                                        ; implicit-def: $vgpr1
	s_branch .LBB35_1265
.LBB35_1257:
	s_mov_b32 s1, -1
                                        ; implicit-def: $vgpr1
	s_branch .LBB35_1262
.LBB35_1258:
	s_mov_b32 s1, -1
                                        ; implicit-def: $vgpr1
.LBB35_1259:
	s_delay_alu instid0(SALU_CYCLE_1)
	s_and_not1_b32 vcc_lo, exec_lo, s1
	s_cbranch_vccnz .LBB35_1261
; %bb.1260:
	s_wait_loadcnt 0x0
	global_load_b32 v1, v[14:15], off
	s_wait_loadcnt 0x0
	v_bfe_u32 v3, v1, 16, 1
	v_cmp_o_f32_e32 vcc_lo, v1, v1
	s_delay_alu instid0(VALU_DEP_2) | instskip(NEXT) | instid1(VALU_DEP_1)
	v_add3_u32 v3, v1, v3, 0x7fff
	v_lshrrev_b32_e32 v3, 16, v3
	s_delay_alu instid0(VALU_DEP_1)
	v_cndmask_b32_e32 v1, 0x7fc0, v3, vcc_lo
.LBB35_1261:
	s_mov_b32 s1, 0
.LBB35_1262:
	s_delay_alu instid0(SALU_CYCLE_1)
	s_and_not1_b32 vcc_lo, exec_lo, s1
	s_cbranch_vccnz .LBB35_1264
; %bb.1263:
	s_wait_loadcnt 0x0
	global_load_b32 v1, v[14:15], off
	s_wait_loadcnt 0x0
	v_cvt_f32_f16_e32 v3, v1
	v_cmp_o_f16_e32 vcc_lo, v1, v1
	s_delay_alu instid0(VALU_DEP_2) | instskip(NEXT) | instid1(VALU_DEP_1)
	v_bfe_u32 v5, v3, 16, 1
	v_add3_u32 v3, v3, v5, 0x7fff
	s_delay_alu instid0(VALU_DEP_1) | instskip(NEXT) | instid1(VALU_DEP_1)
	v_lshrrev_b32_e32 v3, 16, v3
	v_cndmask_b32_e32 v1, 0x7fc0, v3, vcc_lo
.LBB35_1264:
	s_cbranch_execnz .LBB35_1275
.LBB35_1265:
	s_cmp_lt_i32 s0, 6
	s_cbranch_scc1 .LBB35_1268
; %bb.1266:
	s_cmp_gt_i32 s0, 6
	s_cbranch_scc0 .LBB35_1269
; %bb.1267:
	global_load_b64 v[16:17], v[14:15], off
	s_mov_b32 s1, 0
	s_wait_loadcnt 0x0
	v_cvt_f32_f64_e32 v1, v[16:17]
	s_delay_alu instid0(VALU_DEP_1) | instskip(SKIP_1) | instid1(VALU_DEP_2)
	v_bfe_u32 v3, v1, 16, 1
	v_cmp_o_f32_e32 vcc_lo, v1, v1
	v_add3_u32 v3, v1, v3, 0x7fff
	s_delay_alu instid0(VALU_DEP_1) | instskip(NEXT) | instid1(VALU_DEP_1)
	v_lshrrev_b32_e32 v3, 16, v3
	v_cndmask_b32_e32 v1, 0x7fc0, v3, vcc_lo
	s_branch .LBB35_1270
.LBB35_1268:
	s_mov_b32 s1, -1
                                        ; implicit-def: $vgpr1
	s_branch .LBB35_1273
.LBB35_1269:
	s_mov_b32 s1, -1
                                        ; implicit-def: $vgpr1
.LBB35_1270:
	s_delay_alu instid0(SALU_CYCLE_1)
	s_and_not1_b32 vcc_lo, exec_lo, s1
	s_cbranch_vccnz .LBB35_1272
; %bb.1271:
	s_wait_loadcnt 0x0
	global_load_b32 v1, v[14:15], off
	s_wait_loadcnt 0x0
	v_bfe_u32 v3, v1, 16, 1
	v_cmp_o_f32_e32 vcc_lo, v1, v1
	s_delay_alu instid0(VALU_DEP_2) | instskip(NEXT) | instid1(VALU_DEP_1)
	v_add3_u32 v3, v1, v3, 0x7fff
	v_lshrrev_b32_e32 v3, 16, v3
	s_delay_alu instid0(VALU_DEP_1)
	v_cndmask_b32_e32 v1, 0x7fc0, v3, vcc_lo
.LBB35_1272:
	s_mov_b32 s1, 0
.LBB35_1273:
	s_delay_alu instid0(SALU_CYCLE_1)
	s_and_not1_b32 vcc_lo, exec_lo, s1
	s_cbranch_vccnz .LBB35_1275
; %bb.1274:
	s_wait_loadcnt 0x0
	global_load_u16 v1, v[14:15], off
	s_wait_loadcnt 0x0
	v_cvt_f32_f16_e32 v3, v1
	v_cmp_o_f16_e32 vcc_lo, v1, v1
	s_delay_alu instid0(VALU_DEP_2) | instskip(NEXT) | instid1(VALU_DEP_1)
	v_bfe_u32 v5, v3, 16, 1
	v_add3_u32 v3, v3, v5, 0x7fff
	s_delay_alu instid0(VALU_DEP_1) | instskip(NEXT) | instid1(VALU_DEP_1)
	v_lshrrev_b32_e32 v3, 16, v3
	v_cndmask_b32_e32 v1, 0x7fc0, v3, vcc_lo
.LBB35_1275:
	s_cbranch_execnz .LBB35_1294
.LBB35_1276:
	s_cmp_lt_i32 s0, 2
	s_cbranch_scc1 .LBB35_1280
; %bb.1277:
	s_cmp_lt_i32 s0, 3
	s_cbranch_scc1 .LBB35_1281
; %bb.1278:
	s_cmp_gt_i32 s0, 3
	s_cbranch_scc0 .LBB35_1282
; %bb.1279:
	global_load_b64 v[16:17], v[14:15], off
	s_mov_b32 s1, 0
	s_wait_loadcnt 0x0
	v_xor_b32_e32 v1, v16, v17
	v_cls_i32_e32 v3, v17
	s_delay_alu instid0(VALU_DEP_2) | instskip(NEXT) | instid1(VALU_DEP_1)
	v_ashrrev_i32_e32 v1, 31, v1
	v_add_nc_u32_e32 v1, 32, v1
	s_delay_alu instid0(VALU_DEP_1) | instskip(NEXT) | instid1(VALU_DEP_1)
	v_add_min_u32_e64 v1, v3, -1, v1
	v_lshlrev_b64_e32 v[16:17], v1, v[16:17]
	v_sub_nc_u32_e32 v1, 32, v1
	s_delay_alu instid0(VALU_DEP_2) | instskip(NEXT) | instid1(VALU_DEP_1)
	v_min_u32_e32 v3, 1, v16
	v_or_b32_e32 v3, v17, v3
	s_delay_alu instid0(VALU_DEP_1) | instskip(NEXT) | instid1(VALU_DEP_1)
	v_cvt_f32_i32_e32 v3, v3
	v_ldexp_f32 v1, v3, v1
	s_delay_alu instid0(VALU_DEP_1) | instskip(NEXT) | instid1(VALU_DEP_1)
	v_bfe_u32 v3, v1, 16, 1
	v_add3_u32 v1, v1, v3, 0x7fff
	s_delay_alu instid0(VALU_DEP_1)
	v_lshrrev_b32_e32 v1, 16, v1
	s_branch .LBB35_1283
.LBB35_1280:
                                        ; implicit-def: $vgpr1
	s_branch .LBB35_1289
.LBB35_1281:
	s_mov_b32 s1, -1
                                        ; implicit-def: $vgpr1
	s_branch .LBB35_1286
.LBB35_1282:
	s_mov_b32 s1, -1
                                        ; implicit-def: $vgpr1
.LBB35_1283:
	s_delay_alu instid0(SALU_CYCLE_1)
	s_and_not1_b32 vcc_lo, exec_lo, s1
	s_cbranch_vccnz .LBB35_1285
; %bb.1284:
	s_wait_loadcnt 0x0
	global_load_b32 v1, v[14:15], off
	s_wait_loadcnt 0x0
	v_cvt_f32_i32_e32 v1, v1
	s_delay_alu instid0(VALU_DEP_1) | instskip(NEXT) | instid1(VALU_DEP_1)
	v_bfe_u32 v3, v1, 16, 1
	v_add3_u32 v1, v1, v3, 0x7fff
	s_delay_alu instid0(VALU_DEP_1)
	v_lshrrev_b32_e32 v1, 16, v1
.LBB35_1285:
	s_mov_b32 s1, 0
.LBB35_1286:
	s_delay_alu instid0(SALU_CYCLE_1)
	s_and_not1_b32 vcc_lo, exec_lo, s1
	s_cbranch_vccnz .LBB35_1288
; %bb.1287:
	s_wait_loadcnt 0x0
	global_load_i16 v1, v[14:15], off
	s_wait_loadcnt 0x0
	v_cvt_f32_i32_e32 v1, v1
	s_delay_alu instid0(VALU_DEP_1) | instskip(NEXT) | instid1(VALU_DEP_1)
	v_bfe_u32 v3, v1, 16, 1
	v_add3_u32 v1, v1, v3, 0x7fff
	s_delay_alu instid0(VALU_DEP_1)
	v_lshrrev_b32_e32 v1, 16, v1
.LBB35_1288:
	s_cbranch_execnz .LBB35_1294
.LBB35_1289:
	s_cmp_gt_i32 s0, 0
	s_mov_b32 s0, 0
	s_cbranch_scc0 .LBB35_1291
; %bb.1290:
	s_wait_loadcnt 0x0
	global_load_i8 v1, v[14:15], off
	s_wait_loadcnt 0x0
	v_cvt_f32_i32_e32 v1, v1
	s_delay_alu instid0(VALU_DEP_1) | instskip(NEXT) | instid1(VALU_DEP_1)
	v_bfe_u32 v3, v1, 16, 1
	v_add3_u32 v1, v1, v3, 0x7fff
	s_delay_alu instid0(VALU_DEP_1)
	v_lshrrev_b32_e32 v1, 16, v1
	s_branch .LBB35_1292
.LBB35_1291:
	s_mov_b32 s0, -1
                                        ; implicit-def: $vgpr1
.LBB35_1292:
	s_delay_alu instid0(SALU_CYCLE_1)
	s_and_not1_b32 vcc_lo, exec_lo, s0
	s_cbranch_vccnz .LBB35_1294
; %bb.1293:
	s_wait_loadcnt 0x0
	global_load_u8 v1, v[14:15], off
	s_wait_loadcnt 0x0
	v_cvt_f32_ubyte0_e32 v1, v1
	s_delay_alu instid0(VALU_DEP_1) | instskip(NEXT) | instid1(VALU_DEP_1)
	v_bfe_u32 v3, v1, 16, 1
	v_add3_u32 v1, v1, v3, 0x7fff
	s_delay_alu instid0(VALU_DEP_1)
	v_lshrrev_b32_e32 v1, 16, v1
.LBB35_1294:
.LBB35_1295:
	s_wait_loadcnt 0x0
	s_delay_alu instid0(VALU_DEP_1) | instskip(SKIP_1) | instid1(VALU_DEP_1)
	v_lshlrev_b32_e32 v1, 16, v1
                                        ; implicit-def: $vgpr14
                                        ; implicit-def: $vgpr5
	s_mov_b32 s1, exec_lo
	v_and_b32_e32 v3, 0x7fffffff, v1
	s_wait_xcnt 0x0
	v_cmpx_ngt_f32_e64 0x48000000, |v1|
	s_xor_b32 s12, exec_lo, s1
	s_cbranch_execz .LBB35_1297
; %bb.1296:
	s_mov_b32 s0, 0x7fffff
	v_mov_b32_e32 v15, 0
	v_and_or_b32 v14, v3, s0, 0x800000
	s_mov_b64 s[0:1], 0xfe5163ab
	v_lshrrev_b32_e32 v5, 23, v3
	s_delay_alu instid0(VALU_DEP_2) | instskip(NEXT) | instid1(VALU_DEP_1)
	v_mul_u64_e32 v[16:17], s[0:1], v[14:15]
	v_dual_mov_b32 v18, v17 :: v_dual_mov_b32 v19, v15
	v_dual_mov_b32 v21, v15 :: v_dual_mov_b32 v23, v15
	v_mov_b32_e32 v25, v15
	s_delay_alu instid0(VALU_DEP_3) | instskip(NEXT) | instid1(VALU_DEP_1)
	v_mad_nc_u64_u32 v[18:19], 0x3c439041, v14, v[18:19]
	v_mov_b32_e32 v20, v19
	s_delay_alu instid0(VALU_DEP_1) | instskip(NEXT) | instid1(VALU_DEP_1)
	v_mad_nc_u64_u32 v[20:21], 0xdb629599, v14, v[20:21]
	v_mov_b32_e32 v22, v21
	s_delay_alu instid0(VALU_DEP_1) | instskip(NEXT) | instid1(VALU_DEP_1)
	;; [unrolled: 3-line block ×3, first 2 shown]
	v_mad_nc_u64_u32 v[24:25], 0xfc2757d1, v14, v[24:25]
	v_dual_mov_b32 v27, v15 :: v_dual_mov_b32 v26, v25
	s_delay_alu instid0(VALU_DEP_1) | instskip(NEXT) | instid1(VALU_DEP_1)
	v_mad_nc_u64_u32 v[26:27], 0x4e441529, v14, v[26:27]
	v_dual_mov_b32 v28, v27 :: v_dual_add_nc_u32 v5, 0xffffff88, v5
	s_delay_alu instid0(VALU_DEP_1) | instskip(SKIP_2) | instid1(VALU_DEP_2)
	v_cmp_lt_u32_e32 vcc_lo, 63, v5
	v_mov_b32_e32 v29, v15
	v_cndmask_b32_e64 v7, 0, 0xffffffc0, vcc_lo
	v_mad_nc_u64_u32 v[14:15], 0xa2f9836e, v14, v[28:29]
	v_dual_cndmask_b32 v9, v26, v22 :: v_dual_cndmask_b32 v16, v20, v16
	s_delay_alu instid0(VALU_DEP_3) | instskip(NEXT) | instid1(VALU_DEP_1)
	v_add_nc_u32_e32 v5, v7, v5
	v_cmp_lt_u32_e64 s0, 31, v5
	s_delay_alu instid0(VALU_DEP_4) | instskip(SKIP_1) | instid1(VALU_DEP_3)
	v_cndmask_b32_e32 v11, v14, v24, vcc_lo
	v_cndmask_b32_e32 v14, v24, v20, vcc_lo
	v_cndmask_b32_e64 v7, 0, 0xffffffe0, s0
	s_delay_alu instid0(VALU_DEP_1) | instskip(NEXT) | instid1(VALU_DEP_1)
	v_add_nc_u32_e32 v5, v7, v5
	v_cmp_lt_u32_e64 s1, 31, v5
	s_delay_alu instid0(VALU_DEP_1) | instskip(NEXT) | instid1(VALU_DEP_1)
	v_cndmask_b32_e64 v7, 0, 0xffffffe0, s1
	v_dual_add_nc_u32 v5, v7, v5 :: v_dual_cndmask_b32 v7, v22, v18, vcc_lo
	v_cndmask_b32_e32 v13, v15, v26, vcc_lo
	v_dual_cndmask_b32 v15, v11, v9, s0 :: v_dual_cndmask_b32 v9, v9, v14, s0
	s_delay_alu instid0(VALU_DEP_3) | instskip(NEXT) | instid1(VALU_DEP_4)
	v_cmp_eq_u32_e32 vcc_lo, 0, v5
	v_cndmask_b32_e64 v14, v14, v7, s0
	s_delay_alu instid0(VALU_DEP_4) | instskip(SKIP_1) | instid1(VALU_DEP_2)
	v_dual_cndmask_b32 v11, v13, v11, s0 :: v_dual_sub_nc_u32 v13, 32, v5
	v_cndmask_b32_e64 v7, v7, v16, s0
	v_cndmask_b32_e64 v11, v11, v15, s1
	s_delay_alu instid0(VALU_DEP_4) | instskip(NEXT) | instid1(VALU_DEP_1)
	v_dual_cndmask_b32 v15, v15, v9, s1 :: v_dual_cndmask_b32 v9, v9, v14, s1
	v_alignbit_b32 v17, v11, v15, v13
	s_delay_alu instid0(VALU_DEP_2) | instskip(NEXT) | instid1(VALU_DEP_2)
	v_alignbit_b32 v18, v15, v9, v13
	v_cndmask_b32_e32 v5, v17, v11, vcc_lo
	s_delay_alu instid0(VALU_DEP_2) | instskip(NEXT) | instid1(VALU_DEP_2)
	v_cndmask_b32_e32 v11, v18, v15, vcc_lo
	v_bfe_u32 v15, v5, 29, 1
	s_delay_alu instid0(VALU_DEP_1) | instskip(SKIP_1) | instid1(VALU_DEP_4)
	v_sub_nc_u32_e32 v16, 0, v15
	v_cndmask_b32_e64 v7, v14, v7, s1
	v_alignbit_b32 v14, v5, v11, 30
	s_delay_alu instid0(VALU_DEP_1) | instskip(NEXT) | instid1(VALU_DEP_3)
	v_xor_b32_e32 v14, v14, v16
	v_alignbit_b32 v13, v9, v7, v13
	s_delay_alu instid0(VALU_DEP_1) | instskip(NEXT) | instid1(VALU_DEP_3)
	v_cndmask_b32_e32 v9, v13, v9, vcc_lo
	v_clz_i32_u32_e32 v13, v14
	s_delay_alu instid0(VALU_DEP_2) | instskip(NEXT) | instid1(VALU_DEP_2)
	v_alignbit_b32 v7, v9, v7, 30
	v_min_u32_e32 v13, 32, v13
	s_delay_alu instid0(VALU_DEP_2) | instskip(SKIP_1) | instid1(VALU_DEP_1)
	v_xor_b32_e32 v7, v7, v16
	v_alignbit_b32 v11, v11, v9, 30
	v_dual_lshlrev_b32 v17, 23, v13 :: v_dual_bitop2_b32 v9, v11, v16 bitop3:0x14
	v_sub_nc_u32_e32 v11, 31, v13
	s_delay_alu instid0(VALU_DEP_1) | instskip(SKIP_2) | instid1(VALU_DEP_1)
	v_alignbit_b32 v14, v14, v9, v11
	v_lshrrev_b32_e32 v16, 29, v5
	v_alignbit_b32 v7, v9, v7, v11
	v_alignbit_b32 v11, v14, v7, 9
	s_delay_alu instid0(VALU_DEP_3) | instskip(NEXT) | instid1(VALU_DEP_2)
	v_dual_lshrrev_b32 v14, 9, v14 :: v_dual_lshlrev_b32 v9, 31, v16
	v_clz_i32_u32_e32 v18, v11
	s_delay_alu instid0(VALU_DEP_2) | instskip(SKIP_1) | instid1(VALU_DEP_2)
	v_or_b32_e32 v16, 0.5, v9
	v_or_b32_e32 v9, 0x33000000, v9
	v_sub_nc_u32_e32 v16, v16, v17
	s_delay_alu instid0(VALU_DEP_4) | instskip(NEXT) | instid1(VALU_DEP_1)
	v_min_u32_e32 v17, 32, v18
	v_add_lshl_u32 v13, v17, v13, 23
	s_delay_alu instid0(VALU_DEP_3) | instskip(SKIP_1) | instid1(VALU_DEP_3)
	v_or_b32_e32 v14, v14, v16
	v_not_b32_e32 v16, v17
	v_sub_nc_u32_e32 v9, v9, v13
	s_delay_alu instid0(VALU_DEP_2) | instskip(NEXT) | instid1(VALU_DEP_1)
	v_alignbit_b32 v7, v11, v7, v16
	v_lshrrev_b32_e32 v7, 9, v7
	s_delay_alu instid0(VALU_DEP_1) | instskip(SKIP_1) | instid1(VALU_DEP_1)
	v_or_b32_e32 v7, v9, v7
	v_mul_f32_e32 v18, 0x3fc90fda, v14
	v_fma_f32 v11, 0x3fc90fda, v14, -v18
	s_delay_alu instid0(VALU_DEP_1) | instskip(NEXT) | instid1(VALU_DEP_1)
	v_fmamk_f32 v11, v14, 0x33a22168, v11
	v_fmac_f32_e32 v11, 0x3fc90fda, v7
	s_delay_alu instid0(VALU_DEP_1) | instskip(NEXT) | instid1(VALU_DEP_1)
	v_dual_lshrrev_b32 v7, 30, v5 :: v_dual_add_f32 v5, v18, v11
	v_add_nc_u32_e32 v14, v15, v7
.LBB35_1297:
	s_and_not1_saveexec_b32 s0, s12
; %bb.1298:
	v_mul_f32_e64 v5, 0x3f22f983, |v1|
	s_delay_alu instid0(VALU_DEP_1) | instskip(NEXT) | instid1(VALU_DEP_1)
	v_rndne_f32_e32 v7, v5
	v_fma_f32 v5, 0xbfc90fda, v7, |v1|
	v_cvt_i32_f32_e32 v14, v7
	s_delay_alu instid0(VALU_DEP_2) | instskip(NEXT) | instid1(VALU_DEP_1)
	v_fmamk_f32 v5, v7, 0xb3a22168, v5
	v_fmamk_f32 v5, v7, 0xa7c234c4, v5
; %bb.1299:
	s_or_b32 exec_lo, exec_lo, s0
	v_mov_b32_e32 v13, 0
	s_and_b32 s11, 0xffff, s11
	s_delay_alu instid0(SALU_CYCLE_1) | instskip(NEXT) | instid1(VALU_DEP_1)
	s_cmp_lt_i32 s11, 11
	v_add_nc_u64_e32 v[12:13], s[6:7], v[12:13]
	s_cbranch_scc1 .LBB35_1306
; %bb.1300:
	s_cmp_gt_i32 s11, 25
	s_mov_b32 s1, 0
	s_cbranch_scc0 .LBB35_1308
; %bb.1301:
	s_cmp_gt_i32 s11, 28
	s_cbranch_scc0 .LBB35_1309
; %bb.1302:
	s_cmp_gt_i32 s11, 43
	;; [unrolled: 3-line block ×3, first 2 shown]
	s_cbranch_scc0 .LBB35_1312
; %bb.1304:
	s_cmp_eq_u32 s11, 46
	s_mov_b32 s13, 0
	s_cbranch_scc0 .LBB35_1315
; %bb.1305:
	global_load_b32 v7, v[12:13], off
	s_mov_b32 s0, 0
	s_mov_b32 s12, -1
	s_branch .LBB35_1317
.LBB35_1306:
	s_mov_b32 s12, 0
                                        ; implicit-def: $vgpr7
	s_cbranch_execnz .LBB35_1382
.LBB35_1307:
	s_and_not1_b32 vcc_lo, exec_lo, s12
	s_cbranch_vccz .LBB35_1429
	s_branch .LBB35_2132
.LBB35_1308:
	s_mov_b32 s12, 0
	s_mov_b32 s0, 0
                                        ; implicit-def: $vgpr7
	s_cbranch_execnz .LBB35_1346
	s_branch .LBB35_1378
.LBB35_1309:
	s_mov_b32 s13, -1
	s_mov_b32 s12, 0
	s_mov_b32 s0, 0
                                        ; implicit-def: $vgpr7
	s_branch .LBB35_1327
.LBB35_1310:
	s_mov_b32 s13, -1
	s_mov_b32 s12, 0
	s_mov_b32 s0, 0
                                        ; implicit-def: $vgpr7
	s_branch .LBB35_1322
.LBB35_1311:
	s_or_b32 s10, s8, exec_lo
	s_trap 2
	s_cbranch_execz .LBB35_1248
	s_branch .LBB35_1249
.LBB35_1312:
	s_mov_b32 s13, -1
	s_mov_b32 s12, 0
	s_mov_b32 s0, 0
	s_branch .LBB35_1316
.LBB35_1313:
	s_and_not1_saveexec_b32 s10, s10
	s_cbranch_execz .LBB35_1031
.LBB35_1314:
	v_add_f32_e64 v4, 0x42800000, |v5|
	s_and_not1_b32 s9, s9, exec_lo
	s_delay_alu instid0(VALU_DEP_1) | instskip(NEXT) | instid1(VALU_DEP_1)
	v_and_b32_e32 v4, 0xff, v4
	v_cmp_ne_u32_e32 vcc_lo, 0, v4
	s_and_b32 s11, vcc_lo, exec_lo
	s_delay_alu instid0(SALU_CYCLE_1)
	s_or_b32 s9, s9, s11
	s_or_b32 exec_lo, exec_lo, s10
	v_mov_b32_e32 v6, 0
	s_and_saveexec_b32 s10, s9
	s_cbranch_execnz .LBB35_1032
	s_branch .LBB35_1033
.LBB35_1315:
	s_mov_b32 s0, -1
	s_mov_b32 s12, 0
.LBB35_1316:
                                        ; implicit-def: $vgpr7
.LBB35_1317:
	s_and_b32 vcc_lo, exec_lo, s13
	s_cbranch_vccz .LBB35_1321
; %bb.1318:
	s_cmp_eq_u32 s11, 44
	s_cbranch_scc0 .LBB35_1320
; %bb.1319:
	s_wait_loadcnt 0x0
	global_load_u8 v7, v[12:13], off
	s_mov_b32 s0, 0
	s_mov_b32 s12, -1
	s_wait_loadcnt 0x0
	v_lshlrev_b32_e32 v9, 23, v7
	v_cmp_ne_u32_e32 vcc_lo, 0xff, v7
	s_delay_alu instid0(VALU_DEP_2) | instskip(SKIP_1) | instid1(VALU_DEP_2)
	v_cndmask_b32_e32 v9, 0x7f800001, v9, vcc_lo
	v_cmp_ne_u32_e32 vcc_lo, 0, v7
	v_cndmask_b32_e32 v7, 0x400000, v9, vcc_lo
	s_delay_alu instid0(VALU_DEP_1) | instskip(SKIP_1) | instid1(VALU_DEP_2)
	v_add_nc_u32_e32 v9, 0x7fff, v7
	v_cmp_o_f32_e32 vcc_lo, v7, v7
	v_lshrrev_b32_e32 v9, 16, v9
	s_delay_alu instid0(VALU_DEP_1)
	v_cndmask_b32_e32 v7, 0x7fc0, v9, vcc_lo
	s_branch .LBB35_1321
.LBB35_1320:
	s_mov_b32 s0, -1
                                        ; implicit-def: $vgpr7
.LBB35_1321:
	s_mov_b32 s13, 0
.LBB35_1322:
	s_delay_alu instid0(SALU_CYCLE_1)
	s_and_b32 vcc_lo, exec_lo, s13
	s_cbranch_vccz .LBB35_1326
; %bb.1323:
	s_cmp_eq_u32 s11, 29
	s_cbranch_scc0 .LBB35_1325
; %bb.1324:
	global_load_b64 v[16:17], v[12:13], off
	s_mov_b32 s0, 0
	s_mov_b32 s12, -1
	s_mov_b32 s13, 0
	s_wait_loadcnt 0x0
	v_clz_i32_u32_e32 v7, v17
	s_delay_alu instid0(VALU_DEP_1) | instskip(NEXT) | instid1(VALU_DEP_1)
	v_min_u32_e32 v7, 32, v7
	v_lshlrev_b64_e32 v[16:17], v7, v[16:17]
	v_sub_nc_u32_e32 v7, 32, v7
	s_delay_alu instid0(VALU_DEP_2) | instskip(NEXT) | instid1(VALU_DEP_1)
	v_min_u32_e32 v9, 1, v16
	v_or_b32_e32 v9, v17, v9
	s_delay_alu instid0(VALU_DEP_1) | instskip(NEXT) | instid1(VALU_DEP_1)
	v_cvt_f32_u32_e32 v9, v9
	v_ldexp_f32 v7, v9, v7
	s_delay_alu instid0(VALU_DEP_1) | instskip(NEXT) | instid1(VALU_DEP_1)
	v_bfe_u32 v9, v7, 16, 1
	v_add3_u32 v7, v7, v9, 0x7fff
	s_delay_alu instid0(VALU_DEP_1)
	v_lshrrev_b32_e32 v7, 16, v7
	s_branch .LBB35_1327
.LBB35_1325:
	s_mov_b32 s0, -1
                                        ; implicit-def: $vgpr7
.LBB35_1326:
	s_mov_b32 s13, 0
.LBB35_1327:
	s_delay_alu instid0(SALU_CYCLE_1)
	s_and_b32 vcc_lo, exec_lo, s13
	s_cbranch_vccz .LBB35_1345
; %bb.1328:
	s_cmp_lt_i32 s11, 27
	s_cbranch_scc1 .LBB35_1331
; %bb.1329:
	s_cmp_gt_i32 s11, 27
	s_cbranch_scc0 .LBB35_1332
; %bb.1330:
	s_wait_loadcnt 0x0
	global_load_b32 v7, v[12:13], off
	s_mov_b32 s12, 0
	s_wait_loadcnt 0x0
	v_cvt_f32_u32_e32 v7, v7
	s_delay_alu instid0(VALU_DEP_1) | instskip(NEXT) | instid1(VALU_DEP_1)
	v_bfe_u32 v9, v7, 16, 1
	v_add3_u32 v7, v7, v9, 0x7fff
	s_delay_alu instid0(VALU_DEP_1)
	v_lshrrev_b32_e32 v7, 16, v7
	s_branch .LBB35_1333
.LBB35_1331:
	s_mov_b32 s12, -1
                                        ; implicit-def: $vgpr7
	s_branch .LBB35_1336
.LBB35_1332:
	s_mov_b32 s12, -1
                                        ; implicit-def: $vgpr7
.LBB35_1333:
	s_delay_alu instid0(SALU_CYCLE_1)
	s_and_not1_b32 vcc_lo, exec_lo, s12
	s_cbranch_vccnz .LBB35_1335
; %bb.1334:
	s_wait_loadcnt 0x0
	global_load_u16 v7, v[12:13], off
	s_wait_loadcnt 0x0
	v_cvt_f32_u32_e32 v7, v7
	s_delay_alu instid0(VALU_DEP_1) | instskip(NEXT) | instid1(VALU_DEP_1)
	v_bfe_u32 v9, v7, 16, 1
	v_add3_u32 v7, v7, v9, 0x7fff
	s_delay_alu instid0(VALU_DEP_1)
	v_lshrrev_b32_e32 v7, 16, v7
.LBB35_1335:
	s_mov_b32 s12, 0
.LBB35_1336:
	s_delay_alu instid0(SALU_CYCLE_1)
	s_and_not1_b32 vcc_lo, exec_lo, s12
	s_cbranch_vccnz .LBB35_1344
; %bb.1337:
	s_wait_loadcnt 0x0
	global_load_u8 v7, v[12:13], off
	s_mov_b32 s12, 0
	s_mov_b32 s13, exec_lo
	s_wait_loadcnt 0x0
	v_cmpx_lt_i16_e32 0x7f, v7
	s_xor_b32 s13, exec_lo, s13
	s_cbranch_execz .LBB35_1357
; %bb.1338:
	s_mov_b32 s12, -1
	s_mov_b32 s14, exec_lo
	v_cmpx_eq_u16_e32 0x80, v7
; %bb.1339:
	s_xor_b32 s12, exec_lo, -1
; %bb.1340:
	s_or_b32 exec_lo, exec_lo, s14
	s_delay_alu instid0(SALU_CYCLE_1)
	s_and_b32 s12, s12, exec_lo
	s_or_saveexec_b32 s13, s13
	v_mov_b32_e32 v9, 0x7f800001
	s_xor_b32 exec_lo, exec_lo, s13
	s_cbranch_execnz .LBB35_1358
.LBB35_1341:
	s_or_b32 exec_lo, exec_lo, s13
	s_and_saveexec_b32 s13, s12
	s_cbranch_execz .LBB35_1343
.LBB35_1342:
	v_and_b32_e32 v9, 0xffff, v7
	s_delay_alu instid0(VALU_DEP_1) | instskip(SKIP_1) | instid1(VALU_DEP_2)
	v_and_b32_e32 v11, 7, v9
	v_bfe_u32 v17, v9, 3, 4
	v_clz_i32_u32_e32 v15, v11
	s_delay_alu instid0(VALU_DEP_2) | instskip(NEXT) | instid1(VALU_DEP_2)
	v_cmp_eq_u32_e32 vcc_lo, 0, v17
	v_min_u32_e32 v15, 32, v15
	s_delay_alu instid0(VALU_DEP_1) | instskip(NEXT) | instid1(VALU_DEP_1)
	v_subrev_nc_u32_e32 v16, 28, v15
	v_dual_lshlrev_b32 v9, v16, v9 :: v_dual_sub_nc_u32 v15, 29, v15
	s_delay_alu instid0(VALU_DEP_1) | instskip(NEXT) | instid1(VALU_DEP_1)
	v_dual_lshlrev_b32 v7, 24, v7 :: v_dual_bitop2_b32 v9, 7, v9 bitop3:0x40
	v_dual_cndmask_b32 v9, v11, v9, vcc_lo :: v_dual_cndmask_b32 v15, v17, v15, vcc_lo
	s_delay_alu instid0(VALU_DEP_2) | instskip(NEXT) | instid1(VALU_DEP_2)
	v_and_b32_e32 v7, 0x80000000, v7
	v_lshlrev_b32_e32 v9, 20, v9
	s_delay_alu instid0(VALU_DEP_3) | instskip(NEXT) | instid1(VALU_DEP_1)
	v_lshl_add_u32 v11, v15, 23, 0x3b800000
	v_or3_b32 v9, v7, v11, v9
.LBB35_1343:
	s_or_b32 exec_lo, exec_lo, s13
	s_delay_alu instid0(VALU_DEP_1) | instskip(SKIP_1) | instid1(VALU_DEP_2)
	v_bfe_u32 v7, v9, 16, 1
	v_cmp_o_f32_e32 vcc_lo, v9, v9
	v_add3_u32 v7, v9, v7, 0x7fff
	s_delay_alu instid0(VALU_DEP_1) | instskip(NEXT) | instid1(VALU_DEP_1)
	v_lshrrev_b32_e32 v7, 16, v7
	v_cndmask_b32_e32 v7, 0x7fc0, v7, vcc_lo
.LBB35_1344:
	s_mov_b32 s12, -1
.LBB35_1345:
	s_branch .LBB35_1378
.LBB35_1346:
	s_cmp_gt_i32 s11, 22
	s_cbranch_scc0 .LBB35_1356
; %bb.1347:
	s_cmp_lt_i32 s11, 24
	s_cbranch_scc1 .LBB35_1359
; %bb.1348:
	s_cmp_gt_i32 s11, 24
	s_cbranch_scc0 .LBB35_1360
; %bb.1349:
	s_wait_loadcnt 0x0
	global_load_u8 v7, v[12:13], off
	s_mov_b32 s12, exec_lo
	s_wait_loadcnt 0x0
	v_cmpx_lt_i16_e32 0x7f, v7
	s_xor_b32 s12, exec_lo, s12
	s_cbranch_execz .LBB35_1372
; %bb.1350:
	s_mov_b32 s1, -1
	s_mov_b32 s13, exec_lo
	v_cmpx_eq_u16_e32 0x80, v7
; %bb.1351:
	s_xor_b32 s1, exec_lo, -1
; %bb.1352:
	s_or_b32 exec_lo, exec_lo, s13
	s_delay_alu instid0(SALU_CYCLE_1)
	s_and_b32 s1, s1, exec_lo
	s_or_saveexec_b32 s12, s12
	v_mov_b32_e32 v9, 0x7f800001
	s_xor_b32 exec_lo, exec_lo, s12
	s_cbranch_execnz .LBB35_1373
.LBB35_1353:
	s_or_b32 exec_lo, exec_lo, s12
	s_and_saveexec_b32 s12, s1
	s_cbranch_execz .LBB35_1355
.LBB35_1354:
	v_and_b32_e32 v9, 0xffff, v7
	s_delay_alu instid0(VALU_DEP_1) | instskip(SKIP_1) | instid1(VALU_DEP_2)
	v_and_b32_e32 v11, 3, v9
	v_bfe_u32 v17, v9, 2, 5
	v_clz_i32_u32_e32 v15, v11
	s_delay_alu instid0(VALU_DEP_2) | instskip(NEXT) | instid1(VALU_DEP_2)
	v_cmp_eq_u32_e32 vcc_lo, 0, v17
	v_min_u32_e32 v15, 32, v15
	s_delay_alu instid0(VALU_DEP_1) | instskip(NEXT) | instid1(VALU_DEP_1)
	v_subrev_nc_u32_e32 v16, 29, v15
	v_dual_lshlrev_b32 v9, v16, v9 :: v_dual_sub_nc_u32 v15, 30, v15
	s_delay_alu instid0(VALU_DEP_1) | instskip(NEXT) | instid1(VALU_DEP_1)
	v_dual_lshlrev_b32 v7, 24, v7 :: v_dual_bitop2_b32 v9, 3, v9 bitop3:0x40
	v_dual_cndmask_b32 v9, v11, v9, vcc_lo :: v_dual_cndmask_b32 v15, v17, v15, vcc_lo
	s_delay_alu instid0(VALU_DEP_2) | instskip(NEXT) | instid1(VALU_DEP_2)
	v_and_b32_e32 v7, 0x80000000, v7
	v_lshlrev_b32_e32 v9, 21, v9
	s_delay_alu instid0(VALU_DEP_3) | instskip(NEXT) | instid1(VALU_DEP_1)
	v_lshl_add_u32 v11, v15, 23, 0x37800000
	v_or3_b32 v9, v7, v11, v9
.LBB35_1355:
	s_or_b32 exec_lo, exec_lo, s12
	s_delay_alu instid0(VALU_DEP_1) | instskip(SKIP_2) | instid1(VALU_DEP_2)
	v_bfe_u32 v7, v9, 16, 1
	v_cmp_o_f32_e32 vcc_lo, v9, v9
	s_mov_b32 s1, 0
	v_add3_u32 v7, v9, v7, 0x7fff
	s_delay_alu instid0(VALU_DEP_1) | instskip(NEXT) | instid1(VALU_DEP_1)
	v_lshrrev_b32_e32 v7, 16, v7
	v_cndmask_b32_e32 v7, 0x7fc0, v7, vcc_lo
	s_branch .LBB35_1361
.LBB35_1356:
	s_mov_b32 s1, -1
                                        ; implicit-def: $vgpr7
	s_branch .LBB35_1367
.LBB35_1357:
	s_or_saveexec_b32 s13, s13
	v_mov_b32_e32 v9, 0x7f800001
	s_xor_b32 exec_lo, exec_lo, s13
	s_cbranch_execz .LBB35_1341
.LBB35_1358:
	v_cmp_ne_u16_e32 vcc_lo, 0, v7
	v_mov_b32_e32 v9, 0
	s_and_not1_b32 s12, s12, exec_lo
	s_and_b32 s14, vcc_lo, exec_lo
	s_delay_alu instid0(SALU_CYCLE_1)
	s_or_b32 s12, s12, s14
	s_or_b32 exec_lo, exec_lo, s13
	s_and_saveexec_b32 s13, s12
	s_cbranch_execnz .LBB35_1342
	s_branch .LBB35_1343
.LBB35_1359:
	s_mov_b32 s1, -1
                                        ; implicit-def: $vgpr7
	s_branch .LBB35_1364
.LBB35_1360:
	s_mov_b32 s1, -1
                                        ; implicit-def: $vgpr7
.LBB35_1361:
	s_delay_alu instid0(SALU_CYCLE_1)
	s_and_b32 vcc_lo, exec_lo, s1
	s_cbranch_vccz .LBB35_1363
; %bb.1362:
	s_wait_loadcnt 0x0
	global_load_u8 v7, v[12:13], off
	s_wait_loadcnt 0x0
	v_lshlrev_b32_e32 v7, 24, v7
	s_delay_alu instid0(VALU_DEP_1) | instskip(NEXT) | instid1(VALU_DEP_1)
	v_and_b32_e32 v9, 0x7f000000, v7
	v_clz_i32_u32_e32 v11, v9
	v_cmp_ne_u32_e32 vcc_lo, 0, v9
	v_add_nc_u32_e32 v16, 0x1000000, v9
	s_delay_alu instid0(VALU_DEP_3) | instskip(NEXT) | instid1(VALU_DEP_1)
	v_min_u32_e32 v11, 32, v11
	v_sub_nc_u32_e64 v11, v11, 4 clamp
	s_delay_alu instid0(VALU_DEP_1) | instskip(NEXT) | instid1(VALU_DEP_1)
	v_dual_lshlrev_b32 v15, v11, v9 :: v_dual_lshlrev_b32 v11, 23, v11
	v_lshrrev_b32_e32 v15, 4, v15
	s_delay_alu instid0(VALU_DEP_1) | instskip(NEXT) | instid1(VALU_DEP_1)
	v_dual_sub_nc_u32 v11, v15, v11 :: v_dual_ashrrev_i32 v15, 8, v16
	v_add_nc_u32_e32 v11, 0x3c000000, v11
	s_delay_alu instid0(VALU_DEP_1) | instskip(NEXT) | instid1(VALU_DEP_1)
	v_and_or_b32 v11, 0x7f800000, v15, v11
	v_cndmask_b32_e32 v9, 0, v11, vcc_lo
	s_delay_alu instid0(VALU_DEP_1) | instskip(SKIP_1) | instid1(VALU_DEP_2)
	v_and_or_b32 v7, 0x80000000, v7, v9
	v_bfe_u32 v9, v9, 16, 1
	v_cmp_o_f32_e32 vcc_lo, v7, v7
	s_delay_alu instid0(VALU_DEP_2) | instskip(NEXT) | instid1(VALU_DEP_1)
	v_add3_u32 v9, v7, v9, 0x7fff
	v_lshrrev_b32_e32 v9, 16, v9
	s_delay_alu instid0(VALU_DEP_1)
	v_cndmask_b32_e32 v7, 0x7fc0, v9, vcc_lo
.LBB35_1363:
	s_mov_b32 s1, 0
.LBB35_1364:
	s_delay_alu instid0(SALU_CYCLE_1)
	s_and_not1_b32 vcc_lo, exec_lo, s1
	s_cbranch_vccnz .LBB35_1366
; %bb.1365:
	s_wait_loadcnt 0x0
	global_load_u8 v7, v[12:13], off
	s_wait_loadcnt 0x0
	v_lshlrev_b32_e32 v9, 25, v7
	v_lshlrev_b16 v7, 8, v7
	s_delay_alu instid0(VALU_DEP_2) | instskip(NEXT) | instid1(VALU_DEP_2)
	v_cmp_gt_u32_e32 vcc_lo, 0x8000000, v9
	v_and_or_b32 v15, 0x7f00, v7, 0.5
	v_lshrrev_b32_e32 v11, 4, v9
	v_bfe_i32 v7, v7, 0, 16
	s_delay_alu instid0(VALU_DEP_3) | instskip(NEXT) | instid1(VALU_DEP_3)
	v_add_f32_e32 v15, -0.5, v15
	v_or_b32_e32 v11, 0x70000000, v11
	s_delay_alu instid0(VALU_DEP_1) | instskip(NEXT) | instid1(VALU_DEP_1)
	v_mul_f32_e32 v11, 0x7800000, v11
	v_cndmask_b32_e32 v9, v11, v15, vcc_lo
	s_delay_alu instid0(VALU_DEP_1) | instskip(SKIP_1) | instid1(VALU_DEP_2)
	v_and_or_b32 v7, 0x80000000, v7, v9
	v_bfe_u32 v9, v9, 16, 1
	v_cmp_o_f32_e32 vcc_lo, v7, v7
	s_delay_alu instid0(VALU_DEP_2) | instskip(NEXT) | instid1(VALU_DEP_1)
	v_add3_u32 v9, v7, v9, 0x7fff
	v_lshrrev_b32_e32 v9, 16, v9
	s_delay_alu instid0(VALU_DEP_1)
	v_cndmask_b32_e32 v7, 0x7fc0, v9, vcc_lo
.LBB35_1366:
	s_mov_b32 s1, 0
	s_mov_b32 s12, -1
.LBB35_1367:
	s_and_not1_b32 vcc_lo, exec_lo, s1
	s_mov_b32 s1, 0
	s_cbranch_vccnz .LBB35_1378
; %bb.1368:
	s_cmp_gt_i32 s11, 14
	s_cbranch_scc0 .LBB35_1371
; %bb.1369:
	s_cmp_eq_u32 s11, 15
	s_cbranch_scc0 .LBB35_1374
; %bb.1370:
	s_wait_loadcnt 0x0
	global_load_u16 v7, v[12:13], off
	s_mov_b32 s0, 0
	s_mov_b32 s12, -1
	s_branch .LBB35_1376
.LBB35_1371:
	s_mov_b32 s1, -1
	s_branch .LBB35_1375
.LBB35_1372:
	s_or_saveexec_b32 s12, s12
	v_mov_b32_e32 v9, 0x7f800001
	s_xor_b32 exec_lo, exec_lo, s12
	s_cbranch_execz .LBB35_1353
.LBB35_1373:
	v_cmp_ne_u16_e32 vcc_lo, 0, v7
	v_mov_b32_e32 v9, 0
	s_and_not1_b32 s1, s1, exec_lo
	s_and_b32 s13, vcc_lo, exec_lo
	s_delay_alu instid0(SALU_CYCLE_1)
	s_or_b32 s1, s1, s13
	s_or_b32 exec_lo, exec_lo, s12
	s_and_saveexec_b32 s12, s1
	s_cbranch_execnz .LBB35_1354
	s_branch .LBB35_1355
.LBB35_1374:
	s_mov_b32 s0, -1
.LBB35_1375:
                                        ; implicit-def: $vgpr7
.LBB35_1376:
	s_and_b32 vcc_lo, exec_lo, s1
	s_mov_b32 s1, 0
	s_cbranch_vccz .LBB35_1378
; %bb.1377:
	s_cmp_lg_u32 s11, 11
	s_mov_b32 s1, -1
	s_cselect_b32 s0, -1, 0
.LBB35_1378:
	s_delay_alu instid0(SALU_CYCLE_1)
	s_and_b32 vcc_lo, exec_lo, s0
	s_cbranch_vccnz .LBB35_1445
; %bb.1379:
	s_and_not1_b32 vcc_lo, exec_lo, s1
	s_cbranch_vccnz .LBB35_1381
.LBB35_1380:
	s_wait_loadcnt 0x0
	global_load_u8 v7, v[12:13], off
	s_mov_b32 s12, -1
	s_wait_loadcnt 0x0
	v_cmp_ne_u16_e32 vcc_lo, 0, v7
	v_cndmask_b32_e64 v7, 0, 1.0, vcc_lo
	s_delay_alu instid0(VALU_DEP_1)
	v_lshrrev_b32_e32 v7, 16, v7
.LBB35_1381:
	s_branch .LBB35_1307
.LBB35_1382:
	s_cmp_lt_i32 s11, 5
	s_cbranch_scc1 .LBB35_1387
; %bb.1383:
	s_cmp_lt_i32 s11, 8
	s_cbranch_scc1 .LBB35_1388
; %bb.1384:
	;; [unrolled: 3-line block ×3, first 2 shown]
	s_cmp_gt_i32 s11, 9
	s_cbranch_scc0 .LBB35_1390
; %bb.1386:
	global_load_b64 v[16:17], v[12:13], off
	s_mov_b32 s0, 0
	s_wait_loadcnt 0x0
	v_cvt_f32_f64_e32 v7, v[16:17]
	s_delay_alu instid0(VALU_DEP_1) | instskip(SKIP_1) | instid1(VALU_DEP_2)
	v_bfe_u32 v9, v7, 16, 1
	v_cmp_o_f32_e32 vcc_lo, v7, v7
	v_add3_u32 v9, v7, v9, 0x7fff
	s_delay_alu instid0(VALU_DEP_1) | instskip(NEXT) | instid1(VALU_DEP_1)
	v_lshrrev_b32_e32 v9, 16, v9
	v_cndmask_b32_e32 v7, 0x7fc0, v9, vcc_lo
	s_branch .LBB35_1391
.LBB35_1387:
                                        ; implicit-def: $vgpr7
	s_branch .LBB35_1409
.LBB35_1388:
	s_mov_b32 s0, -1
                                        ; implicit-def: $vgpr7
	s_branch .LBB35_1397
.LBB35_1389:
	s_mov_b32 s0, -1
                                        ; implicit-def: $vgpr7
	s_branch .LBB35_1394
.LBB35_1390:
	s_mov_b32 s0, -1
                                        ; implicit-def: $vgpr7
.LBB35_1391:
	s_delay_alu instid0(SALU_CYCLE_1)
	s_and_not1_b32 vcc_lo, exec_lo, s0
	s_cbranch_vccnz .LBB35_1393
; %bb.1392:
	s_wait_loadcnt 0x0
	global_load_b32 v7, v[12:13], off
	s_wait_loadcnt 0x0
	v_bfe_u32 v9, v7, 16, 1
	v_cmp_o_f32_e32 vcc_lo, v7, v7
	s_delay_alu instid0(VALU_DEP_2) | instskip(NEXT) | instid1(VALU_DEP_1)
	v_add3_u32 v9, v7, v9, 0x7fff
	v_lshrrev_b32_e32 v9, 16, v9
	s_delay_alu instid0(VALU_DEP_1)
	v_cndmask_b32_e32 v7, 0x7fc0, v9, vcc_lo
.LBB35_1393:
	s_mov_b32 s0, 0
.LBB35_1394:
	s_delay_alu instid0(SALU_CYCLE_1)
	s_and_not1_b32 vcc_lo, exec_lo, s0
	s_cbranch_vccnz .LBB35_1396
; %bb.1395:
	s_wait_loadcnt 0x0
	global_load_b32 v7, v[12:13], off
	s_wait_loadcnt 0x0
	v_cvt_f32_f16_e32 v9, v7
	v_cmp_o_f16_e32 vcc_lo, v7, v7
	s_delay_alu instid0(VALU_DEP_2) | instskip(NEXT) | instid1(VALU_DEP_1)
	v_bfe_u32 v11, v9, 16, 1
	v_add3_u32 v9, v9, v11, 0x7fff
	s_delay_alu instid0(VALU_DEP_1) | instskip(NEXT) | instid1(VALU_DEP_1)
	v_lshrrev_b32_e32 v9, 16, v9
	v_cndmask_b32_e32 v7, 0x7fc0, v9, vcc_lo
.LBB35_1396:
	s_mov_b32 s0, 0
.LBB35_1397:
	s_delay_alu instid0(SALU_CYCLE_1)
	s_and_not1_b32 vcc_lo, exec_lo, s0
	s_cbranch_vccnz .LBB35_1408
; %bb.1398:
	s_cmp_lt_i32 s11, 6
	s_cbranch_scc1 .LBB35_1401
; %bb.1399:
	s_cmp_gt_i32 s11, 6
	s_cbranch_scc0 .LBB35_1402
; %bb.1400:
	global_load_b64 v[16:17], v[12:13], off
	s_mov_b32 s0, 0
	s_wait_loadcnt 0x0
	v_cvt_f32_f64_e32 v7, v[16:17]
	s_delay_alu instid0(VALU_DEP_1) | instskip(SKIP_1) | instid1(VALU_DEP_2)
	v_bfe_u32 v9, v7, 16, 1
	v_cmp_o_f32_e32 vcc_lo, v7, v7
	v_add3_u32 v9, v7, v9, 0x7fff
	s_delay_alu instid0(VALU_DEP_1) | instskip(NEXT) | instid1(VALU_DEP_1)
	v_lshrrev_b32_e32 v9, 16, v9
	v_cndmask_b32_e32 v7, 0x7fc0, v9, vcc_lo
	s_branch .LBB35_1403
.LBB35_1401:
	s_mov_b32 s0, -1
                                        ; implicit-def: $vgpr7
	s_branch .LBB35_1406
.LBB35_1402:
	s_mov_b32 s0, -1
                                        ; implicit-def: $vgpr7
.LBB35_1403:
	s_delay_alu instid0(SALU_CYCLE_1)
	s_and_not1_b32 vcc_lo, exec_lo, s0
	s_cbranch_vccnz .LBB35_1405
; %bb.1404:
	s_wait_loadcnt 0x0
	global_load_b32 v7, v[12:13], off
	s_wait_loadcnt 0x0
	v_bfe_u32 v9, v7, 16, 1
	v_cmp_o_f32_e32 vcc_lo, v7, v7
	s_delay_alu instid0(VALU_DEP_2) | instskip(NEXT) | instid1(VALU_DEP_1)
	v_add3_u32 v9, v7, v9, 0x7fff
	v_lshrrev_b32_e32 v9, 16, v9
	s_delay_alu instid0(VALU_DEP_1)
	v_cndmask_b32_e32 v7, 0x7fc0, v9, vcc_lo
.LBB35_1405:
	s_mov_b32 s0, 0
.LBB35_1406:
	s_delay_alu instid0(SALU_CYCLE_1)
	s_and_not1_b32 vcc_lo, exec_lo, s0
	s_cbranch_vccnz .LBB35_1408
; %bb.1407:
	s_wait_loadcnt 0x0
	global_load_u16 v7, v[12:13], off
	s_wait_loadcnt 0x0
	v_cvt_f32_f16_e32 v9, v7
	v_cmp_o_f16_e32 vcc_lo, v7, v7
	s_delay_alu instid0(VALU_DEP_2) | instskip(NEXT) | instid1(VALU_DEP_1)
	v_bfe_u32 v11, v9, 16, 1
	v_add3_u32 v9, v9, v11, 0x7fff
	s_delay_alu instid0(VALU_DEP_1) | instskip(NEXT) | instid1(VALU_DEP_1)
	v_lshrrev_b32_e32 v9, 16, v9
	v_cndmask_b32_e32 v7, 0x7fc0, v9, vcc_lo
.LBB35_1408:
	s_cbranch_execnz .LBB35_1428
.LBB35_1409:
	s_cmp_lt_i32 s11, 2
	s_cbranch_scc1 .LBB35_1413
; %bb.1410:
	s_cmp_lt_i32 s11, 3
	s_cbranch_scc1 .LBB35_1414
; %bb.1411:
	s_cmp_gt_i32 s11, 3
	s_cbranch_scc0 .LBB35_1415
; %bb.1412:
	global_load_b64 v[16:17], v[12:13], off
	s_mov_b32 s0, 0
	s_wait_loadcnt 0x0
	v_xor_b32_e32 v7, v16, v17
	v_cls_i32_e32 v9, v17
	s_delay_alu instid0(VALU_DEP_2) | instskip(NEXT) | instid1(VALU_DEP_1)
	v_ashrrev_i32_e32 v7, 31, v7
	v_add_nc_u32_e32 v7, 32, v7
	s_delay_alu instid0(VALU_DEP_1) | instskip(NEXT) | instid1(VALU_DEP_1)
	v_add_min_u32_e64 v7, v9, -1, v7
	v_lshlrev_b64_e32 v[16:17], v7, v[16:17]
	v_sub_nc_u32_e32 v7, 32, v7
	s_delay_alu instid0(VALU_DEP_2) | instskip(NEXT) | instid1(VALU_DEP_1)
	v_min_u32_e32 v9, 1, v16
	v_or_b32_e32 v9, v17, v9
	s_delay_alu instid0(VALU_DEP_1) | instskip(NEXT) | instid1(VALU_DEP_1)
	v_cvt_f32_i32_e32 v9, v9
	v_ldexp_f32 v7, v9, v7
	s_delay_alu instid0(VALU_DEP_1) | instskip(NEXT) | instid1(VALU_DEP_1)
	v_bfe_u32 v9, v7, 16, 1
	v_add3_u32 v7, v7, v9, 0x7fff
	s_delay_alu instid0(VALU_DEP_1)
	v_lshrrev_b32_e32 v7, 16, v7
	s_branch .LBB35_1416
.LBB35_1413:
	s_mov_b32 s0, -1
                                        ; implicit-def: $vgpr7
	s_branch .LBB35_1422
.LBB35_1414:
	s_mov_b32 s0, -1
                                        ; implicit-def: $vgpr7
	s_branch .LBB35_1419
.LBB35_1415:
	s_mov_b32 s0, -1
                                        ; implicit-def: $vgpr7
.LBB35_1416:
	s_delay_alu instid0(SALU_CYCLE_1)
	s_and_not1_b32 vcc_lo, exec_lo, s0
	s_cbranch_vccnz .LBB35_1418
; %bb.1417:
	s_wait_loadcnt 0x0
	global_load_b32 v7, v[12:13], off
	s_wait_loadcnt 0x0
	v_cvt_f32_i32_e32 v7, v7
	s_delay_alu instid0(VALU_DEP_1) | instskip(NEXT) | instid1(VALU_DEP_1)
	v_bfe_u32 v9, v7, 16, 1
	v_add3_u32 v7, v7, v9, 0x7fff
	s_delay_alu instid0(VALU_DEP_1)
	v_lshrrev_b32_e32 v7, 16, v7
.LBB35_1418:
	s_mov_b32 s0, 0
.LBB35_1419:
	s_delay_alu instid0(SALU_CYCLE_1)
	s_and_not1_b32 vcc_lo, exec_lo, s0
	s_cbranch_vccnz .LBB35_1421
; %bb.1420:
	s_wait_loadcnt 0x0
	global_load_i16 v7, v[12:13], off
	s_wait_loadcnt 0x0
	v_cvt_f32_i32_e32 v7, v7
	s_delay_alu instid0(VALU_DEP_1) | instskip(NEXT) | instid1(VALU_DEP_1)
	v_bfe_u32 v9, v7, 16, 1
	v_add3_u32 v7, v7, v9, 0x7fff
	s_delay_alu instid0(VALU_DEP_1)
	v_lshrrev_b32_e32 v7, 16, v7
.LBB35_1421:
	s_mov_b32 s0, 0
.LBB35_1422:
	s_delay_alu instid0(SALU_CYCLE_1)
	s_and_not1_b32 vcc_lo, exec_lo, s0
	s_cbranch_vccnz .LBB35_1428
; %bb.1423:
	s_cmp_gt_i32 s11, 0
	s_mov_b32 s0, 0
	s_cbranch_scc0 .LBB35_1425
; %bb.1424:
	s_wait_loadcnt 0x0
	global_load_i8 v7, v[12:13], off
	s_wait_loadcnt 0x0
	v_cvt_f32_i32_e32 v7, v7
	s_delay_alu instid0(VALU_DEP_1) | instskip(NEXT) | instid1(VALU_DEP_1)
	v_bfe_u32 v9, v7, 16, 1
	v_add3_u32 v7, v7, v9, 0x7fff
	s_delay_alu instid0(VALU_DEP_1)
	v_lshrrev_b32_e32 v7, 16, v7
	s_branch .LBB35_1426
.LBB35_1425:
	s_mov_b32 s0, -1
                                        ; implicit-def: $vgpr7
.LBB35_1426:
	s_delay_alu instid0(SALU_CYCLE_1)
	s_and_not1_b32 vcc_lo, exec_lo, s0
	s_cbranch_vccnz .LBB35_1428
; %bb.1427:
	s_wait_loadcnt 0x0
	global_load_u8 v7, v[12:13], off
	s_wait_loadcnt 0x0
	v_cvt_f32_ubyte0_e32 v7, v7
	s_delay_alu instid0(VALU_DEP_1) | instskip(NEXT) | instid1(VALU_DEP_1)
	v_bfe_u32 v9, v7, 16, 1
	v_add3_u32 v7, v7, v9, 0x7fff
	s_delay_alu instid0(VALU_DEP_1)
	v_lshrrev_b32_e32 v7, 16, v7
.LBB35_1428:
.LBB35_1429:
	s_wait_loadcnt 0x0
	s_delay_alu instid0(VALU_DEP_1) | instskip(SKIP_1) | instid1(VALU_DEP_1)
	v_lshlrev_b32_e32 v12, 16, v7
                                        ; implicit-def: $vgpr16
                                        ; implicit-def: $vgpr15
	s_mov_b32 s1, exec_lo
	v_and_b32_e32 v13, 0x7fffffff, v12
	v_cmpx_ngt_f32_e64 0x48000000, |v12|
	s_xor_b32 s12, exec_lo, s1
	s_cbranch_execz .LBB35_1431
; %bb.1430:
	s_mov_b32 s0, 0x7fffff
	v_mov_b32_e32 v17, 0
	v_and_or_b32 v16, v13, s0, 0x800000
	s_mov_b64 s[0:1], 0xfe5163ab
	v_lshrrev_b32_e32 v7, 23, v13
	s_delay_alu instid0(VALU_DEP_2) | instskip(NEXT) | instid1(VALU_DEP_1)
	v_mul_u64_e32 v[18:19], s[0:1], v[16:17]
	v_dual_mov_b32 v20, v19 :: v_dual_mov_b32 v21, v17
	v_dual_mov_b32 v23, v17 :: v_dual_mov_b32 v25, v17
	v_mov_b32_e32 v27, v17
	s_delay_alu instid0(VALU_DEP_3) | instskip(NEXT) | instid1(VALU_DEP_1)
	v_mad_nc_u64_u32 v[20:21], 0x3c439041, v16, v[20:21]
	v_mov_b32_e32 v22, v21
	s_delay_alu instid0(VALU_DEP_1) | instskip(NEXT) | instid1(VALU_DEP_1)
	v_mad_nc_u64_u32 v[22:23], 0xdb629599, v16, v[22:23]
	v_mov_b32_e32 v24, v23
	s_delay_alu instid0(VALU_DEP_1) | instskip(NEXT) | instid1(VALU_DEP_1)
	;; [unrolled: 3-line block ×3, first 2 shown]
	v_mad_nc_u64_u32 v[26:27], 0xfc2757d1, v16, v[26:27]
	v_dual_mov_b32 v29, v17 :: v_dual_mov_b32 v28, v27
	s_delay_alu instid0(VALU_DEP_1) | instskip(NEXT) | instid1(VALU_DEP_1)
	v_mad_nc_u64_u32 v[28:29], 0x4e441529, v16, v[28:29]
	v_dual_mov_b32 v30, v29 :: v_dual_add_nc_u32 v7, 0xffffff88, v7
	s_delay_alu instid0(VALU_DEP_1) | instskip(SKIP_2) | instid1(VALU_DEP_2)
	v_cmp_lt_u32_e32 vcc_lo, 63, v7
	v_mov_b32_e32 v31, v17
	v_cndmask_b32_e64 v9, 0, 0xffffffc0, vcc_lo
	v_mad_nc_u64_u32 v[16:17], 0xa2f9836e, v16, v[30:31]
	v_dual_cndmask_b32 v11, v28, v24 :: v_dual_cndmask_b32 v18, v22, v18
	s_delay_alu instid0(VALU_DEP_3) | instskip(NEXT) | instid1(VALU_DEP_1)
	v_add_nc_u32_e32 v7, v9, v7
	v_cmp_lt_u32_e64 s0, 31, v7
	s_delay_alu instid0(VALU_DEP_4) | instskip(SKIP_1) | instid1(VALU_DEP_3)
	v_dual_cndmask_b32 v15, v16, v26 :: v_dual_cndmask_b32 v16, v17, v28
	v_cndmask_b32_e32 v17, v26, v22, vcc_lo
	v_cndmask_b32_e64 v9, 0, 0xffffffe0, s0
	s_delay_alu instid0(VALU_DEP_3) | instskip(NEXT) | instid1(VALU_DEP_3)
	v_cndmask_b32_e64 v19, v15, v11, s0
	v_dual_cndmask_b32 v15, v16, v15, s0 :: v_dual_cndmask_b32 v11, v11, v17, s0
	s_delay_alu instid0(VALU_DEP_3) | instskip(NEXT) | instid1(VALU_DEP_1)
	v_add_nc_u32_e32 v7, v9, v7
	v_cmp_lt_u32_e64 s1, 31, v7
	s_delay_alu instid0(VALU_DEP_1) | instskip(NEXT) | instid1(VALU_DEP_4)
	v_cndmask_b32_e64 v9, 0, 0xffffffe0, s1
	v_cndmask_b32_e64 v15, v15, v19, s1
	s_delay_alu instid0(VALU_DEP_2) | instskip(SKIP_1) | instid1(VALU_DEP_2)
	v_dual_add_nc_u32 v7, v9, v7 :: v_dual_cndmask_b32 v9, v24, v20, vcc_lo
	v_cndmask_b32_e64 v19, v19, v11, s1
	v_dual_sub_nc_u32 v16, 32, v7 :: v_dual_cndmask_b32 v17, v17, v9, s0
	v_cmp_eq_u32_e32 vcc_lo, 0, v7
	v_cndmask_b32_e64 v9, v9, v18, s0
	s_delay_alu instid0(VALU_DEP_3) | instskip(NEXT) | instid1(VALU_DEP_1)
	v_alignbit_b32 v20, v15, v19, v16
	v_dual_cndmask_b32 v11, v11, v17, s1 :: v_dual_cndmask_b32 v7, v20, v15, vcc_lo
	s_delay_alu instid0(VALU_DEP_1) | instskip(NEXT) | instid1(VALU_DEP_2)
	v_alignbit_b32 v21, v19, v11, v16
	v_bfe_u32 v18, v7, 29, 1
	s_delay_alu instid0(VALU_DEP_1) | instskip(SKIP_1) | instid1(VALU_DEP_2)
	v_dual_cndmask_b32 v15, v21, v19, vcc_lo :: v_dual_sub_nc_u32 v19, 0, v18
	v_cndmask_b32_e64 v9, v17, v9, s1
	v_alignbit_b32 v17, v7, v15, 30
	s_delay_alu instid0(VALU_DEP_1) | instskip(NEXT) | instid1(VALU_DEP_3)
	v_xor_b32_e32 v17, v17, v19
	v_alignbit_b32 v16, v11, v9, v16
	s_delay_alu instid0(VALU_DEP_1) | instskip(NEXT) | instid1(VALU_DEP_3)
	v_cndmask_b32_e32 v11, v16, v11, vcc_lo
	v_clz_i32_u32_e32 v16, v17
	s_delay_alu instid0(VALU_DEP_2) | instskip(NEXT) | instid1(VALU_DEP_2)
	v_alignbit_b32 v15, v15, v11, 30
	v_min_u32_e32 v16, 32, v16
	v_alignbit_b32 v9, v11, v9, 30
	s_delay_alu instid0(VALU_DEP_2) | instskip(NEXT) | instid1(VALU_DEP_2)
	v_dual_lshlrev_b32 v20, 23, v16 :: v_dual_bitop2_b32 v11, v15, v19 bitop3:0x14
	v_dual_sub_nc_u32 v15, 31, v16 :: v_dual_bitop2_b32 v9, v9, v19 bitop3:0x14
	s_delay_alu instid0(VALU_DEP_1) | instskip(SKIP_1) | instid1(VALU_DEP_3)
	v_alignbit_b32 v17, v17, v11, v15
	v_lshrrev_b32_e32 v19, 29, v7
	v_alignbit_b32 v9, v11, v9, v15
	v_lshrrev_b32_e32 v7, 30, v7
	s_delay_alu instid0(VALU_DEP_2) | instskip(NEXT) | instid1(VALU_DEP_4)
	v_alignbit_b32 v15, v17, v9, 9
	v_dual_lshrrev_b32 v17, 9, v17 :: v_dual_lshlrev_b32 v11, 31, v19
	s_delay_alu instid0(VALU_DEP_2) | instskip(NEXT) | instid1(VALU_DEP_2)
	v_clz_i32_u32_e32 v21, v15
	v_or_b32_e32 v19, 0.5, v11
	v_or_b32_e32 v11, 0x33000000, v11
	s_delay_alu instid0(VALU_DEP_2) | instskip(NEXT) | instid1(VALU_DEP_4)
	v_sub_nc_u32_e32 v19, v19, v20
	v_min_u32_e32 v20, 32, v21
	s_delay_alu instid0(VALU_DEP_2) | instskip(NEXT) | instid1(VALU_DEP_2)
	v_or_b32_e32 v17, v17, v19
	v_not_b32_e32 v19, v20
	v_add_lshl_u32 v16, v20, v16, 23
	s_delay_alu instid0(VALU_DEP_3) | instskip(NEXT) | instid1(VALU_DEP_3)
	v_mul_f32_e32 v21, 0x3fc90fda, v17
	v_alignbit_b32 v9, v15, v9, v19
	s_delay_alu instid0(VALU_DEP_3) | instskip(NEXT) | instid1(VALU_DEP_3)
	v_dual_sub_nc_u32 v11, v11, v16 :: v_dual_add_nc_u32 v16, v18, v7
	v_fma_f32 v15, 0x3fc90fda, v17, -v21
	s_delay_alu instid0(VALU_DEP_3) | instskip(NEXT) | instid1(VALU_DEP_2)
	v_lshrrev_b32_e32 v9, 9, v9
	v_fmamk_f32 v15, v17, 0x33a22168, v15
	s_delay_alu instid0(VALU_DEP_2) | instskip(NEXT) | instid1(VALU_DEP_1)
	v_or_b32_e32 v9, v11, v9
	v_fmac_f32_e32 v15, 0x3fc90fda, v9
	s_delay_alu instid0(VALU_DEP_1)
	v_add_f32_e32 v15, v21, v15
.LBB35_1431:
	s_and_not1_saveexec_b32 s0, s12
; %bb.1432:
	v_mul_f32_e64 v7, 0x3f22f983, |v12|
	s_delay_alu instid0(VALU_DEP_1) | instskip(NEXT) | instid1(VALU_DEP_1)
	v_rndne_f32_e32 v7, v7
	v_fma_f32 v9, 0xbfc90fda, v7, |v12|
	v_cvt_i32_f32_e32 v16, v7
	s_delay_alu instid0(VALU_DEP_2) | instskip(NEXT) | instid1(VALU_DEP_1)
	v_fmamk_f32 v9, v7, 0xb3a22168, v9
	v_fmamk_f32 v15, v7, 0xa7c234c4, v9
; %bb.1433:
	s_or_b32 exec_lo, exec_lo, s0
	v_mov_b32_e32 v11, 0
	s_cmp_lt_i32 s11, 11
	s_delay_alu instid0(VALU_DEP_1)
	v_add_nc_u64_e32 v[10:11], s[6:7], v[10:11]
	s_cbranch_scc1 .LBB35_1440
; %bb.1434:
	s_cmp_gt_i32 s11, 25
	s_mov_b32 s1, 0
	s_cbranch_scc0 .LBB35_1442
; %bb.1435:
	s_cmp_gt_i32 s11, 28
	s_cbranch_scc0 .LBB35_1443
; %bb.1436:
	s_cmp_gt_i32 s11, 43
	;; [unrolled: 3-line block ×3, first 2 shown]
	s_cbranch_scc0 .LBB35_1446
; %bb.1438:
	s_cmp_eq_u32 s11, 46
	s_mov_b32 s13, 0
	s_cbranch_scc0 .LBB35_1447
; %bb.1439:
	global_load_b32 v7, v[10:11], off
	s_mov_b32 s0, 0
	s_mov_b32 s12, -1
	s_branch .LBB35_1449
.LBB35_1440:
	s_mov_b32 s12, 0
                                        ; implicit-def: $vgpr7
	s_cbranch_execnz .LBB35_1515
.LBB35_1441:
	s_and_not1_b32 vcc_lo, exec_lo, s12
	s_cbranch_vccz .LBB35_1563
	s_branch .LBB35_2132
.LBB35_1442:
	s_mov_b32 s13, -1
	s_mov_b32 s12, 0
	s_mov_b32 s0, 0
                                        ; implicit-def: $vgpr7
	s_branch .LBB35_1478
.LBB35_1443:
	s_mov_b32 s13, -1
	s_mov_b32 s12, 0
	s_mov_b32 s0, 0
                                        ; implicit-def: $vgpr7
	s_branch .LBB35_1459
.LBB35_1444:
	s_mov_b32 s13, -1
	s_mov_b32 s12, 0
	s_mov_b32 s0, 0
                                        ; implicit-def: $vgpr7
	s_branch .LBB35_1454
.LBB35_1445:
	s_or_b32 s10, s10, exec_lo
	s_trap 2
	s_cbranch_execz .LBB35_1380
	s_branch .LBB35_1381
.LBB35_1446:
	s_mov_b32 s13, -1
	s_mov_b32 s12, 0
	s_mov_b32 s0, 0
	s_branch .LBB35_1448
.LBB35_1447:
	s_mov_b32 s0, -1
	s_mov_b32 s12, 0
.LBB35_1448:
                                        ; implicit-def: $vgpr7
.LBB35_1449:
	s_and_b32 vcc_lo, exec_lo, s13
	s_cbranch_vccz .LBB35_1453
; %bb.1450:
	s_cmp_eq_u32 s11, 44
	s_cbranch_scc0 .LBB35_1452
; %bb.1451:
	s_wait_loadcnt 0x0
	global_load_u8 v7, v[10:11], off
	s_mov_b32 s0, 0
	s_mov_b32 s12, -1
	s_wait_loadcnt 0x0
	v_lshlrev_b32_e32 v9, 23, v7
	v_cmp_ne_u32_e32 vcc_lo, 0xff, v7
	s_delay_alu instid0(VALU_DEP_2) | instskip(SKIP_1) | instid1(VALU_DEP_2)
	v_cndmask_b32_e32 v9, 0x7f800001, v9, vcc_lo
	v_cmp_ne_u32_e32 vcc_lo, 0, v7
	v_cndmask_b32_e32 v7, 0x400000, v9, vcc_lo
	s_delay_alu instid0(VALU_DEP_1) | instskip(SKIP_1) | instid1(VALU_DEP_2)
	v_add_nc_u32_e32 v9, 0x7fff, v7
	v_cmp_o_f32_e32 vcc_lo, v7, v7
	v_lshrrev_b32_e32 v9, 16, v9
	s_delay_alu instid0(VALU_DEP_1)
	v_cndmask_b32_e32 v7, 0x7fc0, v9, vcc_lo
	s_branch .LBB35_1453
.LBB35_1452:
	s_mov_b32 s0, -1
                                        ; implicit-def: $vgpr7
.LBB35_1453:
	s_mov_b32 s13, 0
.LBB35_1454:
	s_delay_alu instid0(SALU_CYCLE_1)
	s_and_b32 vcc_lo, exec_lo, s13
	s_cbranch_vccz .LBB35_1458
; %bb.1455:
	s_cmp_eq_u32 s11, 29
	s_cbranch_scc0 .LBB35_1457
; %bb.1456:
	global_load_b64 v[18:19], v[10:11], off
	s_mov_b32 s0, 0
	s_mov_b32 s12, -1
	s_mov_b32 s13, 0
	s_wait_loadcnt 0x0
	v_clz_i32_u32_e32 v7, v19
	s_delay_alu instid0(VALU_DEP_1) | instskip(NEXT) | instid1(VALU_DEP_1)
	v_min_u32_e32 v7, 32, v7
	v_lshlrev_b64_e32 v[18:19], v7, v[18:19]
	v_sub_nc_u32_e32 v7, 32, v7
	s_delay_alu instid0(VALU_DEP_2) | instskip(NEXT) | instid1(VALU_DEP_1)
	v_min_u32_e32 v9, 1, v18
	v_or_b32_e32 v9, v19, v9
	s_delay_alu instid0(VALU_DEP_1) | instskip(NEXT) | instid1(VALU_DEP_1)
	v_cvt_f32_u32_e32 v9, v9
	v_ldexp_f32 v7, v9, v7
	s_delay_alu instid0(VALU_DEP_1) | instskip(NEXT) | instid1(VALU_DEP_1)
	v_bfe_u32 v9, v7, 16, 1
	v_add3_u32 v7, v7, v9, 0x7fff
	s_delay_alu instid0(VALU_DEP_1)
	v_lshrrev_b32_e32 v7, 16, v7
	s_branch .LBB35_1459
.LBB35_1457:
	s_mov_b32 s0, -1
                                        ; implicit-def: $vgpr7
.LBB35_1458:
	s_mov_b32 s13, 0
.LBB35_1459:
	s_delay_alu instid0(SALU_CYCLE_1)
	s_and_b32 vcc_lo, exec_lo, s13
	s_cbranch_vccz .LBB35_1477
; %bb.1460:
	s_cmp_lt_i32 s11, 27
	s_cbranch_scc1 .LBB35_1463
; %bb.1461:
	s_cmp_gt_i32 s11, 27
	s_cbranch_scc0 .LBB35_1464
; %bb.1462:
	s_wait_loadcnt 0x0
	global_load_b32 v7, v[10:11], off
	s_mov_b32 s12, 0
	s_wait_loadcnt 0x0
	v_cvt_f32_u32_e32 v7, v7
	s_delay_alu instid0(VALU_DEP_1) | instskip(NEXT) | instid1(VALU_DEP_1)
	v_bfe_u32 v9, v7, 16, 1
	v_add3_u32 v7, v7, v9, 0x7fff
	s_delay_alu instid0(VALU_DEP_1)
	v_lshrrev_b32_e32 v7, 16, v7
	s_branch .LBB35_1465
.LBB35_1463:
	s_mov_b32 s12, -1
                                        ; implicit-def: $vgpr7
	s_branch .LBB35_1468
.LBB35_1464:
	s_mov_b32 s12, -1
                                        ; implicit-def: $vgpr7
.LBB35_1465:
	s_delay_alu instid0(SALU_CYCLE_1)
	s_and_not1_b32 vcc_lo, exec_lo, s12
	s_cbranch_vccnz .LBB35_1467
; %bb.1466:
	s_wait_loadcnt 0x0
	global_load_u16 v7, v[10:11], off
	s_wait_loadcnt 0x0
	v_cvt_f32_u32_e32 v7, v7
	s_delay_alu instid0(VALU_DEP_1) | instskip(NEXT) | instid1(VALU_DEP_1)
	v_bfe_u32 v9, v7, 16, 1
	v_add3_u32 v7, v7, v9, 0x7fff
	s_delay_alu instid0(VALU_DEP_1)
	v_lshrrev_b32_e32 v7, 16, v7
.LBB35_1467:
	s_mov_b32 s12, 0
.LBB35_1468:
	s_delay_alu instid0(SALU_CYCLE_1)
	s_and_not1_b32 vcc_lo, exec_lo, s12
	s_cbranch_vccnz .LBB35_1476
; %bb.1469:
	s_wait_loadcnt 0x0
	global_load_u8 v7, v[10:11], off
	s_mov_b32 s12, 0
	s_mov_b32 s13, exec_lo
	s_wait_loadcnt 0x0
	v_cmpx_lt_i16_e32 0x7f, v7
	s_xor_b32 s13, exec_lo, s13
	s_cbranch_execz .LBB35_1490
; %bb.1470:
	s_mov_b32 s12, -1
	s_mov_b32 s14, exec_lo
	v_cmpx_eq_u16_e32 0x80, v7
; %bb.1471:
	s_xor_b32 s12, exec_lo, -1
; %bb.1472:
	s_or_b32 exec_lo, exec_lo, s14
	s_delay_alu instid0(SALU_CYCLE_1)
	s_and_b32 s12, s12, exec_lo
	s_or_saveexec_b32 s13, s13
	v_mov_b32_e32 v9, 0x7f800001
	s_xor_b32 exec_lo, exec_lo, s13
	s_cbranch_execnz .LBB35_1491
.LBB35_1473:
	s_or_b32 exec_lo, exec_lo, s13
	s_and_saveexec_b32 s13, s12
	s_cbranch_execz .LBB35_1475
.LBB35_1474:
	v_and_b32_e32 v9, 0xffff, v7
	s_delay_alu instid0(VALU_DEP_1) | instskip(SKIP_1) | instid1(VALU_DEP_2)
	v_and_b32_e32 v17, 7, v9
	v_bfe_u32 v20, v9, 3, 4
	v_clz_i32_u32_e32 v18, v17
	s_delay_alu instid0(VALU_DEP_2) | instskip(NEXT) | instid1(VALU_DEP_2)
	v_cmp_eq_u32_e32 vcc_lo, 0, v20
	v_min_u32_e32 v18, 32, v18
	s_delay_alu instid0(VALU_DEP_1) | instskip(NEXT) | instid1(VALU_DEP_1)
	v_subrev_nc_u32_e32 v19, 28, v18
	v_dual_lshlrev_b32 v9, v19, v9 :: v_dual_sub_nc_u32 v18, 29, v18
	s_delay_alu instid0(VALU_DEP_1) | instskip(NEXT) | instid1(VALU_DEP_1)
	v_dual_lshlrev_b32 v7, 24, v7 :: v_dual_bitop2_b32 v9, 7, v9 bitop3:0x40
	v_dual_cndmask_b32 v18, v20, v18 :: v_dual_cndmask_b32 v9, v17, v9
	s_delay_alu instid0(VALU_DEP_2) | instskip(NEXT) | instid1(VALU_DEP_2)
	v_and_b32_e32 v7, 0x80000000, v7
	v_lshl_add_u32 v17, v18, 23, 0x3b800000
	s_delay_alu instid0(VALU_DEP_3) | instskip(NEXT) | instid1(VALU_DEP_1)
	v_lshlrev_b32_e32 v9, 20, v9
	v_or3_b32 v9, v7, v17, v9
.LBB35_1475:
	s_or_b32 exec_lo, exec_lo, s13
	s_delay_alu instid0(VALU_DEP_1) | instskip(SKIP_1) | instid1(VALU_DEP_2)
	v_bfe_u32 v7, v9, 16, 1
	v_cmp_o_f32_e32 vcc_lo, v9, v9
	v_add3_u32 v7, v9, v7, 0x7fff
	s_delay_alu instid0(VALU_DEP_1) | instskip(NEXT) | instid1(VALU_DEP_1)
	v_lshrrev_b32_e32 v7, 16, v7
	v_cndmask_b32_e32 v7, 0x7fc0, v7, vcc_lo
.LBB35_1476:
	s_mov_b32 s12, -1
.LBB35_1477:
	s_mov_b32 s13, 0
.LBB35_1478:
	s_delay_alu instid0(SALU_CYCLE_1)
	s_and_b32 vcc_lo, exec_lo, s13
	s_cbranch_vccz .LBB35_1511
; %bb.1479:
	s_cmp_gt_i32 s11, 22
	s_cbranch_scc0 .LBB35_1489
; %bb.1480:
	s_cmp_lt_i32 s11, 24
	s_cbranch_scc1 .LBB35_1492
; %bb.1481:
	s_cmp_gt_i32 s11, 24
	s_cbranch_scc0 .LBB35_1493
; %bb.1482:
	s_wait_loadcnt 0x0
	global_load_u8 v7, v[10:11], off
	s_mov_b32 s12, exec_lo
	s_wait_loadcnt 0x0
	v_cmpx_lt_i16_e32 0x7f, v7
	s_xor_b32 s12, exec_lo, s12
	s_cbranch_execz .LBB35_1505
; %bb.1483:
	s_mov_b32 s1, -1
	s_mov_b32 s13, exec_lo
	v_cmpx_eq_u16_e32 0x80, v7
; %bb.1484:
	s_xor_b32 s1, exec_lo, -1
; %bb.1485:
	s_or_b32 exec_lo, exec_lo, s13
	s_delay_alu instid0(SALU_CYCLE_1)
	s_and_b32 s1, s1, exec_lo
	s_or_saveexec_b32 s12, s12
	v_mov_b32_e32 v9, 0x7f800001
	s_xor_b32 exec_lo, exec_lo, s12
	s_cbranch_execnz .LBB35_1506
.LBB35_1486:
	s_or_b32 exec_lo, exec_lo, s12
	s_and_saveexec_b32 s12, s1
	s_cbranch_execz .LBB35_1488
.LBB35_1487:
	v_and_b32_e32 v9, 0xffff, v7
	s_delay_alu instid0(VALU_DEP_1) | instskip(SKIP_1) | instid1(VALU_DEP_2)
	v_and_b32_e32 v17, 3, v9
	v_bfe_u32 v20, v9, 2, 5
	v_clz_i32_u32_e32 v18, v17
	s_delay_alu instid0(VALU_DEP_2) | instskip(NEXT) | instid1(VALU_DEP_2)
	v_cmp_eq_u32_e32 vcc_lo, 0, v20
	v_min_u32_e32 v18, 32, v18
	s_delay_alu instid0(VALU_DEP_1) | instskip(NEXT) | instid1(VALU_DEP_1)
	v_subrev_nc_u32_e32 v19, 29, v18
	v_dual_lshlrev_b32 v9, v19, v9 :: v_dual_sub_nc_u32 v18, 30, v18
	s_delay_alu instid0(VALU_DEP_1) | instskip(NEXT) | instid1(VALU_DEP_1)
	v_dual_lshlrev_b32 v7, 24, v7 :: v_dual_bitop2_b32 v9, 3, v9 bitop3:0x40
	v_dual_cndmask_b32 v18, v20, v18 :: v_dual_cndmask_b32 v9, v17, v9
	s_delay_alu instid0(VALU_DEP_2) | instskip(NEXT) | instid1(VALU_DEP_2)
	v_and_b32_e32 v7, 0x80000000, v7
	v_lshl_add_u32 v17, v18, 23, 0x37800000
	s_delay_alu instid0(VALU_DEP_3) | instskip(NEXT) | instid1(VALU_DEP_1)
	v_lshlrev_b32_e32 v9, 21, v9
	v_or3_b32 v9, v7, v17, v9
.LBB35_1488:
	s_or_b32 exec_lo, exec_lo, s12
	s_delay_alu instid0(VALU_DEP_1) | instskip(SKIP_2) | instid1(VALU_DEP_2)
	v_bfe_u32 v7, v9, 16, 1
	v_cmp_o_f32_e32 vcc_lo, v9, v9
	s_mov_b32 s1, 0
	v_add3_u32 v7, v9, v7, 0x7fff
	s_delay_alu instid0(VALU_DEP_1) | instskip(NEXT) | instid1(VALU_DEP_1)
	v_lshrrev_b32_e32 v7, 16, v7
	v_cndmask_b32_e32 v7, 0x7fc0, v7, vcc_lo
	s_branch .LBB35_1494
.LBB35_1489:
	s_mov_b32 s1, -1
                                        ; implicit-def: $vgpr7
	s_branch .LBB35_1500
.LBB35_1490:
	s_or_saveexec_b32 s13, s13
	v_mov_b32_e32 v9, 0x7f800001
	s_xor_b32 exec_lo, exec_lo, s13
	s_cbranch_execz .LBB35_1473
.LBB35_1491:
	v_cmp_ne_u16_e32 vcc_lo, 0, v7
	v_mov_b32_e32 v9, 0
	s_and_not1_b32 s12, s12, exec_lo
	s_and_b32 s14, vcc_lo, exec_lo
	s_delay_alu instid0(SALU_CYCLE_1)
	s_or_b32 s12, s12, s14
	s_or_b32 exec_lo, exec_lo, s13
	s_and_saveexec_b32 s13, s12
	s_cbranch_execnz .LBB35_1474
	s_branch .LBB35_1475
.LBB35_1492:
	s_mov_b32 s1, -1
                                        ; implicit-def: $vgpr7
	s_branch .LBB35_1497
.LBB35_1493:
	s_mov_b32 s1, -1
                                        ; implicit-def: $vgpr7
.LBB35_1494:
	s_delay_alu instid0(SALU_CYCLE_1)
	s_and_b32 vcc_lo, exec_lo, s1
	s_cbranch_vccz .LBB35_1496
; %bb.1495:
	s_wait_loadcnt 0x0
	global_load_u8 v7, v[10:11], off
	s_wait_loadcnt 0x0
	v_lshlrev_b32_e32 v7, 24, v7
	s_delay_alu instid0(VALU_DEP_1) | instskip(NEXT) | instid1(VALU_DEP_1)
	v_and_b32_e32 v9, 0x7f000000, v7
	v_clz_i32_u32_e32 v17, v9
	v_add_nc_u32_e32 v19, 0x1000000, v9
	v_cmp_ne_u32_e32 vcc_lo, 0, v9
	s_delay_alu instid0(VALU_DEP_3) | instskip(NEXT) | instid1(VALU_DEP_1)
	v_min_u32_e32 v17, 32, v17
	v_sub_nc_u32_e64 v17, v17, 4 clamp
	s_delay_alu instid0(VALU_DEP_1) | instskip(NEXT) | instid1(VALU_DEP_1)
	v_lshlrev_b32_e32 v18, v17, v9
	v_dual_lshlrev_b32 v17, 23, v17 :: v_dual_lshrrev_b32 v18, 4, v18
	s_delay_alu instid0(VALU_DEP_1) | instskip(NEXT) | instid1(VALU_DEP_1)
	v_dual_sub_nc_u32 v17, v18, v17 :: v_dual_ashrrev_i32 v18, 8, v19
	v_add_nc_u32_e32 v17, 0x3c000000, v17
	s_delay_alu instid0(VALU_DEP_1) | instskip(NEXT) | instid1(VALU_DEP_1)
	v_and_or_b32 v17, 0x7f800000, v18, v17
	v_cndmask_b32_e32 v9, 0, v17, vcc_lo
	s_delay_alu instid0(VALU_DEP_1) | instskip(SKIP_1) | instid1(VALU_DEP_2)
	v_and_or_b32 v7, 0x80000000, v7, v9
	v_bfe_u32 v9, v9, 16, 1
	v_cmp_o_f32_e32 vcc_lo, v7, v7
	s_delay_alu instid0(VALU_DEP_2) | instskip(NEXT) | instid1(VALU_DEP_1)
	v_add3_u32 v9, v7, v9, 0x7fff
	v_lshrrev_b32_e32 v9, 16, v9
	s_delay_alu instid0(VALU_DEP_1)
	v_cndmask_b32_e32 v7, 0x7fc0, v9, vcc_lo
.LBB35_1496:
	s_mov_b32 s1, 0
.LBB35_1497:
	s_delay_alu instid0(SALU_CYCLE_1)
	s_and_not1_b32 vcc_lo, exec_lo, s1
	s_cbranch_vccnz .LBB35_1499
; %bb.1498:
	s_wait_loadcnt 0x0
	global_load_u8 v7, v[10:11], off
	s_wait_loadcnt 0x0
	v_lshlrev_b32_e32 v9, 25, v7
	v_lshlrev_b16 v7, 8, v7
	s_delay_alu instid0(VALU_DEP_1) | instskip(SKIP_1) | instid1(VALU_DEP_2)
	v_and_or_b32 v18, 0x7f00, v7, 0.5
	v_bfe_i32 v7, v7, 0, 16
	v_dual_add_f32 v18, -0.5, v18 :: v_dual_lshrrev_b32 v17, 4, v9
	v_cmp_gt_u32_e32 vcc_lo, 0x8000000, v9
	s_delay_alu instid0(VALU_DEP_2) | instskip(NEXT) | instid1(VALU_DEP_1)
	v_or_b32_e32 v17, 0x70000000, v17
	v_mul_f32_e32 v17, 0x7800000, v17
	s_delay_alu instid0(VALU_DEP_1) | instskip(NEXT) | instid1(VALU_DEP_1)
	v_cndmask_b32_e32 v9, v17, v18, vcc_lo
	v_and_or_b32 v7, 0x80000000, v7, v9
	v_bfe_u32 v9, v9, 16, 1
	s_delay_alu instid0(VALU_DEP_2) | instskip(NEXT) | instid1(VALU_DEP_2)
	v_cmp_o_f32_e32 vcc_lo, v7, v7
	v_add3_u32 v9, v7, v9, 0x7fff
	s_delay_alu instid0(VALU_DEP_1) | instskip(NEXT) | instid1(VALU_DEP_1)
	v_lshrrev_b32_e32 v9, 16, v9
	v_cndmask_b32_e32 v7, 0x7fc0, v9, vcc_lo
.LBB35_1499:
	s_mov_b32 s1, 0
	s_mov_b32 s12, -1
.LBB35_1500:
	s_and_not1_b32 vcc_lo, exec_lo, s1
	s_mov_b32 s1, 0
	s_cbranch_vccnz .LBB35_1511
; %bb.1501:
	s_cmp_gt_i32 s11, 14
	s_cbranch_scc0 .LBB35_1504
; %bb.1502:
	s_cmp_eq_u32 s11, 15
	s_cbranch_scc0 .LBB35_1507
; %bb.1503:
	s_wait_loadcnt 0x0
	global_load_u16 v7, v[10:11], off
	s_mov_b32 s0, 0
	s_mov_b32 s12, -1
	s_branch .LBB35_1509
.LBB35_1504:
	s_mov_b32 s1, -1
	s_branch .LBB35_1508
.LBB35_1505:
	s_or_saveexec_b32 s12, s12
	v_mov_b32_e32 v9, 0x7f800001
	s_xor_b32 exec_lo, exec_lo, s12
	s_cbranch_execz .LBB35_1486
.LBB35_1506:
	v_cmp_ne_u16_e32 vcc_lo, 0, v7
	v_mov_b32_e32 v9, 0
	s_and_not1_b32 s1, s1, exec_lo
	s_and_b32 s13, vcc_lo, exec_lo
	s_delay_alu instid0(SALU_CYCLE_1)
	s_or_b32 s1, s1, s13
	s_or_b32 exec_lo, exec_lo, s12
	s_and_saveexec_b32 s12, s1
	s_cbranch_execnz .LBB35_1487
	s_branch .LBB35_1488
.LBB35_1507:
	s_mov_b32 s0, -1
.LBB35_1508:
                                        ; implicit-def: $vgpr7
.LBB35_1509:
	s_and_b32 vcc_lo, exec_lo, s1
	s_mov_b32 s1, 0
	s_cbranch_vccz .LBB35_1511
; %bb.1510:
	s_cmp_lg_u32 s11, 11
	s_mov_b32 s1, -1
	s_cselect_b32 s0, -1, 0
.LBB35_1511:
	s_delay_alu instid0(SALU_CYCLE_1)
	s_and_b32 vcc_lo, exec_lo, s0
	s_cbranch_vccnz .LBB35_1578
; %bb.1512:
	s_and_not1_b32 vcc_lo, exec_lo, s1
	s_cbranch_vccnz .LBB35_1514
.LBB35_1513:
	s_wait_loadcnt 0x0
	global_load_u8 v7, v[10:11], off
	s_mov_b32 s12, -1
	s_wait_loadcnt 0x0
	v_cmp_ne_u16_e32 vcc_lo, 0, v7
	v_cndmask_b32_e64 v7, 0, 1.0, vcc_lo
	s_delay_alu instid0(VALU_DEP_1)
	v_lshrrev_b32_e32 v7, 16, v7
.LBB35_1514:
	s_branch .LBB35_1441
.LBB35_1515:
	s_cmp_lt_i32 s11, 5
	s_cbranch_scc1 .LBB35_1520
; %bb.1516:
	s_cmp_lt_i32 s11, 8
	s_cbranch_scc1 .LBB35_1521
; %bb.1517:
	;; [unrolled: 3-line block ×3, first 2 shown]
	s_cmp_gt_i32 s11, 9
	s_cbranch_scc0 .LBB35_1523
; %bb.1519:
	global_load_b64 v[18:19], v[10:11], off
	s_mov_b32 s0, 0
	s_wait_loadcnt 0x0
	v_cvt_f32_f64_e32 v7, v[18:19]
	s_delay_alu instid0(VALU_DEP_1) | instskip(SKIP_1) | instid1(VALU_DEP_2)
	v_bfe_u32 v9, v7, 16, 1
	v_cmp_o_f32_e32 vcc_lo, v7, v7
	v_add3_u32 v9, v7, v9, 0x7fff
	s_delay_alu instid0(VALU_DEP_1) | instskip(NEXT) | instid1(VALU_DEP_1)
	v_lshrrev_b32_e32 v9, 16, v9
	v_cndmask_b32_e32 v7, 0x7fc0, v9, vcc_lo
	s_branch .LBB35_1524
.LBB35_1520:
	s_mov_b32 s0, -1
                                        ; implicit-def: $vgpr7
	s_branch .LBB35_1542
.LBB35_1521:
	s_mov_b32 s0, -1
                                        ; implicit-def: $vgpr7
	s_branch .LBB35_1530
.LBB35_1522:
	s_mov_b32 s0, -1
                                        ; implicit-def: $vgpr7
	s_branch .LBB35_1527
.LBB35_1523:
	s_mov_b32 s0, -1
                                        ; implicit-def: $vgpr7
.LBB35_1524:
	s_delay_alu instid0(SALU_CYCLE_1)
	s_and_not1_b32 vcc_lo, exec_lo, s0
	s_cbranch_vccnz .LBB35_1526
; %bb.1525:
	s_wait_loadcnt 0x0
	global_load_b32 v7, v[10:11], off
	s_wait_loadcnt 0x0
	v_bfe_u32 v9, v7, 16, 1
	v_cmp_o_f32_e32 vcc_lo, v7, v7
	s_delay_alu instid0(VALU_DEP_2) | instskip(NEXT) | instid1(VALU_DEP_1)
	v_add3_u32 v9, v7, v9, 0x7fff
	v_lshrrev_b32_e32 v9, 16, v9
	s_delay_alu instid0(VALU_DEP_1)
	v_cndmask_b32_e32 v7, 0x7fc0, v9, vcc_lo
.LBB35_1526:
	s_mov_b32 s0, 0
.LBB35_1527:
	s_delay_alu instid0(SALU_CYCLE_1)
	s_and_not1_b32 vcc_lo, exec_lo, s0
	s_cbranch_vccnz .LBB35_1529
; %bb.1528:
	s_wait_loadcnt 0x0
	global_load_b32 v7, v[10:11], off
	s_wait_loadcnt 0x0
	v_cvt_f32_f16_e32 v9, v7
	v_cmp_o_f16_e32 vcc_lo, v7, v7
	s_delay_alu instid0(VALU_DEP_2) | instskip(NEXT) | instid1(VALU_DEP_1)
	v_bfe_u32 v17, v9, 16, 1
	v_add3_u32 v9, v9, v17, 0x7fff
	s_delay_alu instid0(VALU_DEP_1) | instskip(NEXT) | instid1(VALU_DEP_1)
	v_lshrrev_b32_e32 v9, 16, v9
	v_cndmask_b32_e32 v7, 0x7fc0, v9, vcc_lo
.LBB35_1529:
	s_mov_b32 s0, 0
.LBB35_1530:
	s_delay_alu instid0(SALU_CYCLE_1)
	s_and_not1_b32 vcc_lo, exec_lo, s0
	s_cbranch_vccnz .LBB35_1541
; %bb.1531:
	s_cmp_lt_i32 s11, 6
	s_cbranch_scc1 .LBB35_1534
; %bb.1532:
	s_cmp_gt_i32 s11, 6
	s_cbranch_scc0 .LBB35_1535
; %bb.1533:
	global_load_b64 v[18:19], v[10:11], off
	s_mov_b32 s0, 0
	s_wait_loadcnt 0x0
	v_cvt_f32_f64_e32 v7, v[18:19]
	s_delay_alu instid0(VALU_DEP_1) | instskip(SKIP_1) | instid1(VALU_DEP_2)
	v_bfe_u32 v9, v7, 16, 1
	v_cmp_o_f32_e32 vcc_lo, v7, v7
	v_add3_u32 v9, v7, v9, 0x7fff
	s_delay_alu instid0(VALU_DEP_1) | instskip(NEXT) | instid1(VALU_DEP_1)
	v_lshrrev_b32_e32 v9, 16, v9
	v_cndmask_b32_e32 v7, 0x7fc0, v9, vcc_lo
	s_branch .LBB35_1536
.LBB35_1534:
	s_mov_b32 s0, -1
                                        ; implicit-def: $vgpr7
	s_branch .LBB35_1539
.LBB35_1535:
	s_mov_b32 s0, -1
                                        ; implicit-def: $vgpr7
.LBB35_1536:
	s_delay_alu instid0(SALU_CYCLE_1)
	s_and_not1_b32 vcc_lo, exec_lo, s0
	s_cbranch_vccnz .LBB35_1538
; %bb.1537:
	s_wait_loadcnt 0x0
	global_load_b32 v7, v[10:11], off
	s_wait_loadcnt 0x0
	v_bfe_u32 v9, v7, 16, 1
	v_cmp_o_f32_e32 vcc_lo, v7, v7
	s_delay_alu instid0(VALU_DEP_2) | instskip(NEXT) | instid1(VALU_DEP_1)
	v_add3_u32 v9, v7, v9, 0x7fff
	v_lshrrev_b32_e32 v9, 16, v9
	s_delay_alu instid0(VALU_DEP_1)
	v_cndmask_b32_e32 v7, 0x7fc0, v9, vcc_lo
.LBB35_1538:
	s_mov_b32 s0, 0
.LBB35_1539:
	s_delay_alu instid0(SALU_CYCLE_1)
	s_and_not1_b32 vcc_lo, exec_lo, s0
	s_cbranch_vccnz .LBB35_1541
; %bb.1540:
	s_wait_loadcnt 0x0
	global_load_u16 v7, v[10:11], off
	s_wait_loadcnt 0x0
	v_cvt_f32_f16_e32 v9, v7
	v_cmp_o_f16_e32 vcc_lo, v7, v7
	s_delay_alu instid0(VALU_DEP_2) | instskip(NEXT) | instid1(VALU_DEP_1)
	v_bfe_u32 v17, v9, 16, 1
	v_add3_u32 v9, v9, v17, 0x7fff
	s_delay_alu instid0(VALU_DEP_1) | instskip(NEXT) | instid1(VALU_DEP_1)
	v_lshrrev_b32_e32 v9, 16, v9
	v_cndmask_b32_e32 v7, 0x7fc0, v9, vcc_lo
.LBB35_1541:
	s_mov_b32 s0, 0
.LBB35_1542:
	s_delay_alu instid0(SALU_CYCLE_1)
	s_and_not1_b32 vcc_lo, exec_lo, s0
	s_cbranch_vccnz .LBB35_1562
; %bb.1543:
	s_cmp_lt_i32 s11, 2
	s_cbranch_scc1 .LBB35_1547
; %bb.1544:
	s_cmp_lt_i32 s11, 3
	s_cbranch_scc1 .LBB35_1548
; %bb.1545:
	s_cmp_gt_i32 s11, 3
	s_cbranch_scc0 .LBB35_1549
; %bb.1546:
	global_load_b64 v[18:19], v[10:11], off
	s_mov_b32 s0, 0
	s_wait_loadcnt 0x0
	v_xor_b32_e32 v7, v18, v19
	v_cls_i32_e32 v9, v19
	s_delay_alu instid0(VALU_DEP_2) | instskip(NEXT) | instid1(VALU_DEP_1)
	v_ashrrev_i32_e32 v7, 31, v7
	v_add_nc_u32_e32 v7, 32, v7
	s_delay_alu instid0(VALU_DEP_1) | instskip(NEXT) | instid1(VALU_DEP_1)
	v_add_min_u32_e64 v7, v9, -1, v7
	v_lshlrev_b64_e32 v[18:19], v7, v[18:19]
	v_sub_nc_u32_e32 v7, 32, v7
	s_delay_alu instid0(VALU_DEP_2) | instskip(NEXT) | instid1(VALU_DEP_1)
	v_min_u32_e32 v9, 1, v18
	v_or_b32_e32 v9, v19, v9
	s_delay_alu instid0(VALU_DEP_1) | instskip(NEXT) | instid1(VALU_DEP_1)
	v_cvt_f32_i32_e32 v9, v9
	v_ldexp_f32 v7, v9, v7
	s_delay_alu instid0(VALU_DEP_1) | instskip(NEXT) | instid1(VALU_DEP_1)
	v_bfe_u32 v9, v7, 16, 1
	v_add3_u32 v7, v7, v9, 0x7fff
	s_delay_alu instid0(VALU_DEP_1)
	v_lshrrev_b32_e32 v7, 16, v7
	s_branch .LBB35_1550
.LBB35_1547:
	s_mov_b32 s0, -1
                                        ; implicit-def: $vgpr7
	s_branch .LBB35_1556
.LBB35_1548:
	s_mov_b32 s0, -1
                                        ; implicit-def: $vgpr7
	s_branch .LBB35_1553
.LBB35_1549:
	s_mov_b32 s0, -1
                                        ; implicit-def: $vgpr7
.LBB35_1550:
	s_delay_alu instid0(SALU_CYCLE_1)
	s_and_not1_b32 vcc_lo, exec_lo, s0
	s_cbranch_vccnz .LBB35_1552
; %bb.1551:
	s_wait_loadcnt 0x0
	global_load_b32 v7, v[10:11], off
	s_wait_loadcnt 0x0
	v_cvt_f32_i32_e32 v7, v7
	s_delay_alu instid0(VALU_DEP_1) | instskip(NEXT) | instid1(VALU_DEP_1)
	v_bfe_u32 v9, v7, 16, 1
	v_add3_u32 v7, v7, v9, 0x7fff
	s_delay_alu instid0(VALU_DEP_1)
	v_lshrrev_b32_e32 v7, 16, v7
.LBB35_1552:
	s_mov_b32 s0, 0
.LBB35_1553:
	s_delay_alu instid0(SALU_CYCLE_1)
	s_and_not1_b32 vcc_lo, exec_lo, s0
	s_cbranch_vccnz .LBB35_1555
; %bb.1554:
	s_wait_loadcnt 0x0
	global_load_i16 v7, v[10:11], off
	s_wait_loadcnt 0x0
	v_cvt_f32_i32_e32 v7, v7
	s_delay_alu instid0(VALU_DEP_1) | instskip(NEXT) | instid1(VALU_DEP_1)
	v_bfe_u32 v9, v7, 16, 1
	v_add3_u32 v7, v7, v9, 0x7fff
	s_delay_alu instid0(VALU_DEP_1)
	v_lshrrev_b32_e32 v7, 16, v7
.LBB35_1555:
	s_mov_b32 s0, 0
.LBB35_1556:
	s_delay_alu instid0(SALU_CYCLE_1)
	s_and_not1_b32 vcc_lo, exec_lo, s0
	s_cbranch_vccnz .LBB35_1562
; %bb.1557:
	s_cmp_gt_i32 s11, 0
	s_mov_b32 s0, 0
	s_cbranch_scc0 .LBB35_1559
; %bb.1558:
	s_wait_loadcnt 0x0
	global_load_i8 v7, v[10:11], off
	s_wait_loadcnt 0x0
	v_cvt_f32_i32_e32 v7, v7
	s_delay_alu instid0(VALU_DEP_1) | instskip(NEXT) | instid1(VALU_DEP_1)
	v_bfe_u32 v9, v7, 16, 1
	v_add3_u32 v7, v7, v9, 0x7fff
	s_delay_alu instid0(VALU_DEP_1)
	v_lshrrev_b32_e32 v7, 16, v7
	s_branch .LBB35_1560
.LBB35_1559:
	s_mov_b32 s0, -1
                                        ; implicit-def: $vgpr7
.LBB35_1560:
	s_delay_alu instid0(SALU_CYCLE_1)
	s_and_not1_b32 vcc_lo, exec_lo, s0
	s_cbranch_vccnz .LBB35_1562
; %bb.1561:
	s_wait_loadcnt 0x0
	global_load_u8 v7, v[10:11], off
	s_wait_loadcnt 0x0
	v_cvt_f32_ubyte0_e32 v7, v7
	s_delay_alu instid0(VALU_DEP_1) | instskip(NEXT) | instid1(VALU_DEP_1)
	v_bfe_u32 v9, v7, 16, 1
	v_add3_u32 v7, v7, v9, 0x7fff
	s_delay_alu instid0(VALU_DEP_1)
	v_lshrrev_b32_e32 v7, 16, v7
.LBB35_1562:
.LBB35_1563:
	s_wait_loadcnt 0x0
	s_delay_alu instid0(VALU_DEP_1) | instskip(SKIP_1) | instid1(VALU_DEP_1)
	v_lshlrev_b32_e32 v10, 16, v7
                                        ; implicit-def: $vgpr18
                                        ; implicit-def: $vgpr17
	s_mov_b32 s1, exec_lo
	v_and_b32_e32 v11, 0x7fffffff, v10
	v_cmpx_ngt_f32_e64 0x48000000, |v10|
	s_xor_b32 s12, exec_lo, s1
	s_cbranch_execz .LBB35_1565
; %bb.1564:
	s_mov_b32 s0, 0x7fffff
	v_mov_b32_e32 v19, 0
	v_and_or_b32 v18, v11, s0, 0x800000
	s_mov_b64 s[0:1], 0xfe5163ab
	v_lshrrev_b32_e32 v7, 23, v11
	s_delay_alu instid0(VALU_DEP_2) | instskip(NEXT) | instid1(VALU_DEP_1)
	v_mul_u64_e32 v[20:21], s[0:1], v[18:19]
	v_dual_mov_b32 v22, v21 :: v_dual_mov_b32 v23, v19
	v_dual_mov_b32 v25, v19 :: v_dual_mov_b32 v27, v19
	;; [unrolled: 1-line block ×3, first 2 shown]
	s_delay_alu instid0(VALU_DEP_3) | instskip(NEXT) | instid1(VALU_DEP_1)
	v_mad_nc_u64_u32 v[22:23], 0x3c439041, v18, v[22:23]
	v_mov_b32_e32 v24, v23
	s_delay_alu instid0(VALU_DEP_1) | instskip(NEXT) | instid1(VALU_DEP_1)
	v_mad_nc_u64_u32 v[24:25], 0xdb629599, v18, v[24:25]
	v_mov_b32_e32 v26, v25
	s_delay_alu instid0(VALU_DEP_1) | instskip(NEXT) | instid1(VALU_DEP_1)
	;; [unrolled: 3-line block ×3, first 2 shown]
	v_mad_nc_u64_u32 v[28:29], 0xfc2757d1, v18, v[28:29]
	v_dual_mov_b32 v31, v19 :: v_dual_mov_b32 v30, v29
	s_delay_alu instid0(VALU_DEP_1) | instskip(NEXT) | instid1(VALU_DEP_1)
	v_mad_nc_u64_u32 v[30:31], 0x4e441529, v18, v[30:31]
	v_dual_mov_b32 v32, v31 :: v_dual_add_nc_u32 v7, 0xffffff88, v7
	s_delay_alu instid0(VALU_DEP_1) | instskip(NEXT) | instid1(VALU_DEP_2)
	v_cmp_lt_u32_e32 vcc_lo, 63, v7
	v_mad_nc_u64_u32 v[18:19], 0xa2f9836e, v18, v[32:33]
	v_cndmask_b32_e64 v9, 0, 0xffffffc0, vcc_lo
	v_dual_cndmask_b32 v17, v30, v26 :: v_dual_cndmask_b32 v20, v24, v20
	s_delay_alu instid0(VALU_DEP_2) | instskip(NEXT) | instid1(VALU_DEP_1)
	v_add_nc_u32_e32 v7, v9, v7
	v_cmp_lt_u32_e64 s0, 31, v7
	v_dual_cndmask_b32 v18, v18, v28 :: v_dual_cndmask_b32 v19, v19, v30
	s_delay_alu instid0(VALU_DEP_2) | instskip(NEXT) | instid1(VALU_DEP_1)
	v_cndmask_b32_e64 v9, 0, 0xffffffe0, s0
	v_add_nc_u32_e32 v7, v9, v7
	s_delay_alu instid0(VALU_DEP_1) | instskip(NEXT) | instid1(VALU_DEP_1)
	v_cmp_lt_u32_e64 s1, 31, v7
	v_cndmask_b32_e64 v9, 0, 0xffffffe0, s1
	s_delay_alu instid0(VALU_DEP_1) | instskip(SKIP_2) | instid1(VALU_DEP_3)
	v_dual_cndmask_b32 v21, v28, v24, vcc_lo :: v_dual_add_nc_u32 v7, v9, v7
	v_cndmask_b32_e32 v9, v26, v22, vcc_lo
	v_dual_cndmask_b32 v22, v18, v17, s0 :: v_dual_cndmask_b32 v18, v19, v18, s0
	v_dual_cndmask_b32 v17, v17, v21, s0 :: v_dual_sub_nc_u32 v19, 32, v7
	s_delay_alu instid0(VALU_DEP_3) | instskip(SKIP_1) | instid1(VALU_DEP_4)
	v_cndmask_b32_e64 v21, v21, v9, s0
	v_cmp_eq_u32_e32 vcc_lo, 0, v7
	v_cndmask_b32_e64 v18, v18, v22, s1
	s_delay_alu instid0(VALU_DEP_4) | instskip(NEXT) | instid1(VALU_DEP_4)
	v_dual_cndmask_b32 v22, v22, v17, s1 :: v_dual_cndmask_b32 v9, v9, v20, s0
	v_cndmask_b32_e64 v17, v17, v21, s1
	s_delay_alu instid0(VALU_DEP_2) | instskip(NEXT) | instid1(VALU_DEP_3)
	v_alignbit_b32 v23, v18, v22, v19
	v_cndmask_b32_e64 v9, v21, v9, s1
	s_delay_alu instid0(VALU_DEP_3) | instskip(NEXT) | instid1(VALU_DEP_3)
	v_alignbit_b32 v24, v22, v17, v19
	v_cndmask_b32_e32 v7, v23, v18, vcc_lo
	s_delay_alu instid0(VALU_DEP_3) | instskip(NEXT) | instid1(VALU_DEP_3)
	v_alignbit_b32 v19, v17, v9, v19
	v_cndmask_b32_e32 v18, v24, v22, vcc_lo
	s_delay_alu instid0(VALU_DEP_3) | instskip(NEXT) | instid1(VALU_DEP_3)
	v_bfe_u32 v20, v7, 29, 1
	v_cndmask_b32_e32 v17, v19, v17, vcc_lo
	s_delay_alu instid0(VALU_DEP_3) | instskip(NEXT) | instid1(VALU_DEP_3)
	v_alignbit_b32 v21, v7, v18, 30
	v_sub_nc_u32_e32 v22, 0, v20
	s_delay_alu instid0(VALU_DEP_3) | instskip(SKIP_1) | instid1(VALU_DEP_3)
	v_alignbit_b32 v18, v18, v17, 30
	v_alignbit_b32 v9, v17, v9, 30
	v_xor_b32_e32 v21, v21, v22
	s_delay_alu instid0(VALU_DEP_3) | instskip(NEXT) | instid1(VALU_DEP_3)
	v_xor_b32_e32 v17, v18, v22
	v_dual_lshrrev_b32 v22, 29, v7 :: v_dual_bitop2_b32 v9, v9, v22 bitop3:0x14
	v_lshrrev_b32_e32 v7, 30, v7
	s_delay_alu instid0(VALU_DEP_4) | instskip(NEXT) | instid1(VALU_DEP_1)
	v_clz_i32_u32_e32 v19, v21
	v_min_u32_e32 v19, 32, v19
	s_delay_alu instid0(VALU_DEP_1) | instskip(NEXT) | instid1(VALU_DEP_1)
	v_dual_sub_nc_u32 v18, 31, v19 :: v_dual_lshlrev_b32 v23, 23, v19
	v_alignbit_b32 v21, v21, v17, v18
	v_alignbit_b32 v9, v17, v9, v18
	v_lshlrev_b32_e32 v17, 31, v22
	s_delay_alu instid0(VALU_DEP_2) | instskip(NEXT) | instid1(VALU_DEP_2)
	v_alignbit_b32 v18, v21, v9, 9
	v_or_b32_e32 v22, 0.5, v17
	v_lshrrev_b32_e32 v21, 9, v21
	v_or_b32_e32 v17, 0x33000000, v17
	s_delay_alu instid0(VALU_DEP_4) | instskip(NEXT) | instid1(VALU_DEP_4)
	v_clz_i32_u32_e32 v24, v18
	v_sub_nc_u32_e32 v22, v22, v23
	s_delay_alu instid0(VALU_DEP_2) | instskip(NEXT) | instid1(VALU_DEP_2)
	v_min_u32_e32 v23, 32, v24
	v_or_b32_e32 v21, v21, v22
	s_delay_alu instid0(VALU_DEP_2) | instskip(SKIP_1) | instid1(VALU_DEP_2)
	v_not_b32_e32 v22, v23
	v_add_lshl_u32 v19, v23, v19, 23
	v_alignbit_b32 v9, v18, v9, v22
	s_delay_alu instid0(VALU_DEP_1) | instskip(SKIP_1) | instid1(VALU_DEP_2)
	v_dual_sub_nc_u32 v17, v17, v19 :: v_dual_lshrrev_b32 v9, 9, v9
	v_mul_f32_e32 v24, 0x3fc90fda, v21
	v_or_b32_e32 v9, v17, v9
	s_delay_alu instid0(VALU_DEP_2) | instskip(NEXT) | instid1(VALU_DEP_1)
	v_fma_f32 v18, 0x3fc90fda, v21, -v24
	v_fmamk_f32 v18, v21, 0x33a22168, v18
	s_delay_alu instid0(VALU_DEP_1) | instskip(NEXT) | instid1(VALU_DEP_1)
	v_fmac_f32_e32 v18, 0x3fc90fda, v9
	v_add_f32_e32 v17, v24, v18
	v_add_nc_u32_e32 v18, v20, v7
.LBB35_1565:
	s_and_not1_saveexec_b32 s0, s12
; %bb.1566:
	v_mul_f32_e64 v7, 0x3f22f983, |v10|
	s_delay_alu instid0(VALU_DEP_1) | instskip(NEXT) | instid1(VALU_DEP_1)
	v_rndne_f32_e32 v7, v7
	v_fma_f32 v9, 0xbfc90fda, v7, |v10|
	v_cvt_i32_f32_e32 v18, v7
	s_delay_alu instid0(VALU_DEP_2) | instskip(NEXT) | instid1(VALU_DEP_1)
	v_fmamk_f32 v9, v7, 0xb3a22168, v9
	v_fmamk_f32 v17, v7, 0xa7c234c4, v9
; %bb.1567:
	s_or_b32 exec_lo, exec_lo, s0
	v_mov_b32_e32 v9, 0
	s_cmp_lt_i32 s11, 11
	s_delay_alu instid0(VALU_DEP_1)
	v_add_nc_u64_e32 v[8:9], s[6:7], v[8:9]
	s_cbranch_scc1 .LBB35_1574
; %bb.1568:
	s_cmp_gt_i32 s11, 25
	s_mov_b32 s1, 0
	s_cbranch_scc0 .LBB35_1575
; %bb.1569:
	s_cmp_gt_i32 s11, 28
	s_cbranch_scc0 .LBB35_1576
; %bb.1570:
	s_cmp_gt_i32 s11, 43
	s_cbranch_scc0 .LBB35_1577
; %bb.1571:
	s_cmp_gt_i32 s11, 45
	s_cbranch_scc0 .LBB35_1579
; %bb.1572:
	s_cmp_eq_u32 s11, 46
	s_mov_b32 s7, 0
	s_cbranch_scc0 .LBB35_1580
; %bb.1573:
	global_load_b32 v7, v[8:9], off
	s_mov_b32 s0, 0
	s_mov_b32 s6, -1
	s_branch .LBB35_1582
.LBB35_1574:
	s_mov_b32 s0, -1
	s_mov_b32 s6, 0
                                        ; implicit-def: $vgpr7
	s_branch .LBB35_1648
.LBB35_1575:
	s_mov_b32 s7, -1
	s_mov_b32 s6, 0
	s_mov_b32 s0, 0
                                        ; implicit-def: $vgpr7
	s_branch .LBB35_1611
.LBB35_1576:
	s_mov_b32 s7, -1
	s_mov_b32 s6, 0
	s_mov_b32 s0, 0
                                        ; implicit-def: $vgpr7
	s_branch .LBB35_1592
.LBB35_1577:
	s_mov_b32 s7, -1
	s_mov_b32 s6, 0
	s_mov_b32 s0, 0
                                        ; implicit-def: $vgpr7
	s_branch .LBB35_1587
.LBB35_1578:
	s_or_b32 s10, s10, exec_lo
	s_trap 2
	s_cbranch_execz .LBB35_1513
	s_branch .LBB35_1514
.LBB35_1579:
	s_mov_b32 s7, -1
	s_mov_b32 s6, 0
	s_mov_b32 s0, 0
	s_branch .LBB35_1581
.LBB35_1580:
	s_mov_b32 s0, -1
	s_mov_b32 s6, 0
.LBB35_1581:
                                        ; implicit-def: $vgpr7
.LBB35_1582:
	s_and_b32 vcc_lo, exec_lo, s7
	s_cbranch_vccz .LBB35_1586
; %bb.1583:
	s_cmp_eq_u32 s11, 44
	s_cbranch_scc0 .LBB35_1585
; %bb.1584:
	s_wait_loadcnt 0x0
	global_load_u8 v7, v[8:9], off
	s_mov_b32 s0, 0
	s_mov_b32 s6, -1
	s_wait_loadcnt 0x0
	v_lshlrev_b32_e32 v19, 23, v7
	v_cmp_ne_u32_e32 vcc_lo, 0xff, v7
	s_delay_alu instid0(VALU_DEP_2) | instskip(SKIP_1) | instid1(VALU_DEP_2)
	v_cndmask_b32_e32 v19, 0x7f800001, v19, vcc_lo
	v_cmp_ne_u32_e32 vcc_lo, 0, v7
	v_cndmask_b32_e32 v7, 0x400000, v19, vcc_lo
	s_delay_alu instid0(VALU_DEP_1) | instskip(SKIP_1) | instid1(VALU_DEP_2)
	v_add_nc_u32_e32 v19, 0x7fff, v7
	v_cmp_o_f32_e32 vcc_lo, v7, v7
	v_lshrrev_b32_e32 v19, 16, v19
	s_delay_alu instid0(VALU_DEP_1)
	v_cndmask_b32_e32 v7, 0x7fc0, v19, vcc_lo
	s_branch .LBB35_1586
.LBB35_1585:
	s_mov_b32 s0, -1
                                        ; implicit-def: $vgpr7
.LBB35_1586:
	s_mov_b32 s7, 0
.LBB35_1587:
	s_delay_alu instid0(SALU_CYCLE_1)
	s_and_b32 vcc_lo, exec_lo, s7
	s_cbranch_vccz .LBB35_1591
; %bb.1588:
	s_cmp_eq_u32 s11, 29
	s_cbranch_scc0 .LBB35_1590
; %bb.1589:
	global_load_b64 v[20:21], v[8:9], off
	s_mov_b32 s0, 0
	s_mov_b32 s6, -1
	s_mov_b32 s7, 0
	s_wait_loadcnt 0x0
	v_clz_i32_u32_e32 v7, v21
	s_delay_alu instid0(VALU_DEP_1) | instskip(NEXT) | instid1(VALU_DEP_1)
	v_min_u32_e32 v7, 32, v7
	v_lshlrev_b64_e32 v[20:21], v7, v[20:21]
	v_sub_nc_u32_e32 v7, 32, v7
	s_delay_alu instid0(VALU_DEP_2) | instskip(NEXT) | instid1(VALU_DEP_1)
	v_min_u32_e32 v19, 1, v20
	v_or_b32_e32 v19, v21, v19
	s_delay_alu instid0(VALU_DEP_1) | instskip(NEXT) | instid1(VALU_DEP_1)
	v_cvt_f32_u32_e32 v19, v19
	v_ldexp_f32 v7, v19, v7
	s_delay_alu instid0(VALU_DEP_1) | instskip(NEXT) | instid1(VALU_DEP_1)
	v_bfe_u32 v19, v7, 16, 1
	v_add3_u32 v7, v7, v19, 0x7fff
	s_delay_alu instid0(VALU_DEP_1)
	v_lshrrev_b32_e32 v7, 16, v7
	s_branch .LBB35_1592
.LBB35_1590:
	s_mov_b32 s0, -1
                                        ; implicit-def: $vgpr7
.LBB35_1591:
	s_mov_b32 s7, 0
.LBB35_1592:
	s_delay_alu instid0(SALU_CYCLE_1)
	s_and_b32 vcc_lo, exec_lo, s7
	s_cbranch_vccz .LBB35_1610
; %bb.1593:
	s_cmp_lt_i32 s11, 27
	s_cbranch_scc1 .LBB35_1596
; %bb.1594:
	s_cmp_gt_i32 s11, 27
	s_cbranch_scc0 .LBB35_1597
; %bb.1595:
	s_wait_loadcnt 0x0
	global_load_b32 v7, v[8:9], off
	s_mov_b32 s6, 0
	s_wait_loadcnt 0x0
	v_cvt_f32_u32_e32 v7, v7
	s_delay_alu instid0(VALU_DEP_1) | instskip(NEXT) | instid1(VALU_DEP_1)
	v_bfe_u32 v19, v7, 16, 1
	v_add3_u32 v7, v7, v19, 0x7fff
	s_delay_alu instid0(VALU_DEP_1)
	v_lshrrev_b32_e32 v7, 16, v7
	s_branch .LBB35_1598
.LBB35_1596:
	s_mov_b32 s6, -1
                                        ; implicit-def: $vgpr7
	s_branch .LBB35_1601
.LBB35_1597:
	s_mov_b32 s6, -1
                                        ; implicit-def: $vgpr7
.LBB35_1598:
	s_delay_alu instid0(SALU_CYCLE_1)
	s_and_not1_b32 vcc_lo, exec_lo, s6
	s_cbranch_vccnz .LBB35_1600
; %bb.1599:
	s_wait_loadcnt 0x0
	global_load_u16 v7, v[8:9], off
	s_wait_loadcnt 0x0
	v_cvt_f32_u32_e32 v7, v7
	s_delay_alu instid0(VALU_DEP_1) | instskip(NEXT) | instid1(VALU_DEP_1)
	v_bfe_u32 v19, v7, 16, 1
	v_add3_u32 v7, v7, v19, 0x7fff
	s_delay_alu instid0(VALU_DEP_1)
	v_lshrrev_b32_e32 v7, 16, v7
.LBB35_1600:
	s_mov_b32 s6, 0
.LBB35_1601:
	s_delay_alu instid0(SALU_CYCLE_1)
	s_and_not1_b32 vcc_lo, exec_lo, s6
	s_cbranch_vccnz .LBB35_1609
; %bb.1602:
	s_wait_loadcnt 0x0
	global_load_u8 v7, v[8:9], off
	s_mov_b32 s6, 0
	s_mov_b32 s7, exec_lo
	s_wait_loadcnt 0x0
	v_cmpx_lt_i16_e32 0x7f, v7
	s_xor_b32 s7, exec_lo, s7
	s_cbranch_execz .LBB35_1623
; %bb.1603:
	s_mov_b32 s6, -1
	s_mov_b32 s12, exec_lo
	v_cmpx_eq_u16_e32 0x80, v7
; %bb.1604:
	s_xor_b32 s6, exec_lo, -1
; %bb.1605:
	s_or_b32 exec_lo, exec_lo, s12
	s_delay_alu instid0(SALU_CYCLE_1)
	s_and_b32 s6, s6, exec_lo
	s_or_saveexec_b32 s7, s7
	v_mov_b32_e32 v19, 0x7f800001
	s_xor_b32 exec_lo, exec_lo, s7
	s_cbranch_execnz .LBB35_1624
.LBB35_1606:
	s_or_b32 exec_lo, exec_lo, s7
	s_and_saveexec_b32 s7, s6
	s_cbranch_execz .LBB35_1608
.LBB35_1607:
	v_and_b32_e32 v19, 0xffff, v7
	s_delay_alu instid0(VALU_DEP_1) | instskip(SKIP_1) | instid1(VALU_DEP_2)
	v_and_b32_e32 v20, 7, v19
	v_bfe_u32 v23, v19, 3, 4
	v_clz_i32_u32_e32 v21, v20
	s_delay_alu instid0(VALU_DEP_2) | instskip(NEXT) | instid1(VALU_DEP_2)
	v_cmp_eq_u32_e32 vcc_lo, 0, v23
	v_min_u32_e32 v21, 32, v21
	s_delay_alu instid0(VALU_DEP_1) | instskip(NEXT) | instid1(VALU_DEP_1)
	v_subrev_nc_u32_e32 v22, 28, v21
	v_dual_lshlrev_b32 v19, v22, v19 :: v_dual_sub_nc_u32 v21, 29, v21
	s_delay_alu instid0(VALU_DEP_1) | instskip(NEXT) | instid1(VALU_DEP_2)
	v_and_b32_e32 v19, 7, v19
	v_dual_lshlrev_b32 v7, 24, v7 :: v_dual_cndmask_b32 v21, v23, v21, vcc_lo
	s_delay_alu instid0(VALU_DEP_2) | instskip(NEXT) | instid1(VALU_DEP_2)
	v_cndmask_b32_e32 v19, v20, v19, vcc_lo
	v_and_b32_e32 v7, 0x80000000, v7
	s_delay_alu instid0(VALU_DEP_3) | instskip(NEXT) | instid1(VALU_DEP_3)
	v_lshl_add_u32 v20, v21, 23, 0x3b800000
	v_lshlrev_b32_e32 v19, 20, v19
	s_delay_alu instid0(VALU_DEP_1)
	v_or3_b32 v19, v7, v20, v19
.LBB35_1608:
	s_or_b32 exec_lo, exec_lo, s7
	s_delay_alu instid0(VALU_DEP_1) | instskip(SKIP_1) | instid1(VALU_DEP_2)
	v_bfe_u32 v7, v19, 16, 1
	v_cmp_o_f32_e32 vcc_lo, v19, v19
	v_add3_u32 v7, v19, v7, 0x7fff
	s_delay_alu instid0(VALU_DEP_1) | instskip(NEXT) | instid1(VALU_DEP_1)
	v_lshrrev_b32_e32 v7, 16, v7
	v_cndmask_b32_e32 v7, 0x7fc0, v7, vcc_lo
.LBB35_1609:
	s_mov_b32 s6, -1
.LBB35_1610:
	s_mov_b32 s7, 0
.LBB35_1611:
	s_delay_alu instid0(SALU_CYCLE_1)
	s_and_b32 vcc_lo, exec_lo, s7
	s_cbranch_vccz .LBB35_1644
; %bb.1612:
	s_cmp_gt_i32 s11, 22
	s_cbranch_scc0 .LBB35_1622
; %bb.1613:
	s_cmp_lt_i32 s11, 24
	s_cbranch_scc1 .LBB35_1625
; %bb.1614:
	s_cmp_gt_i32 s11, 24
	s_cbranch_scc0 .LBB35_1626
; %bb.1615:
	s_wait_loadcnt 0x0
	global_load_u8 v7, v[8:9], off
	s_mov_b32 s6, exec_lo
	s_wait_loadcnt 0x0
	v_cmpx_lt_i16_e32 0x7f, v7
	s_xor_b32 s6, exec_lo, s6
	s_cbranch_execz .LBB35_1638
; %bb.1616:
	s_mov_b32 s1, -1
	s_mov_b32 s7, exec_lo
	v_cmpx_eq_u16_e32 0x80, v7
; %bb.1617:
	s_xor_b32 s1, exec_lo, -1
; %bb.1618:
	s_or_b32 exec_lo, exec_lo, s7
	s_delay_alu instid0(SALU_CYCLE_1)
	s_and_b32 s1, s1, exec_lo
	s_or_saveexec_b32 s6, s6
	v_mov_b32_e32 v19, 0x7f800001
	s_xor_b32 exec_lo, exec_lo, s6
	s_cbranch_execnz .LBB35_1639
.LBB35_1619:
	s_or_b32 exec_lo, exec_lo, s6
	s_and_saveexec_b32 s6, s1
	s_cbranch_execz .LBB35_1621
.LBB35_1620:
	v_and_b32_e32 v19, 0xffff, v7
	s_delay_alu instid0(VALU_DEP_1) | instskip(SKIP_1) | instid1(VALU_DEP_2)
	v_and_b32_e32 v20, 3, v19
	v_bfe_u32 v23, v19, 2, 5
	v_clz_i32_u32_e32 v21, v20
	s_delay_alu instid0(VALU_DEP_2) | instskip(NEXT) | instid1(VALU_DEP_2)
	v_cmp_eq_u32_e32 vcc_lo, 0, v23
	v_min_u32_e32 v21, 32, v21
	s_delay_alu instid0(VALU_DEP_1) | instskip(NEXT) | instid1(VALU_DEP_1)
	v_subrev_nc_u32_e32 v22, 29, v21
	v_dual_lshlrev_b32 v19, v22, v19 :: v_dual_sub_nc_u32 v21, 30, v21
	s_delay_alu instid0(VALU_DEP_1) | instskip(NEXT) | instid1(VALU_DEP_2)
	v_and_b32_e32 v19, 3, v19
	v_dual_lshlrev_b32 v7, 24, v7 :: v_dual_cndmask_b32 v21, v23, v21, vcc_lo
	s_delay_alu instid0(VALU_DEP_2) | instskip(NEXT) | instid1(VALU_DEP_2)
	v_cndmask_b32_e32 v19, v20, v19, vcc_lo
	v_and_b32_e32 v7, 0x80000000, v7
	s_delay_alu instid0(VALU_DEP_3) | instskip(NEXT) | instid1(VALU_DEP_3)
	v_lshl_add_u32 v20, v21, 23, 0x37800000
	v_lshlrev_b32_e32 v19, 21, v19
	s_delay_alu instid0(VALU_DEP_1)
	v_or3_b32 v19, v7, v20, v19
.LBB35_1621:
	s_or_b32 exec_lo, exec_lo, s6
	s_delay_alu instid0(VALU_DEP_1) | instskip(SKIP_2) | instid1(VALU_DEP_2)
	v_bfe_u32 v7, v19, 16, 1
	v_cmp_o_f32_e32 vcc_lo, v19, v19
	s_mov_b32 s1, 0
	v_add3_u32 v7, v19, v7, 0x7fff
	s_delay_alu instid0(VALU_DEP_1) | instskip(NEXT) | instid1(VALU_DEP_1)
	v_lshrrev_b32_e32 v7, 16, v7
	v_cndmask_b32_e32 v7, 0x7fc0, v7, vcc_lo
	s_branch .LBB35_1627
.LBB35_1622:
	s_mov_b32 s1, -1
                                        ; implicit-def: $vgpr7
	s_branch .LBB35_1633
.LBB35_1623:
	s_or_saveexec_b32 s7, s7
	v_mov_b32_e32 v19, 0x7f800001
	s_xor_b32 exec_lo, exec_lo, s7
	s_cbranch_execz .LBB35_1606
.LBB35_1624:
	v_cmp_ne_u16_e32 vcc_lo, 0, v7
	v_mov_b32_e32 v19, 0
	s_and_not1_b32 s6, s6, exec_lo
	s_and_b32 s12, vcc_lo, exec_lo
	s_delay_alu instid0(SALU_CYCLE_1)
	s_or_b32 s6, s6, s12
	s_or_b32 exec_lo, exec_lo, s7
	s_and_saveexec_b32 s7, s6
	s_cbranch_execnz .LBB35_1607
	s_branch .LBB35_1608
.LBB35_1625:
	s_mov_b32 s1, -1
                                        ; implicit-def: $vgpr7
	s_branch .LBB35_1630
.LBB35_1626:
	s_mov_b32 s1, -1
                                        ; implicit-def: $vgpr7
.LBB35_1627:
	s_delay_alu instid0(SALU_CYCLE_1)
	s_and_b32 vcc_lo, exec_lo, s1
	s_cbranch_vccz .LBB35_1629
; %bb.1628:
	s_wait_loadcnt 0x0
	global_load_u8 v7, v[8:9], off
	s_wait_loadcnt 0x0
	v_lshlrev_b32_e32 v7, 24, v7
	s_delay_alu instid0(VALU_DEP_1) | instskip(NEXT) | instid1(VALU_DEP_1)
	v_and_b32_e32 v19, 0x7f000000, v7
	v_clz_i32_u32_e32 v20, v19
	v_cmp_ne_u32_e32 vcc_lo, 0, v19
	v_add_nc_u32_e32 v22, 0x1000000, v19
	s_delay_alu instid0(VALU_DEP_3) | instskip(NEXT) | instid1(VALU_DEP_1)
	v_min_u32_e32 v20, 32, v20
	v_sub_nc_u32_e64 v20, v20, 4 clamp
	s_delay_alu instid0(VALU_DEP_1) | instskip(NEXT) | instid1(VALU_DEP_1)
	v_dual_lshlrev_b32 v21, v20, v19 :: v_dual_lshlrev_b32 v20, 23, v20
	v_lshrrev_b32_e32 v21, 4, v21
	s_delay_alu instid0(VALU_DEP_1) | instskip(NEXT) | instid1(VALU_DEP_1)
	v_dual_sub_nc_u32 v20, v21, v20 :: v_dual_ashrrev_i32 v21, 8, v22
	v_add_nc_u32_e32 v20, 0x3c000000, v20
	s_delay_alu instid0(VALU_DEP_1) | instskip(NEXT) | instid1(VALU_DEP_1)
	v_and_or_b32 v20, 0x7f800000, v21, v20
	v_cndmask_b32_e32 v19, 0, v20, vcc_lo
	s_delay_alu instid0(VALU_DEP_1) | instskip(SKIP_1) | instid1(VALU_DEP_2)
	v_and_or_b32 v7, 0x80000000, v7, v19
	v_bfe_u32 v19, v19, 16, 1
	v_cmp_o_f32_e32 vcc_lo, v7, v7
	s_delay_alu instid0(VALU_DEP_2) | instskip(NEXT) | instid1(VALU_DEP_1)
	v_add3_u32 v19, v7, v19, 0x7fff
	v_lshrrev_b32_e32 v19, 16, v19
	s_delay_alu instid0(VALU_DEP_1)
	v_cndmask_b32_e32 v7, 0x7fc0, v19, vcc_lo
.LBB35_1629:
	s_mov_b32 s1, 0
.LBB35_1630:
	s_delay_alu instid0(SALU_CYCLE_1)
	s_and_not1_b32 vcc_lo, exec_lo, s1
	s_cbranch_vccnz .LBB35_1632
; %bb.1631:
	s_wait_loadcnt 0x0
	global_load_u8 v7, v[8:9], off
	s_wait_loadcnt 0x0
	v_lshlrev_b32_e32 v19, 25, v7
	v_lshlrev_b16 v7, 8, v7
	s_delay_alu instid0(VALU_DEP_1) | instskip(SKIP_1) | instid1(VALU_DEP_2)
	v_and_or_b32 v21, 0x7f00, v7, 0.5
	v_bfe_i32 v7, v7, 0, 16
	v_dual_add_f32 v21, -0.5, v21 :: v_dual_lshrrev_b32 v20, 4, v19
	v_cmp_gt_u32_e32 vcc_lo, 0x8000000, v19
	s_delay_alu instid0(VALU_DEP_2) | instskip(NEXT) | instid1(VALU_DEP_1)
	v_or_b32_e32 v20, 0x70000000, v20
	v_mul_f32_e32 v20, 0x7800000, v20
	s_delay_alu instid0(VALU_DEP_1) | instskip(NEXT) | instid1(VALU_DEP_1)
	v_cndmask_b32_e32 v19, v20, v21, vcc_lo
	v_and_or_b32 v7, 0x80000000, v7, v19
	v_bfe_u32 v19, v19, 16, 1
	s_delay_alu instid0(VALU_DEP_2) | instskip(NEXT) | instid1(VALU_DEP_2)
	v_cmp_o_f32_e32 vcc_lo, v7, v7
	v_add3_u32 v19, v7, v19, 0x7fff
	s_delay_alu instid0(VALU_DEP_1) | instskip(NEXT) | instid1(VALU_DEP_1)
	v_lshrrev_b32_e32 v19, 16, v19
	v_cndmask_b32_e32 v7, 0x7fc0, v19, vcc_lo
.LBB35_1632:
	s_mov_b32 s1, 0
	s_mov_b32 s6, -1
.LBB35_1633:
	s_and_not1_b32 vcc_lo, exec_lo, s1
	s_mov_b32 s1, 0
	s_cbranch_vccnz .LBB35_1644
; %bb.1634:
	s_cmp_gt_i32 s11, 14
	s_cbranch_scc0 .LBB35_1637
; %bb.1635:
	s_cmp_eq_u32 s11, 15
	s_cbranch_scc0 .LBB35_1640
; %bb.1636:
	s_wait_loadcnt 0x0
	global_load_u16 v7, v[8:9], off
	s_mov_b32 s0, 0
	s_mov_b32 s6, -1
	s_branch .LBB35_1642
.LBB35_1637:
	s_mov_b32 s1, -1
	s_branch .LBB35_1641
.LBB35_1638:
	s_or_saveexec_b32 s6, s6
	v_mov_b32_e32 v19, 0x7f800001
	s_xor_b32 exec_lo, exec_lo, s6
	s_cbranch_execz .LBB35_1619
.LBB35_1639:
	v_cmp_ne_u16_e32 vcc_lo, 0, v7
	v_mov_b32_e32 v19, 0
	s_and_not1_b32 s1, s1, exec_lo
	s_and_b32 s7, vcc_lo, exec_lo
	s_delay_alu instid0(SALU_CYCLE_1)
	s_or_b32 s1, s1, s7
	s_or_b32 exec_lo, exec_lo, s6
	s_and_saveexec_b32 s6, s1
	s_cbranch_execnz .LBB35_1620
	s_branch .LBB35_1621
.LBB35_1640:
	s_mov_b32 s0, -1
.LBB35_1641:
                                        ; implicit-def: $vgpr7
.LBB35_1642:
	s_and_b32 vcc_lo, exec_lo, s1
	s_mov_b32 s1, 0
	s_cbranch_vccz .LBB35_1644
; %bb.1643:
	s_cmp_lg_u32 s11, 11
	s_mov_b32 s1, -1
	s_cselect_b32 s0, -1, 0
.LBB35_1644:
	s_delay_alu instid0(SALU_CYCLE_1)
	s_and_b32 vcc_lo, exec_lo, s0
	s_cbranch_vccnz .LBB35_2177
; %bb.1645:
	s_and_not1_b32 vcc_lo, exec_lo, s1
	s_cbranch_vccnz .LBB35_1647
.LBB35_1646:
	s_wait_loadcnt 0x0
	global_load_u8 v7, v[8:9], off
	s_mov_b32 s6, -1
	s_wait_loadcnt 0x0
	v_cmp_ne_u16_e32 vcc_lo, 0, v7
	v_cndmask_b32_e64 v7, 0, 1.0, vcc_lo
	s_delay_alu instid0(VALU_DEP_1)
	v_lshrrev_b32_e32 v7, 16, v7
.LBB35_1647:
	s_mov_b32 s0, 0
.LBB35_1648:
	s_delay_alu instid0(SALU_CYCLE_1)
	s_and_b32 vcc_lo, exec_lo, s0
	s_cbranch_vccz .LBB35_1697
; %bb.1649:
	s_cmp_lt_i32 s11, 5
	s_cbranch_scc1 .LBB35_1654
; %bb.1650:
	s_cmp_lt_i32 s11, 8
	s_cbranch_scc1 .LBB35_1655
	;; [unrolled: 3-line block ×3, first 2 shown]
; %bb.1652:
	s_cmp_gt_i32 s11, 9
	s_cbranch_scc0 .LBB35_1657
; %bb.1653:
	global_load_b64 v[20:21], v[8:9], off
	s_mov_b32 s0, 0
	s_wait_loadcnt 0x0
	v_cvt_f32_f64_e32 v7, v[20:21]
	s_delay_alu instid0(VALU_DEP_1) | instskip(SKIP_1) | instid1(VALU_DEP_2)
	v_bfe_u32 v19, v7, 16, 1
	v_cmp_o_f32_e32 vcc_lo, v7, v7
	v_add3_u32 v19, v7, v19, 0x7fff
	s_delay_alu instid0(VALU_DEP_1) | instskip(NEXT) | instid1(VALU_DEP_1)
	v_lshrrev_b32_e32 v19, 16, v19
	v_cndmask_b32_e32 v7, 0x7fc0, v19, vcc_lo
	s_branch .LBB35_1658
.LBB35_1654:
	s_mov_b32 s0, -1
                                        ; implicit-def: $vgpr7
	s_branch .LBB35_1676
.LBB35_1655:
	s_mov_b32 s0, -1
                                        ; implicit-def: $vgpr7
	s_branch .LBB35_1664
.LBB35_1656:
	s_mov_b32 s0, -1
                                        ; implicit-def: $vgpr7
	s_branch .LBB35_1661
.LBB35_1657:
	s_mov_b32 s0, -1
                                        ; implicit-def: $vgpr7
.LBB35_1658:
	s_delay_alu instid0(SALU_CYCLE_1)
	s_and_not1_b32 vcc_lo, exec_lo, s0
	s_cbranch_vccnz .LBB35_1660
; %bb.1659:
	s_wait_loadcnt 0x0
	global_load_b32 v7, v[8:9], off
	s_wait_loadcnt 0x0
	v_bfe_u32 v19, v7, 16, 1
	v_cmp_o_f32_e32 vcc_lo, v7, v7
	s_delay_alu instid0(VALU_DEP_2) | instskip(NEXT) | instid1(VALU_DEP_1)
	v_add3_u32 v19, v7, v19, 0x7fff
	v_lshrrev_b32_e32 v19, 16, v19
	s_delay_alu instid0(VALU_DEP_1)
	v_cndmask_b32_e32 v7, 0x7fc0, v19, vcc_lo
.LBB35_1660:
	s_mov_b32 s0, 0
.LBB35_1661:
	s_delay_alu instid0(SALU_CYCLE_1)
	s_and_not1_b32 vcc_lo, exec_lo, s0
	s_cbranch_vccnz .LBB35_1663
; %bb.1662:
	s_wait_loadcnt 0x0
	global_load_b32 v7, v[8:9], off
	s_wait_loadcnt 0x0
	v_cvt_f32_f16_e32 v19, v7
	v_cmp_o_f16_e32 vcc_lo, v7, v7
	s_delay_alu instid0(VALU_DEP_2) | instskip(NEXT) | instid1(VALU_DEP_1)
	v_bfe_u32 v20, v19, 16, 1
	v_add3_u32 v19, v19, v20, 0x7fff
	s_delay_alu instid0(VALU_DEP_1) | instskip(NEXT) | instid1(VALU_DEP_1)
	v_lshrrev_b32_e32 v19, 16, v19
	v_cndmask_b32_e32 v7, 0x7fc0, v19, vcc_lo
.LBB35_1663:
	s_mov_b32 s0, 0
.LBB35_1664:
	s_delay_alu instid0(SALU_CYCLE_1)
	s_and_not1_b32 vcc_lo, exec_lo, s0
	s_cbranch_vccnz .LBB35_1675
; %bb.1665:
	s_cmp_lt_i32 s11, 6
	s_cbranch_scc1 .LBB35_1668
; %bb.1666:
	s_cmp_gt_i32 s11, 6
	s_cbranch_scc0 .LBB35_1669
; %bb.1667:
	global_load_b64 v[20:21], v[8:9], off
	s_mov_b32 s0, 0
	s_wait_loadcnt 0x0
	v_cvt_f32_f64_e32 v7, v[20:21]
	s_delay_alu instid0(VALU_DEP_1) | instskip(SKIP_1) | instid1(VALU_DEP_2)
	v_bfe_u32 v19, v7, 16, 1
	v_cmp_o_f32_e32 vcc_lo, v7, v7
	v_add3_u32 v19, v7, v19, 0x7fff
	s_delay_alu instid0(VALU_DEP_1) | instskip(NEXT) | instid1(VALU_DEP_1)
	v_lshrrev_b32_e32 v19, 16, v19
	v_cndmask_b32_e32 v7, 0x7fc0, v19, vcc_lo
	s_branch .LBB35_1670
.LBB35_1668:
	s_mov_b32 s0, -1
                                        ; implicit-def: $vgpr7
	s_branch .LBB35_1673
.LBB35_1669:
	s_mov_b32 s0, -1
                                        ; implicit-def: $vgpr7
.LBB35_1670:
	s_delay_alu instid0(SALU_CYCLE_1)
	s_and_not1_b32 vcc_lo, exec_lo, s0
	s_cbranch_vccnz .LBB35_1672
; %bb.1671:
	s_wait_loadcnt 0x0
	global_load_b32 v7, v[8:9], off
	s_wait_loadcnt 0x0
	v_bfe_u32 v19, v7, 16, 1
	v_cmp_o_f32_e32 vcc_lo, v7, v7
	s_delay_alu instid0(VALU_DEP_2) | instskip(NEXT) | instid1(VALU_DEP_1)
	v_add3_u32 v19, v7, v19, 0x7fff
	v_lshrrev_b32_e32 v19, 16, v19
	s_delay_alu instid0(VALU_DEP_1)
	v_cndmask_b32_e32 v7, 0x7fc0, v19, vcc_lo
.LBB35_1672:
	s_mov_b32 s0, 0
.LBB35_1673:
	s_delay_alu instid0(SALU_CYCLE_1)
	s_and_not1_b32 vcc_lo, exec_lo, s0
	s_cbranch_vccnz .LBB35_1675
; %bb.1674:
	s_wait_loadcnt 0x0
	global_load_u16 v7, v[8:9], off
	s_wait_loadcnt 0x0
	v_cvt_f32_f16_e32 v19, v7
	v_cmp_o_f16_e32 vcc_lo, v7, v7
	s_delay_alu instid0(VALU_DEP_2) | instskip(NEXT) | instid1(VALU_DEP_1)
	v_bfe_u32 v20, v19, 16, 1
	v_add3_u32 v19, v19, v20, 0x7fff
	s_delay_alu instid0(VALU_DEP_1) | instskip(NEXT) | instid1(VALU_DEP_1)
	v_lshrrev_b32_e32 v19, 16, v19
	v_cndmask_b32_e32 v7, 0x7fc0, v19, vcc_lo
.LBB35_1675:
	s_mov_b32 s0, 0
.LBB35_1676:
	s_delay_alu instid0(SALU_CYCLE_1)
	s_and_not1_b32 vcc_lo, exec_lo, s0
	s_cbranch_vccnz .LBB35_1696
; %bb.1677:
	s_cmp_lt_i32 s11, 2
	s_cbranch_scc1 .LBB35_1681
; %bb.1678:
	s_cmp_lt_i32 s11, 3
	s_cbranch_scc1 .LBB35_1682
; %bb.1679:
	s_cmp_gt_i32 s11, 3
	s_cbranch_scc0 .LBB35_1683
; %bb.1680:
	global_load_b64 v[20:21], v[8:9], off
	s_mov_b32 s0, 0
	s_wait_loadcnt 0x0
	v_xor_b32_e32 v7, v20, v21
	v_cls_i32_e32 v19, v21
	s_delay_alu instid0(VALU_DEP_2) | instskip(NEXT) | instid1(VALU_DEP_1)
	v_ashrrev_i32_e32 v7, 31, v7
	v_add_nc_u32_e32 v7, 32, v7
	s_delay_alu instid0(VALU_DEP_1) | instskip(NEXT) | instid1(VALU_DEP_1)
	v_add_min_u32_e64 v7, v19, -1, v7
	v_lshlrev_b64_e32 v[20:21], v7, v[20:21]
	v_sub_nc_u32_e32 v7, 32, v7
	s_delay_alu instid0(VALU_DEP_2) | instskip(NEXT) | instid1(VALU_DEP_1)
	v_min_u32_e32 v19, 1, v20
	v_or_b32_e32 v19, v21, v19
	s_delay_alu instid0(VALU_DEP_1) | instskip(NEXT) | instid1(VALU_DEP_1)
	v_cvt_f32_i32_e32 v19, v19
	v_ldexp_f32 v7, v19, v7
	s_delay_alu instid0(VALU_DEP_1) | instskip(NEXT) | instid1(VALU_DEP_1)
	v_bfe_u32 v19, v7, 16, 1
	v_add3_u32 v7, v7, v19, 0x7fff
	s_delay_alu instid0(VALU_DEP_1)
	v_lshrrev_b32_e32 v7, 16, v7
	s_branch .LBB35_1684
.LBB35_1681:
	s_mov_b32 s0, -1
                                        ; implicit-def: $vgpr7
	s_branch .LBB35_1690
.LBB35_1682:
	s_mov_b32 s0, -1
                                        ; implicit-def: $vgpr7
	s_branch .LBB35_1687
.LBB35_1683:
	s_mov_b32 s0, -1
                                        ; implicit-def: $vgpr7
.LBB35_1684:
	s_delay_alu instid0(SALU_CYCLE_1)
	s_and_not1_b32 vcc_lo, exec_lo, s0
	s_cbranch_vccnz .LBB35_1686
; %bb.1685:
	s_wait_loadcnt 0x0
	global_load_b32 v7, v[8:9], off
	s_wait_loadcnt 0x0
	v_cvt_f32_i32_e32 v7, v7
	s_delay_alu instid0(VALU_DEP_1) | instskip(NEXT) | instid1(VALU_DEP_1)
	v_bfe_u32 v19, v7, 16, 1
	v_add3_u32 v7, v7, v19, 0x7fff
	s_delay_alu instid0(VALU_DEP_1)
	v_lshrrev_b32_e32 v7, 16, v7
.LBB35_1686:
	s_mov_b32 s0, 0
.LBB35_1687:
	s_delay_alu instid0(SALU_CYCLE_1)
	s_and_not1_b32 vcc_lo, exec_lo, s0
	s_cbranch_vccnz .LBB35_1689
; %bb.1688:
	s_wait_loadcnt 0x0
	global_load_i16 v7, v[8:9], off
	s_wait_loadcnt 0x0
	v_cvt_f32_i32_e32 v7, v7
	s_delay_alu instid0(VALU_DEP_1) | instskip(NEXT) | instid1(VALU_DEP_1)
	v_bfe_u32 v19, v7, 16, 1
	v_add3_u32 v7, v7, v19, 0x7fff
	s_delay_alu instid0(VALU_DEP_1)
	v_lshrrev_b32_e32 v7, 16, v7
.LBB35_1689:
	s_mov_b32 s0, 0
.LBB35_1690:
	s_delay_alu instid0(SALU_CYCLE_1)
	s_and_not1_b32 vcc_lo, exec_lo, s0
	s_cbranch_vccnz .LBB35_1696
; %bb.1691:
	s_cmp_gt_i32 s11, 0
	s_mov_b32 s0, 0
	s_cbranch_scc0 .LBB35_1693
; %bb.1692:
	s_wait_loadcnt 0x0
	global_load_i8 v7, v[8:9], off
	s_wait_loadcnt 0x0
	v_cvt_f32_i32_e32 v7, v7
	s_delay_alu instid0(VALU_DEP_1) | instskip(NEXT) | instid1(VALU_DEP_1)
	v_bfe_u32 v19, v7, 16, 1
	v_add3_u32 v7, v7, v19, 0x7fff
	s_delay_alu instid0(VALU_DEP_1)
	v_lshrrev_b32_e32 v7, 16, v7
	s_branch .LBB35_1694
.LBB35_1693:
	s_mov_b32 s0, -1
                                        ; implicit-def: $vgpr7
.LBB35_1694:
	s_delay_alu instid0(SALU_CYCLE_1)
	s_and_not1_b32 vcc_lo, exec_lo, s0
	s_cbranch_vccnz .LBB35_1696
; %bb.1695:
	s_wait_loadcnt 0x0
	global_load_u8 v7, v[8:9], off
	s_wait_loadcnt 0x0
	v_cvt_f32_ubyte0_e32 v7, v7
	s_wait_xcnt 0x0
	s_delay_alu instid0(VALU_DEP_1) | instskip(NEXT) | instid1(VALU_DEP_1)
	v_bfe_u32 v8, v7, 16, 1
	v_add3_u32 v7, v7, v8, 0x7fff
	s_delay_alu instid0(VALU_DEP_1)
	v_lshrrev_b32_e32 v7, 16, v7
.LBB35_1696:
	s_mov_b32 s6, -1
.LBB35_1697:
	s_delay_alu instid0(SALU_CYCLE_1)
	s_and_not1_b32 vcc_lo, exec_lo, s6
	s_cbranch_vccnz .LBB35_2132
; %bb.1698:
	s_wait_loadcnt 0x0
	v_lshlrev_b32_e32 v8, 16, v7
                                        ; implicit-def: $vgpr20
                                        ; implicit-def: $vgpr19
	s_mov_b32 s1, exec_lo
	s_delay_alu instid0(VALU_DEP_1)
	v_and_b32_e32 v9, 0x7fffffff, v8
	v_cmpx_ngt_f32_e64 0x48000000, |v8|
	s_xor_b32 s6, exec_lo, s1
	s_cbranch_execz .LBB35_1700
; %bb.1699:
	s_mov_b32 s0, 0x7fffff
	v_mov_b32_e32 v21, 0
	v_and_or_b32 v20, v9, s0, 0x800000
	s_mov_b64 s[0:1], 0xfe5163ab
	v_lshrrev_b32_e32 v7, 23, v9
	s_delay_alu instid0(VALU_DEP_2) | instskip(NEXT) | instid1(VALU_DEP_1)
	v_mul_u64_e32 v[22:23], s[0:1], v[20:21]
	v_dual_mov_b32 v24, v23 :: v_dual_mov_b32 v25, v21
	v_dual_mov_b32 v27, v21 :: v_dual_mov_b32 v29, v21
	v_dual_mov_b32 v31, v21 :: v_dual_mov_b32 v35, v21
	s_delay_alu instid0(VALU_DEP_3) | instskip(NEXT) | instid1(VALU_DEP_1)
	v_mad_nc_u64_u32 v[24:25], 0x3c439041, v20, v[24:25]
	v_mov_b32_e32 v26, v25
	s_delay_alu instid0(VALU_DEP_1) | instskip(NEXT) | instid1(VALU_DEP_1)
	v_mad_nc_u64_u32 v[26:27], 0xdb629599, v20, v[26:27]
	v_mov_b32_e32 v28, v27
	s_delay_alu instid0(VALU_DEP_1) | instskip(NEXT) | instid1(VALU_DEP_1)
	;; [unrolled: 3-line block ×3, first 2 shown]
	v_mad_nc_u64_u32 v[30:31], 0xfc2757d1, v20, v[30:31]
	v_dual_mov_b32 v33, v21 :: v_dual_mov_b32 v32, v31
	s_delay_alu instid0(VALU_DEP_1) | instskip(NEXT) | instid1(VALU_DEP_1)
	v_mad_nc_u64_u32 v[32:33], 0x4e441529, v20, v[32:33]
	v_dual_mov_b32 v34, v33 :: v_dual_add_nc_u32 v7, 0xffffff88, v7
	s_delay_alu instid0(VALU_DEP_1) | instskip(NEXT) | instid1(VALU_DEP_2)
	v_cmp_lt_u32_e32 vcc_lo, 63, v7
	v_mad_nc_u64_u32 v[20:21], 0xa2f9836e, v20, v[34:35]
	v_cndmask_b32_e64 v19, 0, 0xffffffc0, vcc_lo
	v_dual_cndmask_b32 v23, v32, v28 :: v_dual_cndmask_b32 v22, v26, v22
	s_delay_alu instid0(VALU_DEP_2) | instskip(NEXT) | instid1(VALU_DEP_1)
	v_add_nc_u32_e32 v7, v19, v7
	v_cmp_lt_u32_e64 s0, 31, v7
	v_dual_cndmask_b32 v20, v20, v30 :: v_dual_cndmask_b32 v21, v21, v32
	s_delay_alu instid0(VALU_DEP_2) | instskip(NEXT) | instid1(VALU_DEP_1)
	v_cndmask_b32_e64 v19, 0, 0xffffffe0, s0
	v_add_nc_u32_e32 v7, v19, v7
	s_delay_alu instid0(VALU_DEP_1) | instskip(NEXT) | instid1(VALU_DEP_1)
	v_cmp_lt_u32_e64 s1, 31, v7
	v_cndmask_b32_e64 v19, 0, 0xffffffe0, s1
	s_delay_alu instid0(VALU_DEP_1) | instskip(SKIP_2) | instid1(VALU_DEP_3)
	v_dual_cndmask_b32 v25, v30, v26, vcc_lo :: v_dual_add_nc_u32 v7, v19, v7
	v_cndmask_b32_e32 v19, v28, v24, vcc_lo
	v_dual_cndmask_b32 v24, v20, v23, s0 :: v_dual_cndmask_b32 v20, v21, v20, s0
	v_dual_cndmask_b32 v21, v23, v25, s0 :: v_dual_sub_nc_u32 v23, 32, v7
	s_delay_alu instid0(VALU_DEP_3) | instskip(SKIP_1) | instid1(VALU_DEP_4)
	v_cndmask_b32_e64 v25, v25, v19, s0
	v_cmp_eq_u32_e32 vcc_lo, 0, v7
	v_cndmask_b32_e64 v20, v20, v24, s1
	s_delay_alu instid0(VALU_DEP_4) | instskip(NEXT) | instid1(VALU_DEP_4)
	v_cndmask_b32_e64 v24, v24, v21, s1
	v_cndmask_b32_e64 v21, v21, v25, s1
	s_delay_alu instid0(VALU_DEP_2) | instskip(NEXT) | instid1(VALU_DEP_2)
	v_alignbit_b32 v27, v20, v24, v23
	v_alignbit_b32 v26, v24, v21, v23
	v_cndmask_b32_e64 v19, v19, v22, s0
	s_delay_alu instid0(VALU_DEP_3) | instskip(NEXT) | instid1(VALU_DEP_2)
	v_cndmask_b32_e32 v7, v27, v20, vcc_lo
	v_dual_cndmask_b32 v20, v26, v24, vcc_lo :: v_dual_cndmask_b32 v19, v25, v19, s1
	s_delay_alu instid0(VALU_DEP_2) | instskip(NEXT) | instid1(VALU_DEP_2)
	v_bfe_u32 v22, v7, 29, 1
	v_alignbit_b32 v24, v7, v20, 30
	s_delay_alu instid0(VALU_DEP_3) | instskip(NEXT) | instid1(VALU_DEP_1)
	v_alignbit_b32 v23, v21, v19, v23
	v_dual_sub_nc_u32 v25, 0, v22 :: v_dual_cndmask_b32 v21, v23, v21, vcc_lo
	s_delay_alu instid0(VALU_DEP_1) | instskip(NEXT) | instid1(VALU_DEP_2)
	v_xor_b32_e32 v24, v24, v25
	v_alignbit_b32 v20, v20, v21, 30
	v_alignbit_b32 v19, v21, v19, 30
	s_delay_alu instid0(VALU_DEP_3) | instskip(NEXT) | instid1(VALU_DEP_3)
	v_clz_i32_u32_e32 v23, v24
	v_xor_b32_e32 v20, v20, v25
	s_delay_alu instid0(VALU_DEP_3) | instskip(NEXT) | instid1(VALU_DEP_3)
	v_xor_b32_e32 v19, v19, v25
	v_min_u32_e32 v23, 32, v23
	v_lshrrev_b32_e32 v25, 29, v7
	s_delay_alu instid0(VALU_DEP_2) | instskip(NEXT) | instid1(VALU_DEP_1)
	v_dual_sub_nc_u32 v21, 31, v23 :: v_dual_lshlrev_b32 v26, 23, v23
	v_alignbit_b32 v24, v24, v20, v21
	v_alignbit_b32 v19, v20, v19, v21
	s_delay_alu instid0(VALU_DEP_4) | instskip(NEXT) | instid1(VALU_DEP_2)
	v_lshlrev_b32_e32 v20, 31, v25
	v_alignbit_b32 v21, v24, v19, 9
	s_delay_alu instid0(VALU_DEP_2) | instskip(SKIP_2) | instid1(VALU_DEP_4)
	v_or_b32_e32 v25, 0.5, v20
	v_lshrrev_b32_e32 v24, 9, v24
	v_or_b32_e32 v20, 0x33000000, v20
	v_clz_i32_u32_e32 v27, v21
	s_delay_alu instid0(VALU_DEP_4) | instskip(NEXT) | instid1(VALU_DEP_2)
	v_sub_nc_u32_e32 v25, v25, v26
	v_min_u32_e32 v26, 32, v27
	s_delay_alu instid0(VALU_DEP_2) | instskip(NEXT) | instid1(VALU_DEP_2)
	v_or_b32_e32 v24, v24, v25
	v_not_b32_e32 v25, v26
	v_add_lshl_u32 v23, v26, v23, 23
	s_delay_alu instid0(VALU_DEP_2) | instskip(NEXT) | instid1(VALU_DEP_2)
	v_alignbit_b32 v19, v21, v19, v25
	v_sub_nc_u32_e32 v20, v20, v23
	s_delay_alu instid0(VALU_DEP_2) | instskip(SKIP_2) | instid1(VALU_DEP_3)
	v_lshrrev_b32_e32 v19, 9, v19
	v_mul_f32_e32 v27, 0x3fc90fda, v24
	v_lshrrev_b32_e32 v7, 30, v7
	v_or_b32_e32 v19, v20, v19
	s_delay_alu instid0(VALU_DEP_3) | instskip(NEXT) | instid1(VALU_DEP_1)
	v_fma_f32 v21, 0x3fc90fda, v24, -v27
	v_dual_fmamk_f32 v21, v24, 0x33a22168, v21 :: v_dual_add_nc_u32 v20, v22, v7
	s_delay_alu instid0(VALU_DEP_1) | instskip(NEXT) | instid1(VALU_DEP_1)
	v_fmac_f32_e32 v21, 0x3fc90fda, v19
	v_add_f32_e32 v19, v27, v21
.LBB35_1700:
	s_and_not1_saveexec_b32 s0, s6
; %bb.1701:
	v_mul_f32_e64 v7, 0x3f22f983, |v8|
	s_delay_alu instid0(VALU_DEP_1) | instskip(NEXT) | instid1(VALU_DEP_1)
	v_rndne_f32_e32 v7, v7
	v_fma_f32 v19, 0xbfc90fda, v7, |v8|
	v_cvt_i32_f32_e32 v20, v7
	s_delay_alu instid0(VALU_DEP_2) | instskip(NEXT) | instid1(VALU_DEP_1)
	v_fmamk_f32 v19, v7, 0xb3a22168, v19
	v_fmamk_f32 v19, v7, 0xa7c234c4, v19
; %bb.1702:
	s_or_b32 exec_lo, exec_lo, s0
	v_dual_mov_b32 v7, 0 :: v_dual_mul_f32 v22, v5, v5
	s_mov_b32 s0, 0xb94c1982
	s_mov_b32 s6, 0
	global_load_u8 v21, v7, s[2:3] offset:345
	v_fmaak_f32 v23, s0, v22, 0x3c0881c4
	s_mov_b32 s0, 0x37d75334
	s_wait_xcnt 0x0
	v_add_nc_u64_e32 v[6:7], s[4:5], v[6:7]
	s_delay_alu instid0(VALU_DEP_2) | instskip(NEXT) | instid1(VALU_DEP_1)
	v_fmaak_f32 v23, v22, v23, 0xbe2aaa9d
	v_dual_fmaak_f32 v24, s0, v22, 0xbab64f3b :: v_dual_mul_f32 v23, v22, v23
	s_delay_alu instid0(VALU_DEP_1) | instskip(SKIP_1) | instid1(VALU_DEP_1)
	v_dual_fmaak_f32 v24, v22, v24, 0x3d2aabf7 :: v_dual_fmac_f32 v5, v5, v23
	v_dual_lshlrev_b32 v14, 30, v14 :: v_dual_bitop2_b32 v23, 1, v14 bitop3:0x40
	v_cmp_eq_u32_e32 vcc_lo, 0, v23
	s_delay_alu instid0(VALU_DEP_3) | instskip(NEXT) | instid1(VALU_DEP_3)
	v_fmaak_f32 v24, v22, v24, 0xbf000004
	v_bitop3_b32 v3, v3, v14, 0x80000000 bitop3:0x78
	s_delay_alu instid0(VALU_DEP_2) | instskip(NEXT) | instid1(VALU_DEP_1)
	v_fma_f32 v22, v22, v24, 1.0
	v_cndmask_b32_e32 v5, v22, v5, vcc_lo
	v_cmp_class_f32_e64 vcc_lo, v1, 0x1f8
	s_delay_alu instid0(VALU_DEP_2) | instskip(NEXT) | instid1(VALU_DEP_1)
	v_xor3_b32 v3, v3, v5, v1
	v_cndmask_b32_e32 v1, 0x7fc00000, v3, vcc_lo
	s_delay_alu instid0(VALU_DEP_1) | instskip(SKIP_1) | instid1(VALU_DEP_2)
	v_bfe_u32 v3, v1, 16, 1
	v_cmp_o_f32_e64 s0, v1, v1
	v_add3_u32 v3, v1, v3, 0x7fff
	s_delay_alu instid0(VALU_DEP_1) | instskip(NEXT) | instid1(VALU_DEP_1)
	v_lshrrev_b32_e32 v3, 16, v3
	v_cndmask_b32_e64 v1, 0x7fc0, v3, s0
	s_mov_b32 s0, -1
	s_wait_loadcnt 0x0
	v_and_b32_e32 v5, 0xffff, v21
	v_readfirstlane_b32 s1, v21
	s_delay_alu instid0(VALU_DEP_2)
	v_cmp_gt_i32_e32 vcc_lo, 11, v5
	s_cbranch_vccnz .LBB35_1781
; %bb.1703:
	s_and_b32 s2, 0xffff, s1
	s_mov_b32 s7, -1
	s_mov_b32 s3, 0
	s_cmp_gt_i32 s2, 25
	s_mov_b32 s0, 0
	s_cbranch_scc0 .LBB35_1736
; %bb.1704:
	s_cmp_gt_i32 s2, 28
	s_cbranch_scc0 .LBB35_1719
; %bb.1705:
	s_cmp_gt_i32 s2, 43
	;; [unrolled: 3-line block ×3, first 2 shown]
	s_cbranch_scc0 .LBB35_1709
; %bb.1707:
	s_mov_b32 s0, -1
	s_mov_b32 s7, 0
	s_cmp_eq_u32 s2, 46
	s_cbranch_scc0 .LBB35_1709
; %bb.1708:
	v_and_b32_e32 v3, 0xffff, v1
	s_mov_b32 s0, 0
	s_mov_b32 s6, -1
	global_store_b32 v[6:7], v3, off
.LBB35_1709:
	s_and_b32 vcc_lo, exec_lo, s7
	s_cbranch_vccz .LBB35_1714
; %bb.1710:
	s_cmp_eq_u32 s2, 44
	s_mov_b32 s0, -1
	s_cbranch_scc0 .LBB35_1714
; %bb.1711:
	s_wait_xcnt 0x0
	v_and_b32_e32 v3, 0xffff, v1
	v_mov_b32_e32 v5, 0xff
	s_mov_b32 s6, exec_lo
	s_delay_alu instid0(VALU_DEP_2) | instskip(NEXT) | instid1(VALU_DEP_1)
	v_bfe_u32 v14, v3, 7, 8
	v_cmpx_ne_u32_e32 0xff, v14
	s_cbranch_execz .LBB35_1713
; %bb.1712:
	v_dual_lshlrev_b32 v5, 16, v3 :: v_dual_bitop2_b32 v21, 64, v3 bitop3:0x40
	v_lshrrev_b32_e32 v3, 7, v3
	s_delay_alu instid0(VALU_DEP_2) | instskip(NEXT) | instid1(VALU_DEP_3)
	v_and_or_b32 v5, 0x3f0000, v5, v14
	v_cmp_ne_u32_e32 vcc_lo, 0, v21
	s_delay_alu instid0(VALU_DEP_2) | instskip(SKIP_1) | instid1(SALU_CYCLE_1)
	v_cmp_ne_u32_e64 s0, 0, v5
	s_and_b32 s0, vcc_lo, s0
	v_cndmask_b32_e64 v5, 0, 1, s0
	s_delay_alu instid0(VALU_DEP_1)
	v_add_nc_u32_e32 v5, v3, v5
.LBB35_1713:
	s_or_b32 exec_lo, exec_lo, s6
	s_mov_b32 s0, 0
	s_mov_b32 s6, -1
	global_store_b8 v[6:7], v5, off
.LBB35_1714:
	s_mov_b32 s7, 0
.LBB35_1715:
	s_delay_alu instid0(SALU_CYCLE_1)
	s_and_b32 vcc_lo, exec_lo, s7
	s_cbranch_vccz .LBB35_1718
; %bb.1716:
	s_cmp_eq_u32 s2, 29
	s_mov_b32 s0, -1
	s_cbranch_scc0 .LBB35_1718
; %bb.1717:
	s_wait_xcnt 0x0
	v_lshlrev_b32_e32 v3, 16, v1
	s_mov_b32 s0, 0
	s_mov_b32 s6, -1
	s_delay_alu instid0(VALU_DEP_1) | instskip(NEXT) | instid1(VALU_DEP_1)
	v_trunc_f32_e32 v3, v3
	v_mul_f32_e32 v5, 0x2f800000, v3
	s_delay_alu instid0(VALU_DEP_1) | instskip(NEXT) | instid1(VALU_DEP_1)
	v_floor_f32_e32 v5, v5
	v_fmamk_f32 v3, v5, 0xcf800000, v3
	v_cvt_u32_f32_e32 v23, v5
	s_delay_alu instid0(VALU_DEP_2)
	v_cvt_u32_f32_e32 v22, v3
	global_store_b64 v[6:7], v[22:23], off
.LBB35_1718:
	s_mov_b32 s7, 0
.LBB35_1719:
	s_delay_alu instid0(SALU_CYCLE_1)
	s_and_b32 vcc_lo, exec_lo, s7
	s_cbranch_vccz .LBB35_1735
; %bb.1720:
	s_cmp_lt_i32 s2, 27
	s_mov_b32 s6, -1
	s_cbranch_scc1 .LBB35_1726
; %bb.1721:
	s_cmp_gt_i32 s2, 27
	s_cbranch_scc0 .LBB35_1723
; %bb.1722:
	s_wait_xcnt 0x0
	v_lshlrev_b32_e32 v3, 16, v1
	s_mov_b32 s6, 0
	s_delay_alu instid0(VALU_DEP_1)
	v_cvt_u32_f32_e32 v3, v3
	global_store_b32 v[6:7], v3, off
.LBB35_1723:
	s_and_not1_b32 vcc_lo, exec_lo, s6
	s_cbranch_vccnz .LBB35_1725
; %bb.1724:
	s_wait_xcnt 0x0
	v_lshlrev_b32_e32 v3, 16, v1
	s_delay_alu instid0(VALU_DEP_1)
	v_cvt_u32_f32_e32 v3, v3
	global_store_b16 v[6:7], v3, off
.LBB35_1725:
	s_mov_b32 s6, 0
.LBB35_1726:
	s_delay_alu instid0(SALU_CYCLE_1)
	s_and_not1_b32 vcc_lo, exec_lo, s6
	s_cbranch_vccnz .LBB35_1734
; %bb.1727:
	v_dual_mov_b32 v21, 0x80 :: v_dual_lshlrev_b32 v14, 16, v1
	s_mov_b32 s6, exec_lo
	s_wait_xcnt 0x0
	s_delay_alu instid0(VALU_DEP_1) | instskip(NEXT) | instid1(VALU_DEP_1)
	v_and_b32_e32 v5, 0x7fffffff, v14
	v_cmpx_gt_u32_e32 0x43800000, v5
	s_cbranch_execz .LBB35_1733
; %bb.1728:
	v_and_b32_e32 v3, 0xffff, v1
	v_cmp_lt_u32_e32 vcc_lo, 0x3bffffff, v5
	s_mov_b32 s7, 0
                                        ; implicit-def: $vgpr5
	s_and_saveexec_b32 s11, vcc_lo
	s_delay_alu instid0(SALU_CYCLE_1)
	s_xor_b32 s11, exec_lo, s11
	s_cbranch_execz .LBB35_2178
; %bb.1729:
	v_bfe_u32 v5, v3, 4, 1
	s_mov_b32 s7, exec_lo
	s_delay_alu instid0(VALU_DEP_1) | instskip(NEXT) | instid1(VALU_DEP_1)
	v_add3_u32 v5, v14, v5, 0x487ffff
                                        ; implicit-def: $vgpr14
	v_lshrrev_b32_e32 v5, 20, v5
	s_and_not1_saveexec_b32 s11, s11
	s_cbranch_execnz .LBB35_2179
.LBB35_1730:
	s_or_b32 exec_lo, exec_lo, s11
	v_mov_b32_e32 v21, 0
	s_and_saveexec_b32 s11, s7
.LBB35_1731:
	v_lshrrev_b32_e32 v3, 8, v3
	s_delay_alu instid0(VALU_DEP_1)
	v_and_or_b32 v21, 0x80, v3, v5
.LBB35_1732:
	s_or_b32 exec_lo, exec_lo, s11
.LBB35_1733:
	s_delay_alu instid0(SALU_CYCLE_1)
	s_or_b32 exec_lo, exec_lo, s6
	global_store_b8 v[6:7], v21, off
.LBB35_1734:
	s_mov_b32 s6, -1
.LBB35_1735:
	s_mov_b32 s7, 0
.LBB35_1736:
	s_delay_alu instid0(SALU_CYCLE_1)
	s_and_b32 vcc_lo, exec_lo, s7
	s_cbranch_vccz .LBB35_1776
; %bb.1737:
	s_cmp_gt_i32 s2, 22
	s_mov_b32 s3, -1
	s_cbranch_scc0 .LBB35_1769
; %bb.1738:
	s_cmp_lt_i32 s2, 24
	s_cbranch_scc1 .LBB35_1758
; %bb.1739:
	s_cmp_gt_i32 s2, 24
	s_cbranch_scc0 .LBB35_1747
; %bb.1740:
	s_wait_xcnt 0x0
	v_dual_mov_b32 v21, 0x80 :: v_dual_lshlrev_b32 v14, 16, v1
	s_mov_b32 s3, exec_lo
	s_delay_alu instid0(VALU_DEP_1) | instskip(NEXT) | instid1(VALU_DEP_1)
	v_and_b32_e32 v5, 0x7fffffff, v14
	v_cmpx_gt_u32_e32 0x47800000, v5
	s_cbranch_execz .LBB35_1746
; %bb.1741:
	v_and_b32_e32 v3, 0xffff, v1
	v_cmp_lt_u32_e32 vcc_lo, 0x37ffffff, v5
	s_mov_b32 s6, 0
                                        ; implicit-def: $vgpr5
	s_and_saveexec_b32 s7, vcc_lo
	s_delay_alu instid0(SALU_CYCLE_1)
	s_xor_b32 s7, exec_lo, s7
	s_cbranch_execz .LBB35_2181
; %bb.1742:
	v_bfe_u32 v5, v3, 5, 1
	s_mov_b32 s6, exec_lo
	s_delay_alu instid0(VALU_DEP_1) | instskip(NEXT) | instid1(VALU_DEP_1)
	v_add3_u32 v5, v14, v5, 0x88fffff
                                        ; implicit-def: $vgpr14
	v_lshrrev_b32_e32 v5, 21, v5
	s_and_not1_saveexec_b32 s7, s7
	s_cbranch_execnz .LBB35_2182
.LBB35_1743:
	s_or_b32 exec_lo, exec_lo, s7
	v_mov_b32_e32 v21, 0
	s_and_saveexec_b32 s7, s6
.LBB35_1744:
	v_lshrrev_b32_e32 v3, 8, v3
	s_delay_alu instid0(VALU_DEP_1)
	v_and_or_b32 v21, 0x80, v3, v5
.LBB35_1745:
	s_or_b32 exec_lo, exec_lo, s7
.LBB35_1746:
	s_delay_alu instid0(SALU_CYCLE_1)
	s_or_b32 exec_lo, exec_lo, s3
	s_mov_b32 s3, 0
	global_store_b8 v[6:7], v21, off
.LBB35_1747:
	s_and_b32 vcc_lo, exec_lo, s3
	s_cbranch_vccz .LBB35_1757
; %bb.1748:
	v_lshlrev_b32_e32 v14, 16, v1
	s_wait_xcnt 0x0
	v_and_b32_e32 v3, 0xffff, v1
	s_mov_b32 s3, exec_lo
                                        ; implicit-def: $vgpr5
	s_delay_alu instid0(VALU_DEP_2) | instskip(NEXT) | instid1(VALU_DEP_1)
	v_and_b32_e32 v21, 0x7fffffff, v14
	v_cmpx_gt_u32_e32 0x43f00000, v21
	s_xor_b32 s3, exec_lo, s3
	s_cbranch_execz .LBB35_1754
; %bb.1749:
	s_mov_b32 s6, exec_lo
                                        ; implicit-def: $vgpr5
	v_cmpx_lt_u32_e32 0x3c7fffff, v21
	s_xor_b32 s6, exec_lo, s6
; %bb.1750:
	v_bfe_u32 v5, v3, 4, 1
	s_delay_alu instid0(VALU_DEP_1) | instskip(NEXT) | instid1(VALU_DEP_1)
	v_add3_u32 v5, v14, v5, 0x407ffff
	v_and_b32_e32 v14, 0xff00000, v5
	v_lshrrev_b32_e32 v5, 20, v5
	s_delay_alu instid0(VALU_DEP_2) | instskip(NEXT) | instid1(VALU_DEP_2)
	v_cmp_ne_u32_e32 vcc_lo, 0x7f00000, v14
                                        ; implicit-def: $vgpr14
	v_cndmask_b32_e32 v5, 0x7e, v5, vcc_lo
; %bb.1751:
	s_and_not1_saveexec_b32 s6, s6
; %bb.1752:
	v_add_f32_e64 v5, 0x46800000, |v14|
; %bb.1753:
	s_or_b32 exec_lo, exec_lo, s6
                                        ; implicit-def: $vgpr21
.LBB35_1754:
	s_and_not1_saveexec_b32 s3, s3
; %bb.1755:
	v_mov_b32_e32 v5, 0x7f
	v_cmp_lt_u32_e32 vcc_lo, 0x7f800000, v21
	s_delay_alu instid0(VALU_DEP_2)
	v_cndmask_b32_e32 v5, 0x7e, v5, vcc_lo
; %bb.1756:
	s_or_b32 exec_lo, exec_lo, s3
	v_lshrrev_b32_e32 v3, 8, v3
	s_delay_alu instid0(VALU_DEP_1)
	v_and_or_b32 v3, 0x80, v3, v5
	global_store_b8 v[6:7], v3, off
.LBB35_1757:
	s_mov_b32 s3, 0
.LBB35_1758:
	s_delay_alu instid0(SALU_CYCLE_1)
	s_and_not1_b32 vcc_lo, exec_lo, s3
	s_cbranch_vccnz .LBB35_1768
; %bb.1759:
	v_lshlrev_b32_e32 v14, 16, v1
	s_wait_xcnt 0x0
	v_and_b32_e32 v3, 0xffff, v1
	s_mov_b32 s3, exec_lo
                                        ; implicit-def: $vgpr5
	s_delay_alu instid0(VALU_DEP_2) | instskip(NEXT) | instid1(VALU_DEP_1)
	v_and_b32_e32 v21, 0x7fffffff, v14
	v_cmpx_gt_u32_e32 0x47800000, v21
	s_xor_b32 s3, exec_lo, s3
	s_cbranch_execz .LBB35_1765
; %bb.1760:
	s_mov_b32 s6, exec_lo
                                        ; implicit-def: $vgpr5
	v_cmpx_lt_u32_e32 0x387fffff, v21
	s_xor_b32 s6, exec_lo, s6
; %bb.1761:
	v_bfe_u32 v5, v3, 5, 1
	s_delay_alu instid0(VALU_DEP_1) | instskip(NEXT) | instid1(VALU_DEP_1)
	v_add3_u32 v5, v14, v5, 0x80fffff
                                        ; implicit-def: $vgpr14
	v_lshrrev_b32_e32 v5, 21, v5
; %bb.1762:
	s_and_not1_saveexec_b32 s6, s6
; %bb.1763:
	v_add_f32_e64 v5, 0x43000000, |v14|
; %bb.1764:
	s_or_b32 exec_lo, exec_lo, s6
                                        ; implicit-def: $vgpr21
.LBB35_1765:
	s_and_not1_saveexec_b32 s3, s3
; %bb.1766:
	v_mov_b32_e32 v5, 0x7f
	v_cmp_lt_u32_e32 vcc_lo, 0x7f800000, v21
	s_delay_alu instid0(VALU_DEP_2)
	v_cndmask_b32_e32 v5, 0x7c, v5, vcc_lo
; %bb.1767:
	s_or_b32 exec_lo, exec_lo, s3
	v_lshrrev_b32_e32 v3, 8, v3
	s_delay_alu instid0(VALU_DEP_1)
	v_and_or_b32 v3, 0x80, v3, v5
	global_store_b8 v[6:7], v3, off
.LBB35_1768:
	s_mov_b32 s3, 0
	s_mov_b32 s6, -1
.LBB35_1769:
	s_and_not1_b32 vcc_lo, exec_lo, s3
	s_mov_b32 s3, 0
	s_cbranch_vccnz .LBB35_1776
; %bb.1770:
	s_cmp_gt_i32 s2, 14
	s_mov_b32 s3, -1
	s_cbranch_scc0 .LBB35_1774
; %bb.1771:
	s_cmp_eq_u32 s2, 15
	s_mov_b32 s0, -1
	s_cbranch_scc0 .LBB35_1773
; %bb.1772:
	s_mov_b32 s0, 0
	s_mov_b32 s6, -1
	global_store_b16 v[6:7], v1, off
.LBB35_1773:
	s_mov_b32 s3, 0
.LBB35_1774:
	s_delay_alu instid0(SALU_CYCLE_1)
	s_and_b32 vcc_lo, exec_lo, s3
	s_mov_b32 s3, 0
	s_cbranch_vccz .LBB35_1776
; %bb.1775:
	s_cmp_lg_u32 s2, 11
	s_mov_b32 s3, -1
	s_cselect_b32 s0, -1, 0
.LBB35_1776:
	s_delay_alu instid0(SALU_CYCLE_1)
	s_and_b32 vcc_lo, exec_lo, s0
	s_cbranch_vccnz .LBB35_2180
; %bb.1777:
	s_and_not1_b32 vcc_lo, exec_lo, s3
	s_cbranch_vccnz .LBB35_1779
.LBB35_1778:
	s_wait_xcnt 0x0
	v_and_b32_e32 v3, 0x7fff, v1
	s_mov_b32 s6, -1
	s_delay_alu instid0(VALU_DEP_1)
	v_cmp_ne_u16_e32 vcc_lo, 0, v3
	v_cndmask_b32_e64 v3, 0, 1, vcc_lo
	global_store_b8 v[6:7], v3, off
.LBB35_1779:
.LBB35_1780:
	s_and_not1_b32 vcc_lo, exec_lo, s6
	s_cbranch_vccz .LBB35_1820
	s_branch .LBB35_2132
.LBB35_1781:
	s_and_b32 vcc_lo, exec_lo, s0
	s_cbranch_vccz .LBB35_1780
; %bb.1782:
	s_and_b32 s0, 0xffff, s1
	s_mov_b32 s2, -1
	s_cmp_lt_i32 s0, 5
	s_cbranch_scc1 .LBB35_1803
; %bb.1783:
	s_cmp_lt_i32 s0, 8
	s_cbranch_scc1 .LBB35_1793
; %bb.1784:
	;; [unrolled: 3-line block ×3, first 2 shown]
	s_cmp_gt_i32 s0, 9
	s_cbranch_scc0 .LBB35_1787
; %bb.1786:
	s_wait_xcnt 0x0
	v_dual_mov_b32 v24, 0 :: v_dual_lshlrev_b32 v3, 16, v1
	s_mov_b32 s2, 0
	s_delay_alu instid0(VALU_DEP_1) | instskip(NEXT) | instid1(VALU_DEP_2)
	v_cvt_f64_f32_e32 v[22:23], v3
	v_mov_b32_e32 v25, v24
	global_store_b128 v[6:7], v[22:25], off
.LBB35_1787:
	s_and_not1_b32 vcc_lo, exec_lo, s2
	s_cbranch_vccnz .LBB35_1789
; %bb.1788:
	s_wait_xcnt 0x0
	v_dual_mov_b32 v23, 0 :: v_dual_lshlrev_b32 v22, 16, v1
	global_store_b64 v[6:7], v[22:23], off
.LBB35_1789:
	s_mov_b32 s2, 0
.LBB35_1790:
	s_delay_alu instid0(SALU_CYCLE_1)
	s_and_not1_b32 vcc_lo, exec_lo, s2
	s_cbranch_vccnz .LBB35_1792
; %bb.1791:
	s_wait_xcnt 0x0
	v_lshlrev_b32_e32 v3, 16, v1
	s_delay_alu instid0(VALU_DEP_1) | instskip(NEXT) | instid1(VALU_DEP_1)
	v_cvt_f16_f32_e32 v3, v3
	v_and_b32_e32 v3, 0xffff, v3
	global_store_b32 v[6:7], v3, off
.LBB35_1792:
	s_mov_b32 s2, 0
.LBB35_1793:
	s_delay_alu instid0(SALU_CYCLE_1)
	s_and_not1_b32 vcc_lo, exec_lo, s2
	s_cbranch_vccnz .LBB35_1802
; %bb.1794:
	s_cmp_lt_i32 s0, 6
	s_mov_b32 s2, -1
	s_cbranch_scc1 .LBB35_1800
; %bb.1795:
	s_cmp_gt_i32 s0, 6
	s_cbranch_scc0 .LBB35_1797
; %bb.1796:
	s_wait_xcnt 0x0
	v_lshlrev_b32_e32 v3, 16, v1
	s_mov_b32 s2, 0
	s_delay_alu instid0(VALU_DEP_1)
	v_cvt_f64_f32_e32 v[22:23], v3
	global_store_b64 v[6:7], v[22:23], off
.LBB35_1797:
	s_and_not1_b32 vcc_lo, exec_lo, s2
	s_cbranch_vccnz .LBB35_1799
; %bb.1798:
	s_wait_xcnt 0x0
	v_lshlrev_b32_e32 v3, 16, v1
	global_store_b32 v[6:7], v3, off
.LBB35_1799:
	s_mov_b32 s2, 0
.LBB35_1800:
	s_delay_alu instid0(SALU_CYCLE_1)
	s_and_not1_b32 vcc_lo, exec_lo, s2
	s_cbranch_vccnz .LBB35_1802
; %bb.1801:
	s_wait_xcnt 0x0
	v_lshlrev_b32_e32 v3, 16, v1
	s_delay_alu instid0(VALU_DEP_1)
	v_cvt_f16_f32_e32 v3, v3
	global_store_b16 v[6:7], v3, off
.LBB35_1802:
	s_mov_b32 s2, 0
.LBB35_1803:
	s_delay_alu instid0(SALU_CYCLE_1)
	s_and_not1_b32 vcc_lo, exec_lo, s2
	s_cbranch_vccnz .LBB35_1819
; %bb.1804:
	s_cmp_lt_i32 s0, 2
	s_mov_b32 s2, -1
	s_cbranch_scc1 .LBB35_1814
; %bb.1805:
	s_cmp_lt_i32 s0, 3
	s_cbranch_scc1 .LBB35_1811
; %bb.1806:
	s_cmp_gt_i32 s0, 3
	s_cbranch_scc0 .LBB35_1808
; %bb.1807:
	s_wait_xcnt 0x0
	v_lshlrev_b32_e32 v3, 16, v1
	s_mov_b32 s2, 0
	s_delay_alu instid0(VALU_DEP_1) | instskip(NEXT) | instid1(VALU_DEP_1)
	v_trunc_f32_e32 v3, v3
	v_mul_f32_e64 v5, 0x2f800000, |v3|
	v_ashrrev_i32_e32 v22, 31, v3
	s_delay_alu instid0(VALU_DEP_2) | instskip(NEXT) | instid1(VALU_DEP_2)
	v_floor_f32_e32 v5, v5
	v_mov_b32_e32 v23, v22
	s_delay_alu instid0(VALU_DEP_2) | instskip(SKIP_1) | instid1(VALU_DEP_2)
	v_fma_f32 v14, 0xcf800000, v5, |v3|
	v_cvt_u32_f32_e32 v3, v5
	v_cvt_u32_f32_e32 v5, v14
	s_delay_alu instid0(VALU_DEP_2) | instskip(NEXT) | instid1(VALU_DEP_2)
	v_xor_b32_e32 v25, v3, v22
	v_xor_b32_e32 v24, v5, v22
	s_delay_alu instid0(VALU_DEP_1)
	v_sub_nc_u64_e32 v[22:23], v[24:25], v[22:23]
	global_store_b64 v[6:7], v[22:23], off
.LBB35_1808:
	s_and_not1_b32 vcc_lo, exec_lo, s2
	s_cbranch_vccnz .LBB35_1810
; %bb.1809:
	s_wait_xcnt 0x0
	v_lshlrev_b32_e32 v3, 16, v1
	s_delay_alu instid0(VALU_DEP_1)
	v_cvt_i32_f32_e32 v3, v3
	global_store_b32 v[6:7], v3, off
.LBB35_1810:
	s_mov_b32 s2, 0
.LBB35_1811:
	s_delay_alu instid0(SALU_CYCLE_1)
	s_and_not1_b32 vcc_lo, exec_lo, s2
	s_cbranch_vccnz .LBB35_1813
; %bb.1812:
	s_wait_xcnt 0x0
	v_lshlrev_b32_e32 v3, 16, v1
	s_delay_alu instid0(VALU_DEP_1)
	v_cvt_i32_f32_e32 v3, v3
	global_store_b16 v[6:7], v3, off
.LBB35_1813:
	s_mov_b32 s2, 0
.LBB35_1814:
	s_delay_alu instid0(SALU_CYCLE_1)
	s_and_not1_b32 vcc_lo, exec_lo, s2
	s_cbranch_vccnz .LBB35_1819
; %bb.1815:
	s_wait_xcnt 0x0
	v_lshlrev_b32_e32 v1, 16, v1
	s_cmp_gt_i32 s0, 0
	s_mov_b32 s0, -1
	s_cbranch_scc0 .LBB35_1817
; %bb.1816:
	s_delay_alu instid0(VALU_DEP_1)
	v_cvt_i32_f32_e32 v3, v1
	s_mov_b32 s0, 0
	global_store_b8 v[6:7], v3, off
.LBB35_1817:
	s_and_not1_b32 vcc_lo, exec_lo, s0
	s_cbranch_vccnz .LBB35_1819
; %bb.1818:
	v_trunc_f32_e32 v1, v1
	s_wait_xcnt 0x0
	s_delay_alu instid0(VALU_DEP_1) | instskip(NEXT) | instid1(VALU_DEP_1)
	v_mul_f32_e64 v3, 0x2f800000, |v1|
	v_floor_f32_e32 v3, v3
	s_delay_alu instid0(VALU_DEP_1) | instskip(SKIP_1) | instid1(VALU_DEP_2)
	v_fma_f32 v3, 0xcf800000, v3, |v1|
	v_ashrrev_i32_e32 v1, 31, v1
	v_cvt_u32_f32_e32 v3, v3
	s_delay_alu instid0(VALU_DEP_1) | instskip(NEXT) | instid1(VALU_DEP_1)
	v_xor_b32_e32 v3, v3, v1
	v_sub_nc_u32_e32 v1, v3, v1
	global_store_b8 v[6:7], v1, off
.LBB35_1819:
.LBB35_1820:
	s_wait_xcnt 0x0
	v_dual_mul_f32 v1, v15, v15 :: v_dual_bitop2_b32 v6, 1, v16 bitop3:0x40
	s_mov_b32 s0, 0xb94c1982
	s_mov_b32 s2, 0x37d75334
	;; [unrolled: 1-line block ×3, first 2 shown]
	s_delay_alu instid0(VALU_DEP_1)
	v_fmaak_f32 v3, s0, v1, 0x3c0881c4
	v_fmaak_f32 v5, s2, v1, 0xbab64f3b
	v_cmp_eq_u32_e32 vcc_lo, 0, v6
	s_and_b32 s2, 0xffff, s1
	s_mov_b32 s0, -1
	v_fmaak_f32 v3, v1, v3, 0xbe2aaa9d
	v_fmaak_f32 v5, v1, v5, 0x3d2aabf7
	s_cmp_lt_i32 s2, 11
	s_delay_alu instid0(VALU_DEP_2) | instskip(NEXT) | instid1(VALU_DEP_2)
	v_dual_lshlrev_b32 v7, 30, v16 :: v_dual_mul_f32 v3, v1, v3
	v_fmaak_f32 v5, v1, v5, 0xbf000004
	s_delay_alu instid0(VALU_DEP_2) | instskip(NEXT) | instid1(VALU_DEP_2)
	v_fmac_f32_e32 v15, v15, v3
	v_fma_f32 v1, v1, v5, 1.0
	s_delay_alu instid0(VALU_DEP_4) | instskip(NEXT) | instid1(VALU_DEP_2)
	v_bitop3_b32 v3, v13, v7, 0x80000000 bitop3:0x78
	v_dual_mov_b32 v5, 0 :: v_dual_cndmask_b32 v1, v1, v15, vcc_lo
	v_cmp_class_f32_e64 vcc_lo, v12, 0x1f8
	s_delay_alu instid0(VALU_DEP_2) | instskip(NEXT) | instid1(VALU_DEP_3)
	v_add_nc_u64_e32 v[4:5], s[4:5], v[4:5]
	v_xor3_b32 v1, v3, v1, v12
	s_delay_alu instid0(VALU_DEP_1) | instskip(NEXT) | instid1(VALU_DEP_1)
	v_cndmask_b32_e32 v1, 0x7fc00000, v1, vcc_lo
	v_bfe_u32 v3, v1, 16, 1
	v_cmp_o_f32_e32 vcc_lo, v1, v1
	s_delay_alu instid0(VALU_DEP_2) | instskip(NEXT) | instid1(VALU_DEP_1)
	v_add3_u32 v3, v1, v3, 0x7fff
	v_lshrrev_b32_e32 v3, 16, v3
	s_delay_alu instid0(VALU_DEP_1)
	v_cndmask_b32_e32 v1, 0x7fc0, v3, vcc_lo
	s_cbranch_scc1 .LBB35_1899
; %bb.1821:
	s_mov_b32 s7, -1
	s_mov_b32 s3, 0
	s_cmp_gt_i32 s2, 25
	s_mov_b32 s0, 0
	s_cbranch_scc0 .LBB35_1854
; %bb.1822:
	s_cmp_gt_i32 s2, 28
	s_cbranch_scc0 .LBB35_1837
; %bb.1823:
	s_cmp_gt_i32 s2, 43
	;; [unrolled: 3-line block ×3, first 2 shown]
	s_cbranch_scc0 .LBB35_1827
; %bb.1825:
	s_mov_b32 s0, -1
	s_mov_b32 s7, 0
	s_cmp_eq_u32 s2, 46
	s_cbranch_scc0 .LBB35_1827
; %bb.1826:
	v_and_b32_e32 v3, 0xffff, v1
	s_mov_b32 s0, 0
	s_mov_b32 s6, -1
	global_store_b32 v[4:5], v3, off
.LBB35_1827:
	s_and_b32 vcc_lo, exec_lo, s7
	s_cbranch_vccz .LBB35_1832
; %bb.1828:
	s_cmp_eq_u32 s2, 44
	s_mov_b32 s0, -1
	s_cbranch_scc0 .LBB35_1832
; %bb.1829:
	s_wait_xcnt 0x0
	v_and_b32_e32 v3, 0xffff, v1
	v_mov_b32_e32 v6, 0xff
	s_mov_b32 s6, exec_lo
	s_delay_alu instid0(VALU_DEP_2) | instskip(NEXT) | instid1(VALU_DEP_1)
	v_bfe_u32 v7, v3, 7, 8
	v_cmpx_ne_u32_e32 0xff, v7
	s_cbranch_execz .LBB35_1831
; %bb.1830:
	v_dual_lshlrev_b32 v6, 16, v3 :: v_dual_bitop2_b32 v12, 64, v3 bitop3:0x40
	v_lshrrev_b32_e32 v3, 7, v3
	s_delay_alu instid0(VALU_DEP_2) | instskip(NEXT) | instid1(VALU_DEP_3)
	v_and_or_b32 v6, 0x3f0000, v6, v7
	v_cmp_ne_u32_e32 vcc_lo, 0, v12
	s_delay_alu instid0(VALU_DEP_2) | instskip(SKIP_1) | instid1(SALU_CYCLE_1)
	v_cmp_ne_u32_e64 s0, 0, v6
	s_and_b32 s0, vcc_lo, s0
	v_cndmask_b32_e64 v6, 0, 1, s0
	s_delay_alu instid0(VALU_DEP_1)
	v_add_nc_u32_e32 v6, v3, v6
.LBB35_1831:
	s_or_b32 exec_lo, exec_lo, s6
	s_mov_b32 s0, 0
	s_mov_b32 s6, -1
	global_store_b8 v[4:5], v6, off
.LBB35_1832:
	s_mov_b32 s7, 0
.LBB35_1833:
	s_delay_alu instid0(SALU_CYCLE_1)
	s_and_b32 vcc_lo, exec_lo, s7
	s_cbranch_vccz .LBB35_1836
; %bb.1834:
	s_cmp_eq_u32 s2, 29
	s_mov_b32 s0, -1
	s_cbranch_scc0 .LBB35_1836
; %bb.1835:
	s_wait_xcnt 0x0
	v_lshlrev_b32_e32 v3, 16, v1
	s_mov_b32 s0, 0
	s_mov_b32 s6, -1
	s_delay_alu instid0(VALU_DEP_1) | instskip(NEXT) | instid1(VALU_DEP_1)
	v_trunc_f32_e32 v3, v3
	v_mul_f32_e32 v6, 0x2f800000, v3
	s_delay_alu instid0(VALU_DEP_1) | instskip(NEXT) | instid1(VALU_DEP_1)
	v_floor_f32_e32 v6, v6
	v_fmamk_f32 v3, v6, 0xcf800000, v3
	v_cvt_u32_f32_e32 v7, v6
	s_delay_alu instid0(VALU_DEP_2)
	v_cvt_u32_f32_e32 v6, v3
	global_store_b64 v[4:5], v[6:7], off
.LBB35_1836:
	s_mov_b32 s7, 0
.LBB35_1837:
	s_delay_alu instid0(SALU_CYCLE_1)
	s_and_b32 vcc_lo, exec_lo, s7
	s_cbranch_vccz .LBB35_1853
; %bb.1838:
	s_cmp_lt_i32 s2, 27
	s_mov_b32 s6, -1
	s_cbranch_scc1 .LBB35_1844
; %bb.1839:
	s_cmp_gt_i32 s2, 27
	s_cbranch_scc0 .LBB35_1841
; %bb.1840:
	s_wait_xcnt 0x0
	v_lshlrev_b32_e32 v3, 16, v1
	s_mov_b32 s6, 0
	s_delay_alu instid0(VALU_DEP_1)
	v_cvt_u32_f32_e32 v3, v3
	global_store_b32 v[4:5], v3, off
.LBB35_1841:
	s_and_not1_b32 vcc_lo, exec_lo, s6
	s_cbranch_vccnz .LBB35_1843
; %bb.1842:
	s_wait_xcnt 0x0
	v_lshlrev_b32_e32 v3, 16, v1
	s_delay_alu instid0(VALU_DEP_1)
	v_cvt_u32_f32_e32 v3, v3
	global_store_b16 v[4:5], v3, off
.LBB35_1843:
	s_mov_b32 s6, 0
.LBB35_1844:
	s_delay_alu instid0(SALU_CYCLE_1)
	s_and_not1_b32 vcc_lo, exec_lo, s6
	s_cbranch_vccnz .LBB35_1852
; %bb.1845:
	s_wait_xcnt 0x0
	v_dual_mov_b32 v12, 0x80 :: v_dual_lshlrev_b32 v7, 16, v1
	s_mov_b32 s6, exec_lo
	s_delay_alu instid0(VALU_DEP_1) | instskip(NEXT) | instid1(VALU_DEP_1)
	v_and_b32_e32 v6, 0x7fffffff, v7
	v_cmpx_gt_u32_e32 0x43800000, v6
	s_cbranch_execz .LBB35_1851
; %bb.1846:
	v_and_b32_e32 v3, 0xffff, v1
	v_cmp_lt_u32_e32 vcc_lo, 0x3bffffff, v6
	s_mov_b32 s7, 0
                                        ; implicit-def: $vgpr6
	s_and_saveexec_b32 s11, vcc_lo
	s_delay_alu instid0(SALU_CYCLE_1)
	s_xor_b32 s11, exec_lo, s11
	s_cbranch_execz .LBB35_2183
; %bb.1847:
	v_bfe_u32 v6, v3, 4, 1
	s_mov_b32 s7, exec_lo
	s_delay_alu instid0(VALU_DEP_1) | instskip(NEXT) | instid1(VALU_DEP_1)
	v_add3_u32 v6, v7, v6, 0x487ffff
                                        ; implicit-def: $vgpr7
	v_lshrrev_b32_e32 v6, 20, v6
	s_and_not1_saveexec_b32 s11, s11
	s_cbranch_execnz .LBB35_2184
.LBB35_1848:
	s_or_b32 exec_lo, exec_lo, s11
	v_mov_b32_e32 v12, 0
	s_and_saveexec_b32 s11, s7
.LBB35_1849:
	v_lshrrev_b32_e32 v3, 8, v3
	s_delay_alu instid0(VALU_DEP_1)
	v_and_or_b32 v12, 0x80, v3, v6
.LBB35_1850:
	s_or_b32 exec_lo, exec_lo, s11
.LBB35_1851:
	s_delay_alu instid0(SALU_CYCLE_1)
	s_or_b32 exec_lo, exec_lo, s6
	global_store_b8 v[4:5], v12, off
.LBB35_1852:
	s_mov_b32 s6, -1
.LBB35_1853:
	s_mov_b32 s7, 0
.LBB35_1854:
	s_delay_alu instid0(SALU_CYCLE_1)
	s_and_b32 vcc_lo, exec_lo, s7
	s_cbranch_vccz .LBB35_1894
; %bb.1855:
	s_cmp_gt_i32 s2, 22
	s_mov_b32 s3, -1
	s_cbranch_scc0 .LBB35_1887
; %bb.1856:
	s_cmp_lt_i32 s2, 24
	s_cbranch_scc1 .LBB35_1876
; %bb.1857:
	s_cmp_gt_i32 s2, 24
	s_cbranch_scc0 .LBB35_1865
; %bb.1858:
	s_wait_xcnt 0x0
	v_dual_mov_b32 v12, 0x80 :: v_dual_lshlrev_b32 v7, 16, v1
	s_mov_b32 s3, exec_lo
	s_delay_alu instid0(VALU_DEP_1) | instskip(NEXT) | instid1(VALU_DEP_1)
	v_and_b32_e32 v6, 0x7fffffff, v7
	v_cmpx_gt_u32_e32 0x47800000, v6
	s_cbranch_execz .LBB35_1864
; %bb.1859:
	v_and_b32_e32 v3, 0xffff, v1
	v_cmp_lt_u32_e32 vcc_lo, 0x37ffffff, v6
	s_mov_b32 s6, 0
                                        ; implicit-def: $vgpr6
	s_and_saveexec_b32 s7, vcc_lo
	s_delay_alu instid0(SALU_CYCLE_1)
	s_xor_b32 s7, exec_lo, s7
	s_cbranch_execz .LBB35_2186
; %bb.1860:
	v_bfe_u32 v6, v3, 5, 1
	s_mov_b32 s6, exec_lo
	s_delay_alu instid0(VALU_DEP_1) | instskip(NEXT) | instid1(VALU_DEP_1)
	v_add3_u32 v6, v7, v6, 0x88fffff
                                        ; implicit-def: $vgpr7
	v_lshrrev_b32_e32 v6, 21, v6
	s_and_not1_saveexec_b32 s7, s7
	s_cbranch_execnz .LBB35_2187
.LBB35_1861:
	s_or_b32 exec_lo, exec_lo, s7
	v_mov_b32_e32 v12, 0
	s_and_saveexec_b32 s7, s6
.LBB35_1862:
	v_lshrrev_b32_e32 v3, 8, v3
	s_delay_alu instid0(VALU_DEP_1)
	v_and_or_b32 v12, 0x80, v3, v6
.LBB35_1863:
	s_or_b32 exec_lo, exec_lo, s7
.LBB35_1864:
	s_delay_alu instid0(SALU_CYCLE_1)
	s_or_b32 exec_lo, exec_lo, s3
	s_mov_b32 s3, 0
	global_store_b8 v[4:5], v12, off
.LBB35_1865:
	s_and_b32 vcc_lo, exec_lo, s3
	s_cbranch_vccz .LBB35_1875
; %bb.1866:
	s_wait_xcnt 0x0
	v_lshlrev_b32_e32 v7, 16, v1
	v_and_b32_e32 v3, 0xffff, v1
	s_mov_b32 s3, exec_lo
                                        ; implicit-def: $vgpr6
	s_delay_alu instid0(VALU_DEP_2) | instskip(NEXT) | instid1(VALU_DEP_1)
	v_and_b32_e32 v12, 0x7fffffff, v7
	v_cmpx_gt_u32_e32 0x43f00000, v12
	s_xor_b32 s3, exec_lo, s3
	s_cbranch_execz .LBB35_1872
; %bb.1867:
	s_mov_b32 s6, exec_lo
                                        ; implicit-def: $vgpr6
	v_cmpx_lt_u32_e32 0x3c7fffff, v12
	s_xor_b32 s6, exec_lo, s6
; %bb.1868:
	v_bfe_u32 v6, v3, 4, 1
	s_delay_alu instid0(VALU_DEP_1) | instskip(NEXT) | instid1(VALU_DEP_1)
	v_add3_u32 v6, v7, v6, 0x407ffff
	v_and_b32_e32 v7, 0xff00000, v6
	v_lshrrev_b32_e32 v6, 20, v6
	s_delay_alu instid0(VALU_DEP_2) | instskip(NEXT) | instid1(VALU_DEP_2)
	v_cmp_ne_u32_e32 vcc_lo, 0x7f00000, v7
                                        ; implicit-def: $vgpr7
	v_cndmask_b32_e32 v6, 0x7e, v6, vcc_lo
; %bb.1869:
	s_and_not1_saveexec_b32 s6, s6
; %bb.1870:
	v_add_f32_e64 v6, 0x46800000, |v7|
; %bb.1871:
	s_or_b32 exec_lo, exec_lo, s6
                                        ; implicit-def: $vgpr12
.LBB35_1872:
	s_and_not1_saveexec_b32 s3, s3
; %bb.1873:
	v_mov_b32_e32 v6, 0x7f
	v_cmp_lt_u32_e32 vcc_lo, 0x7f800000, v12
	s_delay_alu instid0(VALU_DEP_2)
	v_cndmask_b32_e32 v6, 0x7e, v6, vcc_lo
; %bb.1874:
	s_or_b32 exec_lo, exec_lo, s3
	v_lshrrev_b32_e32 v3, 8, v3
	s_delay_alu instid0(VALU_DEP_1)
	v_and_or_b32 v3, 0x80, v3, v6
	global_store_b8 v[4:5], v3, off
.LBB35_1875:
	s_mov_b32 s3, 0
.LBB35_1876:
	s_delay_alu instid0(SALU_CYCLE_1)
	s_and_not1_b32 vcc_lo, exec_lo, s3
	s_cbranch_vccnz .LBB35_1886
; %bb.1877:
	s_wait_xcnt 0x0
	v_lshlrev_b32_e32 v7, 16, v1
	v_and_b32_e32 v3, 0xffff, v1
	s_mov_b32 s3, exec_lo
                                        ; implicit-def: $vgpr6
	s_delay_alu instid0(VALU_DEP_2) | instskip(NEXT) | instid1(VALU_DEP_1)
	v_and_b32_e32 v12, 0x7fffffff, v7
	v_cmpx_gt_u32_e32 0x47800000, v12
	s_xor_b32 s3, exec_lo, s3
	s_cbranch_execz .LBB35_1883
; %bb.1878:
	s_mov_b32 s6, exec_lo
                                        ; implicit-def: $vgpr6
	v_cmpx_lt_u32_e32 0x387fffff, v12
	s_xor_b32 s6, exec_lo, s6
; %bb.1879:
	v_bfe_u32 v6, v3, 5, 1
	s_delay_alu instid0(VALU_DEP_1) | instskip(NEXT) | instid1(VALU_DEP_1)
	v_add3_u32 v6, v7, v6, 0x80fffff
                                        ; implicit-def: $vgpr7
	v_lshrrev_b32_e32 v6, 21, v6
; %bb.1880:
	s_and_not1_saveexec_b32 s6, s6
; %bb.1881:
	v_add_f32_e64 v6, 0x43000000, |v7|
; %bb.1882:
	s_or_b32 exec_lo, exec_lo, s6
                                        ; implicit-def: $vgpr12
.LBB35_1883:
	s_and_not1_saveexec_b32 s3, s3
; %bb.1884:
	v_mov_b32_e32 v6, 0x7f
	v_cmp_lt_u32_e32 vcc_lo, 0x7f800000, v12
	s_delay_alu instid0(VALU_DEP_2)
	v_cndmask_b32_e32 v6, 0x7c, v6, vcc_lo
; %bb.1885:
	s_or_b32 exec_lo, exec_lo, s3
	v_lshrrev_b32_e32 v3, 8, v3
	s_delay_alu instid0(VALU_DEP_1)
	v_and_or_b32 v3, 0x80, v3, v6
	global_store_b8 v[4:5], v3, off
.LBB35_1886:
	s_mov_b32 s3, 0
	s_mov_b32 s6, -1
.LBB35_1887:
	s_and_not1_b32 vcc_lo, exec_lo, s3
	s_mov_b32 s3, 0
	s_cbranch_vccnz .LBB35_1894
; %bb.1888:
	s_cmp_gt_i32 s2, 14
	s_mov_b32 s3, -1
	s_cbranch_scc0 .LBB35_1892
; %bb.1889:
	s_cmp_eq_u32 s2, 15
	s_mov_b32 s0, -1
	s_cbranch_scc0 .LBB35_1891
; %bb.1890:
	s_mov_b32 s0, 0
	s_mov_b32 s6, -1
	global_store_b16 v[4:5], v1, off
.LBB35_1891:
	s_mov_b32 s3, 0
.LBB35_1892:
	s_delay_alu instid0(SALU_CYCLE_1)
	s_and_b32 vcc_lo, exec_lo, s3
	s_mov_b32 s3, 0
	s_cbranch_vccz .LBB35_1894
; %bb.1893:
	s_cmp_lg_u32 s2, 11
	s_mov_b32 s3, -1
	s_cselect_b32 s0, -1, 0
.LBB35_1894:
	s_delay_alu instid0(SALU_CYCLE_1)
	s_and_b32 vcc_lo, exec_lo, s0
	s_cbranch_vccnz .LBB35_2185
; %bb.1895:
	s_and_not1_b32 vcc_lo, exec_lo, s3
	s_cbranch_vccnz .LBB35_1897
.LBB35_1896:
	s_wait_xcnt 0x0
	v_and_b32_e32 v3, 0x7fff, v1
	s_mov_b32 s6, -1
	s_delay_alu instid0(VALU_DEP_1)
	v_cmp_ne_u16_e32 vcc_lo, 0, v3
	v_cndmask_b32_e64 v3, 0, 1, vcc_lo
	global_store_b8 v[4:5], v3, off
.LBB35_1897:
.LBB35_1898:
	s_and_not1_b32 vcc_lo, exec_lo, s6
	s_cbranch_vccz .LBB35_1938
	s_branch .LBB35_2132
.LBB35_1899:
	s_and_b32 vcc_lo, exec_lo, s0
	s_cbranch_vccz .LBB35_1898
; %bb.1900:
	s_cmp_lt_i32 s2, 5
	s_mov_b32 s0, -1
	s_cbranch_scc1 .LBB35_1921
; %bb.1901:
	s_cmp_lt_i32 s2, 8
	s_cbranch_scc1 .LBB35_1911
; %bb.1902:
	s_cmp_lt_i32 s2, 9
	s_cbranch_scc1 .LBB35_1908
; %bb.1903:
	s_cmp_gt_i32 s2, 9
	s_cbranch_scc0 .LBB35_1905
; %bb.1904:
	s_wait_xcnt 0x0
	v_dual_mov_b32 v14, 0 :: v_dual_lshlrev_b32 v3, 16, v1
	s_mov_b32 s0, 0
	s_delay_alu instid0(VALU_DEP_1) | instskip(NEXT) | instid1(VALU_DEP_2)
	v_cvt_f64_f32_e32 v[12:13], v3
	v_mov_b32_e32 v15, v14
	global_store_b128 v[4:5], v[12:15], off
.LBB35_1905:
	s_and_not1_b32 vcc_lo, exec_lo, s0
	s_cbranch_vccnz .LBB35_1907
; %bb.1906:
	s_wait_xcnt 0x0
	v_dual_mov_b32 v7, 0 :: v_dual_lshlrev_b32 v6, 16, v1
	global_store_b64 v[4:5], v[6:7], off
.LBB35_1907:
	s_mov_b32 s0, 0
.LBB35_1908:
	s_delay_alu instid0(SALU_CYCLE_1)
	s_and_not1_b32 vcc_lo, exec_lo, s0
	s_cbranch_vccnz .LBB35_1910
; %bb.1909:
	s_wait_xcnt 0x0
	v_lshlrev_b32_e32 v3, 16, v1
	s_delay_alu instid0(VALU_DEP_1) | instskip(NEXT) | instid1(VALU_DEP_1)
	v_cvt_f16_f32_e32 v3, v3
	v_and_b32_e32 v3, 0xffff, v3
	global_store_b32 v[4:5], v3, off
.LBB35_1910:
	s_mov_b32 s0, 0
.LBB35_1911:
	s_delay_alu instid0(SALU_CYCLE_1)
	s_and_not1_b32 vcc_lo, exec_lo, s0
	s_cbranch_vccnz .LBB35_1920
; %bb.1912:
	s_cmp_lt_i32 s2, 6
	s_mov_b32 s0, -1
	s_cbranch_scc1 .LBB35_1918
; %bb.1913:
	s_cmp_gt_i32 s2, 6
	s_cbranch_scc0 .LBB35_1915
; %bb.1914:
	s_wait_xcnt 0x0
	v_lshlrev_b32_e32 v3, 16, v1
	s_mov_b32 s0, 0
	s_delay_alu instid0(VALU_DEP_1)
	v_cvt_f64_f32_e32 v[6:7], v3
	global_store_b64 v[4:5], v[6:7], off
.LBB35_1915:
	s_and_not1_b32 vcc_lo, exec_lo, s0
	s_cbranch_vccnz .LBB35_1917
; %bb.1916:
	s_wait_xcnt 0x0
	v_lshlrev_b32_e32 v3, 16, v1
	global_store_b32 v[4:5], v3, off
.LBB35_1917:
	s_mov_b32 s0, 0
.LBB35_1918:
	s_delay_alu instid0(SALU_CYCLE_1)
	s_and_not1_b32 vcc_lo, exec_lo, s0
	s_cbranch_vccnz .LBB35_1920
; %bb.1919:
	s_wait_xcnt 0x0
	v_lshlrev_b32_e32 v3, 16, v1
	s_delay_alu instid0(VALU_DEP_1)
	v_cvt_f16_f32_e32 v3, v3
	global_store_b16 v[4:5], v3, off
.LBB35_1920:
	s_mov_b32 s0, 0
.LBB35_1921:
	s_delay_alu instid0(SALU_CYCLE_1)
	s_and_not1_b32 vcc_lo, exec_lo, s0
	s_cbranch_vccnz .LBB35_1937
; %bb.1922:
	s_cmp_lt_i32 s2, 2
	s_mov_b32 s0, -1
	s_cbranch_scc1 .LBB35_1932
; %bb.1923:
	s_cmp_lt_i32 s2, 3
	s_cbranch_scc1 .LBB35_1929
; %bb.1924:
	s_cmp_gt_i32 s2, 3
	s_cbranch_scc0 .LBB35_1926
; %bb.1925:
	s_wait_xcnt 0x0
	v_lshlrev_b32_e32 v3, 16, v1
	s_mov_b32 s0, 0
	s_delay_alu instid0(VALU_DEP_1) | instskip(NEXT) | instid1(VALU_DEP_1)
	v_trunc_f32_e32 v3, v3
	v_mul_f32_e64 v6, 0x2f800000, |v3|
	s_delay_alu instid0(VALU_DEP_1) | instskip(SKIP_1) | instid1(VALU_DEP_2)
	v_floor_f32_e32 v7, v6
	v_ashrrev_i32_e32 v6, 31, v3
	v_fma_f32 v12, 0xcf800000, v7, |v3|
	v_cvt_u32_f32_e32 v3, v7
	s_delay_alu instid0(VALU_DEP_3) | instskip(NEXT) | instid1(VALU_DEP_3)
	v_mov_b32_e32 v7, v6
	v_cvt_u32_f32_e32 v12, v12
	s_delay_alu instid0(VALU_DEP_3) | instskip(NEXT) | instid1(VALU_DEP_2)
	v_xor_b32_e32 v13, v3, v6
	v_xor_b32_e32 v12, v12, v6
	s_delay_alu instid0(VALU_DEP_1)
	v_sub_nc_u64_e32 v[6:7], v[12:13], v[6:7]
	global_store_b64 v[4:5], v[6:7], off
.LBB35_1926:
	s_and_not1_b32 vcc_lo, exec_lo, s0
	s_cbranch_vccnz .LBB35_1928
; %bb.1927:
	s_wait_xcnt 0x0
	v_lshlrev_b32_e32 v3, 16, v1
	s_delay_alu instid0(VALU_DEP_1)
	v_cvt_i32_f32_e32 v3, v3
	global_store_b32 v[4:5], v3, off
.LBB35_1928:
	s_mov_b32 s0, 0
.LBB35_1929:
	s_delay_alu instid0(SALU_CYCLE_1)
	s_and_not1_b32 vcc_lo, exec_lo, s0
	s_cbranch_vccnz .LBB35_1931
; %bb.1930:
	s_wait_xcnt 0x0
	v_lshlrev_b32_e32 v3, 16, v1
	s_delay_alu instid0(VALU_DEP_1)
	v_cvt_i32_f32_e32 v3, v3
	global_store_b16 v[4:5], v3, off
.LBB35_1931:
	s_mov_b32 s0, 0
.LBB35_1932:
	s_delay_alu instid0(SALU_CYCLE_1)
	s_and_not1_b32 vcc_lo, exec_lo, s0
	s_cbranch_vccnz .LBB35_1937
; %bb.1933:
	s_wait_xcnt 0x0
	v_lshlrev_b32_e32 v1, 16, v1
	s_cmp_gt_i32 s2, 0
	s_mov_b32 s0, -1
	s_cbranch_scc0 .LBB35_1935
; %bb.1934:
	s_delay_alu instid0(VALU_DEP_1)
	v_cvt_i32_f32_e32 v3, v1
	s_mov_b32 s0, 0
	global_store_b8 v[4:5], v3, off
.LBB35_1935:
	s_and_not1_b32 vcc_lo, exec_lo, s0
	s_cbranch_vccnz .LBB35_1937
; %bb.1936:
	v_trunc_f32_e32 v1, v1
	s_wait_xcnt 0x0
	s_delay_alu instid0(VALU_DEP_1) | instskip(NEXT) | instid1(VALU_DEP_1)
	v_mul_f32_e64 v3, 0x2f800000, |v1|
	v_floor_f32_e32 v3, v3
	s_delay_alu instid0(VALU_DEP_1) | instskip(SKIP_1) | instid1(VALU_DEP_2)
	v_fma_f32 v3, 0xcf800000, v3, |v1|
	v_ashrrev_i32_e32 v1, 31, v1
	v_cvt_u32_f32_e32 v3, v3
	s_delay_alu instid0(VALU_DEP_1) | instskip(NEXT) | instid1(VALU_DEP_1)
	v_xor_b32_e32 v3, v3, v1
	v_sub_nc_u32_e32 v1, v3, v1
	global_store_b8 v[4:5], v1, off
.LBB35_1937:
.LBB35_1938:
	s_wait_xcnt 0x0
	v_dual_mul_f32 v1, v17, v17 :: v_dual_bitop2_b32 v5, 1, v18 bitop3:0x40
	s_mov_b32 s0, 0xb94c1982
	s_mov_b32 s3, 0x37d75334
	;; [unrolled: 1-line block ×3, first 2 shown]
	s_delay_alu instid0(VALU_DEP_1) | instskip(SKIP_3) | instid1(VALU_DEP_2)
	v_fmaak_f32 v3, s0, v1, 0x3c0881c4
	v_cmp_eq_u32_e32 vcc_lo, 0, v5
	s_cmp_lt_i32 s2, 11
	s_mov_b32 s0, -1
	v_fmaak_f32 v3, v1, v3, 0xbe2aaa9d
	s_delay_alu instid0(VALU_DEP_1) | instskip(NEXT) | instid1(VALU_DEP_1)
	v_dual_fmaak_f32 v4, s3, v1, 0xbab64f3b :: v_dual_mul_f32 v3, v1, v3
	v_fmaak_f32 v4, v1, v4, 0x3d2aabf7
	s_delay_alu instid0(VALU_DEP_2) | instskip(NEXT) | instid1(VALU_DEP_2)
	v_dual_fmac_f32 v17, v17, v3 :: v_dual_lshlrev_b32 v3, 30, v18
	v_fmaak_f32 v4, v1, v4, 0xbf000004
	s_delay_alu instid0(VALU_DEP_2) | instskip(NEXT) | instid1(VALU_DEP_2)
	v_bitop3_b32 v3, v11, v3, 0x80000000 bitop3:0x78
	v_fma_f32 v1, v1, v4, 1.0
	s_delay_alu instid0(VALU_DEP_1) | instskip(SKIP_1) | instid1(VALU_DEP_2)
	v_cndmask_b32_e32 v1, v1, v17, vcc_lo
	v_cmp_class_f32_e64 vcc_lo, v10, 0x1f8
	v_xor3_b32 v1, v3, v1, v10
	s_delay_alu instid0(VALU_DEP_1) | instskip(NEXT) | instid1(VALU_DEP_1)
	v_cndmask_b32_e32 v1, 0x7fc00000, v1, vcc_lo
	v_bfe_u32 v3, v1, 16, 1
	v_cmp_o_f32_e32 vcc_lo, v1, v1
	s_delay_alu instid0(VALU_DEP_2) | instskip(NEXT) | instid1(VALU_DEP_1)
	v_add3_u32 v4, v1, v3, 0x7fff
	v_dual_mov_b32 v3, 0 :: v_dual_lshrrev_b32 v4, 16, v4
	s_delay_alu instid0(VALU_DEP_1) | instskip(NEXT) | instid1(VALU_DEP_2)
	v_add_nc_u64_e32 v[2:3], s[4:5], v[2:3]
	v_cndmask_b32_e32 v1, 0x7fc0, v4, vcc_lo
	s_cbranch_scc1 .LBB35_2093
; %bb.1939:
	s_mov_b32 s7, -1
	s_mov_b32 s3, 0
	s_cmp_gt_i32 s2, 25
	s_mov_b32 s0, 0
	s_cbranch_scc0 .LBB35_1972
; %bb.1940:
	s_cmp_gt_i32 s2, 28
	s_cbranch_scc0 .LBB35_1955
; %bb.1941:
	s_cmp_gt_i32 s2, 43
	;; [unrolled: 3-line block ×3, first 2 shown]
	s_cbranch_scc0 .LBB35_1945
; %bb.1943:
	s_mov_b32 s0, -1
	s_mov_b32 s7, 0
	s_cmp_eq_u32 s2, 46
	s_cbranch_scc0 .LBB35_1945
; %bb.1944:
	v_and_b32_e32 v4, 0xffff, v1
	s_mov_b32 s0, 0
	s_mov_b32 s6, -1
	global_store_b32 v[2:3], v4, off
.LBB35_1945:
	s_and_b32 vcc_lo, exec_lo, s7
	s_cbranch_vccz .LBB35_1950
; %bb.1946:
	s_cmp_eq_u32 s2, 44
	s_mov_b32 s0, -1
	s_cbranch_scc0 .LBB35_1950
; %bb.1947:
	s_wait_xcnt 0x0
	v_and_b32_e32 v4, 0xffff, v1
	v_mov_b32_e32 v5, 0xff
	s_mov_b32 s6, exec_lo
	s_delay_alu instid0(VALU_DEP_2) | instskip(NEXT) | instid1(VALU_DEP_1)
	v_bfe_u32 v6, v4, 7, 8
	v_cmpx_ne_u32_e32 0xff, v6
	s_cbranch_execz .LBB35_1949
; %bb.1948:
	v_dual_lshlrev_b32 v5, 16, v4 :: v_dual_bitop2_b32 v7, 64, v4 bitop3:0x40
	v_lshrrev_b32_e32 v4, 7, v4
	s_delay_alu instid0(VALU_DEP_2) | instskip(NEXT) | instid1(VALU_DEP_3)
	v_and_or_b32 v5, 0x3f0000, v5, v6
	v_cmp_ne_u32_e32 vcc_lo, 0, v7
	s_delay_alu instid0(VALU_DEP_2) | instskip(SKIP_1) | instid1(SALU_CYCLE_1)
	v_cmp_ne_u32_e64 s0, 0, v5
	s_and_b32 s0, vcc_lo, s0
	v_cndmask_b32_e64 v5, 0, 1, s0
	s_delay_alu instid0(VALU_DEP_1)
	v_add_nc_u32_e32 v5, v4, v5
.LBB35_1949:
	s_or_b32 exec_lo, exec_lo, s6
	s_mov_b32 s0, 0
	s_mov_b32 s6, -1
	global_store_b8 v[2:3], v5, off
.LBB35_1950:
	s_mov_b32 s7, 0
.LBB35_1951:
	s_delay_alu instid0(SALU_CYCLE_1)
	s_and_b32 vcc_lo, exec_lo, s7
	s_cbranch_vccz .LBB35_1954
; %bb.1952:
	s_cmp_eq_u32 s2, 29
	s_mov_b32 s0, -1
	s_cbranch_scc0 .LBB35_1954
; %bb.1953:
	s_wait_xcnt 0x0
	v_lshlrev_b32_e32 v4, 16, v1
	s_mov_b32 s0, 0
	s_mov_b32 s6, -1
	s_delay_alu instid0(VALU_DEP_1) | instskip(NEXT) | instid1(VALU_DEP_1)
	v_trunc_f32_e32 v4, v4
	v_mul_f32_e32 v5, 0x2f800000, v4
	s_delay_alu instid0(VALU_DEP_1) | instskip(NEXT) | instid1(VALU_DEP_1)
	v_floor_f32_e32 v5, v5
	v_fmamk_f32 v4, v5, 0xcf800000, v4
	v_cvt_u32_f32_e32 v5, v5
	s_delay_alu instid0(VALU_DEP_2)
	v_cvt_u32_f32_e32 v4, v4
	global_store_b64 v[2:3], v[4:5], off
.LBB35_1954:
	s_mov_b32 s7, 0
.LBB35_1955:
	s_delay_alu instid0(SALU_CYCLE_1)
	s_and_b32 vcc_lo, exec_lo, s7
	s_cbranch_vccz .LBB35_1971
; %bb.1956:
	s_cmp_lt_i32 s2, 27
	s_mov_b32 s6, -1
	s_cbranch_scc1 .LBB35_1962
; %bb.1957:
	s_cmp_gt_i32 s2, 27
	s_cbranch_scc0 .LBB35_1959
; %bb.1958:
	s_wait_xcnt 0x0
	v_lshlrev_b32_e32 v4, 16, v1
	s_mov_b32 s6, 0
	s_delay_alu instid0(VALU_DEP_1)
	v_cvt_u32_f32_e32 v4, v4
	global_store_b32 v[2:3], v4, off
.LBB35_1959:
	s_and_not1_b32 vcc_lo, exec_lo, s6
	s_cbranch_vccnz .LBB35_1961
; %bb.1960:
	s_wait_xcnt 0x0
	v_lshlrev_b32_e32 v4, 16, v1
	s_delay_alu instid0(VALU_DEP_1)
	v_cvt_u32_f32_e32 v4, v4
	global_store_b16 v[2:3], v4, off
.LBB35_1961:
	s_mov_b32 s6, 0
.LBB35_1962:
	s_delay_alu instid0(SALU_CYCLE_1)
	s_and_not1_b32 vcc_lo, exec_lo, s6
	s_cbranch_vccnz .LBB35_1970
; %bb.1963:
	v_dual_mov_b32 v7, 0x80 :: v_dual_lshlrev_b32 v6, 16, v1
	s_mov_b32 s6, exec_lo
	s_wait_xcnt 0x0
	s_delay_alu instid0(VALU_DEP_1) | instskip(NEXT) | instid1(VALU_DEP_1)
	v_and_b32_e32 v5, 0x7fffffff, v6
	v_cmpx_gt_u32_e32 0x43800000, v5
	s_cbranch_execz .LBB35_1969
; %bb.1964:
	v_and_b32_e32 v4, 0xffff, v1
	v_cmp_lt_u32_e32 vcc_lo, 0x3bffffff, v5
	s_mov_b32 s7, 0
                                        ; implicit-def: $vgpr5
	s_and_saveexec_b32 s11, vcc_lo
	s_delay_alu instid0(SALU_CYCLE_1)
	s_xor_b32 s11, exec_lo, s11
	s_cbranch_execz .LBB35_2188
; %bb.1965:
	v_bfe_u32 v5, v4, 4, 1
	s_mov_b32 s7, exec_lo
	s_delay_alu instid0(VALU_DEP_1) | instskip(NEXT) | instid1(VALU_DEP_1)
	v_add3_u32 v5, v6, v5, 0x487ffff
                                        ; implicit-def: $vgpr6
	v_lshrrev_b32_e32 v5, 20, v5
	s_and_not1_saveexec_b32 s11, s11
	s_cbranch_execnz .LBB35_2189
.LBB35_1966:
	s_or_b32 exec_lo, exec_lo, s11
	v_mov_b32_e32 v7, 0
	s_and_saveexec_b32 s11, s7
.LBB35_1967:
	v_lshrrev_b32_e32 v4, 8, v4
	s_delay_alu instid0(VALU_DEP_1)
	v_and_or_b32 v7, 0x80, v4, v5
.LBB35_1968:
	s_or_b32 exec_lo, exec_lo, s11
.LBB35_1969:
	s_delay_alu instid0(SALU_CYCLE_1)
	s_or_b32 exec_lo, exec_lo, s6
	global_store_b8 v[2:3], v7, off
.LBB35_1970:
	s_mov_b32 s6, -1
.LBB35_1971:
	s_mov_b32 s7, 0
.LBB35_1972:
	s_delay_alu instid0(SALU_CYCLE_1)
	s_and_b32 vcc_lo, exec_lo, s7
	s_cbranch_vccz .LBB35_2012
; %bb.1973:
	s_cmp_gt_i32 s2, 22
	s_mov_b32 s3, -1
	s_cbranch_scc0 .LBB35_2005
; %bb.1974:
	s_cmp_lt_i32 s2, 24
	s_cbranch_scc1 .LBB35_1994
; %bb.1975:
	s_cmp_gt_i32 s2, 24
	s_cbranch_scc0 .LBB35_1983
; %bb.1976:
	s_wait_xcnt 0x0
	v_dual_mov_b32 v7, 0x80 :: v_dual_lshlrev_b32 v6, 16, v1
	s_mov_b32 s3, exec_lo
	s_delay_alu instid0(VALU_DEP_1) | instskip(NEXT) | instid1(VALU_DEP_1)
	v_and_b32_e32 v5, 0x7fffffff, v6
	v_cmpx_gt_u32_e32 0x47800000, v5
	s_cbranch_execz .LBB35_1982
; %bb.1977:
	v_and_b32_e32 v4, 0xffff, v1
	v_cmp_lt_u32_e32 vcc_lo, 0x37ffffff, v5
	s_mov_b32 s6, 0
                                        ; implicit-def: $vgpr5
	s_and_saveexec_b32 s7, vcc_lo
	s_delay_alu instid0(SALU_CYCLE_1)
	s_xor_b32 s7, exec_lo, s7
	s_cbranch_execz .LBB35_2191
; %bb.1978:
	v_bfe_u32 v5, v4, 5, 1
	s_mov_b32 s6, exec_lo
	s_delay_alu instid0(VALU_DEP_1) | instskip(NEXT) | instid1(VALU_DEP_1)
	v_add3_u32 v5, v6, v5, 0x88fffff
                                        ; implicit-def: $vgpr6
	v_lshrrev_b32_e32 v5, 21, v5
	s_and_not1_saveexec_b32 s7, s7
	s_cbranch_execnz .LBB35_2192
.LBB35_1979:
	s_or_b32 exec_lo, exec_lo, s7
	v_mov_b32_e32 v7, 0
	s_and_saveexec_b32 s7, s6
.LBB35_1980:
	v_lshrrev_b32_e32 v4, 8, v4
	s_delay_alu instid0(VALU_DEP_1)
	v_and_or_b32 v7, 0x80, v4, v5
.LBB35_1981:
	s_or_b32 exec_lo, exec_lo, s7
.LBB35_1982:
	s_delay_alu instid0(SALU_CYCLE_1)
	s_or_b32 exec_lo, exec_lo, s3
	s_mov_b32 s3, 0
	global_store_b8 v[2:3], v7, off
.LBB35_1983:
	s_and_b32 vcc_lo, exec_lo, s3
	s_cbranch_vccz .LBB35_1993
; %bb.1984:
	v_lshlrev_b32_e32 v6, 16, v1
	s_wait_xcnt 0x0
	v_and_b32_e32 v4, 0xffff, v1
	s_mov_b32 s3, exec_lo
                                        ; implicit-def: $vgpr5
	s_delay_alu instid0(VALU_DEP_2) | instskip(NEXT) | instid1(VALU_DEP_1)
	v_and_b32_e32 v7, 0x7fffffff, v6
	v_cmpx_gt_u32_e32 0x43f00000, v7
	s_xor_b32 s3, exec_lo, s3
	s_cbranch_execz .LBB35_1990
; %bb.1985:
	s_mov_b32 s6, exec_lo
                                        ; implicit-def: $vgpr5
	v_cmpx_lt_u32_e32 0x3c7fffff, v7
	s_xor_b32 s6, exec_lo, s6
; %bb.1986:
	v_bfe_u32 v5, v4, 4, 1
	s_delay_alu instid0(VALU_DEP_1) | instskip(NEXT) | instid1(VALU_DEP_1)
	v_add3_u32 v5, v6, v5, 0x407ffff
	v_and_b32_e32 v6, 0xff00000, v5
	v_lshrrev_b32_e32 v5, 20, v5
	s_delay_alu instid0(VALU_DEP_2) | instskip(NEXT) | instid1(VALU_DEP_2)
	v_cmp_ne_u32_e32 vcc_lo, 0x7f00000, v6
                                        ; implicit-def: $vgpr6
	v_cndmask_b32_e32 v5, 0x7e, v5, vcc_lo
; %bb.1987:
	s_and_not1_saveexec_b32 s6, s6
; %bb.1988:
	v_add_f32_e64 v5, 0x46800000, |v6|
; %bb.1989:
	s_or_b32 exec_lo, exec_lo, s6
                                        ; implicit-def: $vgpr7
.LBB35_1990:
	s_and_not1_saveexec_b32 s3, s3
; %bb.1991:
	v_mov_b32_e32 v5, 0x7f
	v_cmp_lt_u32_e32 vcc_lo, 0x7f800000, v7
	s_delay_alu instid0(VALU_DEP_2)
	v_cndmask_b32_e32 v5, 0x7e, v5, vcc_lo
; %bb.1992:
	s_or_b32 exec_lo, exec_lo, s3
	v_lshrrev_b32_e32 v4, 8, v4
	s_delay_alu instid0(VALU_DEP_1)
	v_and_or_b32 v4, 0x80, v4, v5
	global_store_b8 v[2:3], v4, off
.LBB35_1993:
	s_mov_b32 s3, 0
.LBB35_1994:
	s_delay_alu instid0(SALU_CYCLE_1)
	s_and_not1_b32 vcc_lo, exec_lo, s3
	s_cbranch_vccnz .LBB35_2004
; %bb.1995:
	v_lshlrev_b32_e32 v6, 16, v1
	s_wait_xcnt 0x0
	v_and_b32_e32 v4, 0xffff, v1
	s_mov_b32 s3, exec_lo
                                        ; implicit-def: $vgpr5
	s_delay_alu instid0(VALU_DEP_2) | instskip(NEXT) | instid1(VALU_DEP_1)
	v_and_b32_e32 v7, 0x7fffffff, v6
	v_cmpx_gt_u32_e32 0x47800000, v7
	s_xor_b32 s3, exec_lo, s3
	s_cbranch_execz .LBB35_2001
; %bb.1996:
	s_mov_b32 s6, exec_lo
                                        ; implicit-def: $vgpr5
	v_cmpx_lt_u32_e32 0x387fffff, v7
	s_xor_b32 s6, exec_lo, s6
; %bb.1997:
	v_bfe_u32 v5, v4, 5, 1
	s_delay_alu instid0(VALU_DEP_1) | instskip(NEXT) | instid1(VALU_DEP_1)
	v_add3_u32 v5, v6, v5, 0x80fffff
                                        ; implicit-def: $vgpr6
	v_lshrrev_b32_e32 v5, 21, v5
; %bb.1998:
	s_and_not1_saveexec_b32 s6, s6
; %bb.1999:
	v_add_f32_e64 v5, 0x43000000, |v6|
; %bb.2000:
	s_or_b32 exec_lo, exec_lo, s6
                                        ; implicit-def: $vgpr7
.LBB35_2001:
	s_and_not1_saveexec_b32 s3, s3
; %bb.2002:
	v_mov_b32_e32 v5, 0x7f
	v_cmp_lt_u32_e32 vcc_lo, 0x7f800000, v7
	s_delay_alu instid0(VALU_DEP_2)
	v_cndmask_b32_e32 v5, 0x7c, v5, vcc_lo
; %bb.2003:
	s_or_b32 exec_lo, exec_lo, s3
	v_lshrrev_b32_e32 v4, 8, v4
	s_delay_alu instid0(VALU_DEP_1)
	v_and_or_b32 v4, 0x80, v4, v5
	global_store_b8 v[2:3], v4, off
.LBB35_2004:
	s_mov_b32 s3, 0
	s_mov_b32 s6, -1
.LBB35_2005:
	s_and_not1_b32 vcc_lo, exec_lo, s3
	s_mov_b32 s3, 0
	s_cbranch_vccnz .LBB35_2012
; %bb.2006:
	s_cmp_gt_i32 s2, 14
	s_mov_b32 s3, -1
	s_cbranch_scc0 .LBB35_2010
; %bb.2007:
	s_cmp_eq_u32 s2, 15
	s_mov_b32 s0, -1
	s_cbranch_scc0 .LBB35_2009
; %bb.2008:
	s_mov_b32 s0, 0
	s_mov_b32 s6, -1
	global_store_b16 v[2:3], v1, off
.LBB35_2009:
	s_mov_b32 s3, 0
.LBB35_2010:
	s_delay_alu instid0(SALU_CYCLE_1)
	s_and_b32 vcc_lo, exec_lo, s3
	s_mov_b32 s3, 0
	s_cbranch_vccz .LBB35_2012
; %bb.2011:
	s_cmp_lg_u32 s2, 11
	s_mov_b32 s3, -1
	s_cselect_b32 s0, -1, 0
.LBB35_2012:
	s_delay_alu instid0(SALU_CYCLE_1)
	s_and_b32 vcc_lo, exec_lo, s0
	s_cbranch_vccnz .LBB35_2190
; %bb.2013:
	s_and_not1_b32 vcc_lo, exec_lo, s3
	s_cbranch_vccnz .LBB35_2015
.LBB35_2014:
	s_wait_xcnt 0x0
	v_and_b32_e32 v4, 0x7fff, v1
	s_mov_b32 s6, -1
	s_delay_alu instid0(VALU_DEP_1)
	v_cmp_ne_u16_e32 vcc_lo, 0, v4
	v_cndmask_b32_e64 v4, 0, 1, vcc_lo
	global_store_b8 v[2:3], v4, off
.LBB35_2015:
.LBB35_2016:
	s_and_not1_b32 vcc_lo, exec_lo, s6
	s_cbranch_vccnz .LBB35_2132
.LBB35_2017:
	s_wait_xcnt 0x0
	v_dual_mul_f32 v1, v19, v19 :: v_dual_bitop2_b32 v4, 1, v20 bitop3:0x40
	s_mov_b32 s0, 0xb94c1982
	s_mov_b32 s3, 0x37d75334
	s_cmp_lt_i32 s2, 11
	s_delay_alu instid0(VALU_DEP_1) | instskip(SKIP_2) | instid1(VALU_DEP_2)
	v_fmaak_f32 v2, s0, v1, 0x3c0881c4
	v_cmp_eq_u32_e32 vcc_lo, 0, v4
	s_mov_b32 s0, -1
	v_fmaak_f32 v2, v1, v2, 0xbe2aaa9d
	v_fmaak_f32 v3, s3, v1, 0xbab64f3b
	s_mov_b32 s3, 0
	s_delay_alu instid0(VALU_DEP_1) | instskip(NEXT) | instid1(VALU_DEP_1)
	v_dual_mul_f32 v2, v1, v2 :: v_dual_fmaak_f32 v3, v1, v3, 0x3d2aabf7
	v_dual_fmac_f32 v19, v19, v2 :: v_dual_lshlrev_b32 v2, 30, v20
	s_delay_alu instid0(VALU_DEP_2) | instskip(NEXT) | instid1(VALU_DEP_2)
	v_fmaak_f32 v3, v1, v3, 0xbf000004
	v_bitop3_b32 v2, v9, v2, 0x80000000 bitop3:0x78
	s_delay_alu instid0(VALU_DEP_2) | instskip(NEXT) | instid1(VALU_DEP_1)
	v_fma_f32 v1, v1, v3, 1.0
	v_cndmask_b32_e32 v1, v1, v19, vcc_lo
	v_cmp_class_f32_e64 vcc_lo, v8, 0x1f8
	s_delay_alu instid0(VALU_DEP_2) | instskip(NEXT) | instid1(VALU_DEP_1)
	v_xor3_b32 v1, v2, v1, v8
	v_cndmask_b32_e32 v4, 0x7fc00000, v1, vcc_lo
	s_delay_alu instid0(VALU_DEP_1) | instskip(SKIP_1) | instid1(VALU_DEP_2)
	v_bfe_u32 v1, v4, 16, 1
	v_cmp_o_f32_e32 vcc_lo, v4, v4
	v_add3_u32 v2, v4, v1, 0x7fff
	s_delay_alu instid0(VALU_DEP_1) | instskip(NEXT) | instid1(VALU_DEP_1)
	v_dual_mov_b32 v1, 0 :: v_dual_lshrrev_b32 v5, 16, v2
	v_add_nc_u64_e32 v[2:3], s[4:5], v[0:1]
	s_delay_alu instid0(VALU_DEP_2)
	v_cndmask_b32_e32 v1, 0x7fc0, v5, vcc_lo
	s_cbranch_scc1 .LBB35_2133
; %bb.2018:
	s_mov_b32 s4, -1
	s_cmp_gt_i32 s2, 25
	s_mov_b32 s0, 0
	s_cbranch_scc0 .LBB35_2051
; %bb.2019:
	s_cmp_gt_i32 s2, 28
	s_cbranch_scc0 .LBB35_2035
; %bb.2020:
	s_cmp_gt_i32 s2, 43
	;; [unrolled: 3-line block ×3, first 2 shown]
	s_cbranch_scc0 .LBB35_2025
; %bb.2022:
	s_cmp_eq_u32 s2, 46
	s_mov_b32 s0, -1
	s_cbranch_scc0 .LBB35_2024
; %bb.2023:
	v_and_b32_e32 v0, 0xffff, v1
	s_mov_b32 s0, 0
	global_store_b32 v[2:3], v0, off
.LBB35_2024:
	s_mov_b32 s4, 0
.LBB35_2025:
	s_delay_alu instid0(SALU_CYCLE_1)
	s_and_b32 vcc_lo, exec_lo, s4
	s_cbranch_vccz .LBB35_2030
; %bb.2026:
	s_cmp_eq_u32 s2, 44
	s_mov_b32 s0, -1
	s_cbranch_scc0 .LBB35_2030
; %bb.2027:
	s_wait_xcnt 0x0
	v_and_b32_e32 v0, 0xffff, v1
	v_mov_b32_e32 v4, 0xff
	s_mov_b32 s4, exec_lo
	s_delay_alu instid0(VALU_DEP_2) | instskip(NEXT) | instid1(VALU_DEP_1)
	v_bfe_u32 v5, v0, 7, 8
	v_cmpx_ne_u32_e32 0xff, v5
	s_cbranch_execz .LBB35_2029
; %bb.2028:
	v_dual_lshlrev_b32 v4, 16, v0 :: v_dual_bitop2_b32 v6, 64, v0 bitop3:0x40
	v_lshrrev_b32_e32 v0, 7, v0
	s_delay_alu instid0(VALU_DEP_2) | instskip(NEXT) | instid1(VALU_DEP_3)
	v_and_or_b32 v4, 0x3f0000, v4, v5
	v_cmp_ne_u32_e32 vcc_lo, 0, v6
	s_delay_alu instid0(VALU_DEP_2) | instskip(SKIP_1) | instid1(SALU_CYCLE_1)
	v_cmp_ne_u32_e64 s0, 0, v4
	s_and_b32 s0, vcc_lo, s0
	v_cndmask_b32_e64 v4, 0, 1, s0
	s_delay_alu instid0(VALU_DEP_1)
	v_add_nc_u32_e32 v4, v0, v4
.LBB35_2029:
	s_or_b32 exec_lo, exec_lo, s4
	s_mov_b32 s0, 0
	global_store_b8 v[2:3], v4, off
.LBB35_2030:
	s_mov_b32 s4, 0
.LBB35_2031:
	s_delay_alu instid0(SALU_CYCLE_1)
	s_and_b32 vcc_lo, exec_lo, s4
	s_cbranch_vccz .LBB35_2034
; %bb.2032:
	s_cmp_eq_u32 s2, 29
	s_mov_b32 s0, -1
	s_cbranch_scc0 .LBB35_2034
; %bb.2033:
	s_wait_xcnt 0x0
	v_lshlrev_b32_e32 v0, 16, v1
	s_mov_b32 s0, 0
	s_delay_alu instid0(VALU_DEP_1) | instskip(NEXT) | instid1(VALU_DEP_1)
	v_trunc_f32_e32 v0, v0
	v_mul_f32_e32 v4, 0x2f800000, v0
	s_delay_alu instid0(VALU_DEP_1) | instskip(NEXT) | instid1(VALU_DEP_1)
	v_floor_f32_e32 v4, v4
	v_fmamk_f32 v0, v4, 0xcf800000, v0
	v_cvt_u32_f32_e32 v5, v4
	s_delay_alu instid0(VALU_DEP_2)
	v_cvt_u32_f32_e32 v4, v0
	global_store_b64 v[2:3], v[4:5], off
.LBB35_2034:
	s_mov_b32 s4, 0
.LBB35_2035:
	s_delay_alu instid0(SALU_CYCLE_1)
	s_and_b32 vcc_lo, exec_lo, s4
	s_cbranch_vccz .LBB35_2050
; %bb.2036:
	s_cmp_lt_i32 s2, 27
	s_mov_b32 s4, -1
	s_cbranch_scc1 .LBB35_2042
; %bb.2037:
	s_cmp_gt_i32 s2, 27
	s_cbranch_scc0 .LBB35_2039
; %bb.2038:
	s_wait_xcnt 0x0
	v_lshlrev_b32_e32 v0, 16, v1
	s_mov_b32 s4, 0
	s_delay_alu instid0(VALU_DEP_1)
	v_cvt_u32_f32_e32 v0, v0
	global_store_b32 v[2:3], v0, off
.LBB35_2039:
	s_and_not1_b32 vcc_lo, exec_lo, s4
	s_cbranch_vccnz .LBB35_2041
; %bb.2040:
	s_wait_xcnt 0x0
	v_lshlrev_b32_e32 v0, 16, v1
	s_delay_alu instid0(VALU_DEP_1)
	v_cvt_u32_f32_e32 v0, v0
	global_store_b16 v[2:3], v0, off
.LBB35_2041:
	s_mov_b32 s4, 0
.LBB35_2042:
	s_delay_alu instid0(SALU_CYCLE_1)
	s_and_not1_b32 vcc_lo, exec_lo, s4
	s_cbranch_vccnz .LBB35_2050
; %bb.2043:
	s_wait_xcnt 0x0
	v_dual_mov_b32 v6, 0x80 :: v_dual_lshlrev_b32 v5, 16, v1
	s_mov_b32 s4, exec_lo
	s_delay_alu instid0(VALU_DEP_1) | instskip(NEXT) | instid1(VALU_DEP_1)
	v_and_b32_e32 v4, 0x7fffffff, v5
	v_cmpx_gt_u32_e32 0x43800000, v4
	s_cbranch_execz .LBB35_2049
; %bb.2044:
	v_and_b32_e32 v0, 0xffff, v1
	v_cmp_lt_u32_e32 vcc_lo, 0x3bffffff, v4
	s_mov_b32 s5, 0
                                        ; implicit-def: $vgpr4
	s_and_saveexec_b32 s6, vcc_lo
	s_delay_alu instid0(SALU_CYCLE_1)
	s_xor_b32 s6, exec_lo, s6
	s_cbranch_execz .LBB35_2193
; %bb.2045:
	v_bfe_u32 v4, v0, 4, 1
	s_mov_b32 s5, exec_lo
	s_delay_alu instid0(VALU_DEP_1) | instskip(NEXT) | instid1(VALU_DEP_1)
	v_add3_u32 v4, v5, v4, 0x487ffff
                                        ; implicit-def: $vgpr5
	v_lshrrev_b32_e32 v4, 20, v4
	s_and_not1_saveexec_b32 s6, s6
	s_cbranch_execnz .LBB35_2194
.LBB35_2046:
	s_or_b32 exec_lo, exec_lo, s6
	v_mov_b32_e32 v6, 0
	s_and_saveexec_b32 s6, s5
.LBB35_2047:
	v_lshrrev_b32_e32 v0, 8, v0
	s_delay_alu instid0(VALU_DEP_1)
	v_and_or_b32 v6, 0x80, v0, v4
.LBB35_2048:
	s_or_b32 exec_lo, exec_lo, s6
.LBB35_2049:
	s_delay_alu instid0(SALU_CYCLE_1)
	s_or_b32 exec_lo, exec_lo, s4
	global_store_b8 v[2:3], v6, off
.LBB35_2050:
	s_mov_b32 s4, 0
.LBB35_2051:
	s_delay_alu instid0(SALU_CYCLE_1)
	s_and_b32 vcc_lo, exec_lo, s4
	s_cbranch_vccz .LBB35_2091
; %bb.2052:
	s_cmp_gt_i32 s2, 22
	s_mov_b32 s3, -1
	s_cbranch_scc0 .LBB35_2084
; %bb.2053:
	s_cmp_lt_i32 s2, 24
	s_cbranch_scc1 .LBB35_2073
; %bb.2054:
	s_cmp_gt_i32 s2, 24
	s_cbranch_scc0 .LBB35_2062
; %bb.2055:
	s_wait_xcnt 0x0
	v_dual_mov_b32 v6, 0x80 :: v_dual_lshlrev_b32 v5, 16, v1
	s_mov_b32 s3, exec_lo
	s_delay_alu instid0(VALU_DEP_1) | instskip(NEXT) | instid1(VALU_DEP_1)
	v_and_b32_e32 v4, 0x7fffffff, v5
	v_cmpx_gt_u32_e32 0x47800000, v4
	s_cbranch_execz .LBB35_2061
; %bb.2056:
	v_and_b32_e32 v0, 0xffff, v1
	v_cmp_lt_u32_e32 vcc_lo, 0x37ffffff, v4
	s_mov_b32 s4, 0
                                        ; implicit-def: $vgpr4
	s_and_saveexec_b32 s5, vcc_lo
	s_delay_alu instid0(SALU_CYCLE_1)
	s_xor_b32 s5, exec_lo, s5
	s_cbranch_execz .LBB35_2196
; %bb.2057:
	v_bfe_u32 v4, v0, 5, 1
	s_mov_b32 s4, exec_lo
	s_delay_alu instid0(VALU_DEP_1) | instskip(NEXT) | instid1(VALU_DEP_1)
	v_add3_u32 v4, v5, v4, 0x88fffff
                                        ; implicit-def: $vgpr5
	v_lshrrev_b32_e32 v4, 21, v4
	s_and_not1_saveexec_b32 s5, s5
	s_cbranch_execnz .LBB35_2197
.LBB35_2058:
	s_or_b32 exec_lo, exec_lo, s5
	v_mov_b32_e32 v6, 0
	s_and_saveexec_b32 s5, s4
.LBB35_2059:
	v_lshrrev_b32_e32 v0, 8, v0
	s_delay_alu instid0(VALU_DEP_1)
	v_and_or_b32 v6, 0x80, v0, v4
.LBB35_2060:
	s_or_b32 exec_lo, exec_lo, s5
.LBB35_2061:
	s_delay_alu instid0(SALU_CYCLE_1)
	s_or_b32 exec_lo, exec_lo, s3
	s_mov_b32 s3, 0
	global_store_b8 v[2:3], v6, off
.LBB35_2062:
	s_and_b32 vcc_lo, exec_lo, s3
	s_cbranch_vccz .LBB35_2072
; %bb.2063:
	s_wait_xcnt 0x0
	v_lshlrev_b32_e32 v5, 16, v1
	v_and_b32_e32 v0, 0xffff, v1
	s_mov_b32 s3, exec_lo
                                        ; implicit-def: $vgpr4
	s_delay_alu instid0(VALU_DEP_2) | instskip(NEXT) | instid1(VALU_DEP_1)
	v_and_b32_e32 v6, 0x7fffffff, v5
	v_cmpx_gt_u32_e32 0x43f00000, v6
	s_xor_b32 s3, exec_lo, s3
	s_cbranch_execz .LBB35_2069
; %bb.2064:
	s_mov_b32 s4, exec_lo
                                        ; implicit-def: $vgpr4
	v_cmpx_lt_u32_e32 0x3c7fffff, v6
	s_xor_b32 s4, exec_lo, s4
; %bb.2065:
	v_bfe_u32 v4, v0, 4, 1
	s_delay_alu instid0(VALU_DEP_1) | instskip(NEXT) | instid1(VALU_DEP_1)
	v_add3_u32 v4, v5, v4, 0x407ffff
	v_and_b32_e32 v5, 0xff00000, v4
	v_lshrrev_b32_e32 v4, 20, v4
	s_delay_alu instid0(VALU_DEP_2) | instskip(NEXT) | instid1(VALU_DEP_2)
	v_cmp_ne_u32_e32 vcc_lo, 0x7f00000, v5
                                        ; implicit-def: $vgpr5
	v_cndmask_b32_e32 v4, 0x7e, v4, vcc_lo
; %bb.2066:
	s_and_not1_saveexec_b32 s4, s4
; %bb.2067:
	v_add_f32_e64 v4, 0x46800000, |v5|
; %bb.2068:
	s_or_b32 exec_lo, exec_lo, s4
                                        ; implicit-def: $vgpr6
.LBB35_2069:
	s_and_not1_saveexec_b32 s3, s3
; %bb.2070:
	v_mov_b32_e32 v4, 0x7f
	v_cmp_lt_u32_e32 vcc_lo, 0x7f800000, v6
	s_delay_alu instid0(VALU_DEP_2)
	v_cndmask_b32_e32 v4, 0x7e, v4, vcc_lo
; %bb.2071:
	s_or_b32 exec_lo, exec_lo, s3
	v_lshrrev_b32_e32 v0, 8, v0
	s_delay_alu instid0(VALU_DEP_1)
	v_and_or_b32 v0, 0x80, v0, v4
	global_store_b8 v[2:3], v0, off
.LBB35_2072:
	s_mov_b32 s3, 0
.LBB35_2073:
	s_delay_alu instid0(SALU_CYCLE_1)
	s_and_not1_b32 vcc_lo, exec_lo, s3
	s_cbranch_vccnz .LBB35_2083
; %bb.2074:
	s_wait_xcnt 0x0
	v_lshlrev_b32_e32 v5, 16, v1
	v_and_b32_e32 v0, 0xffff, v1
	s_mov_b32 s3, exec_lo
                                        ; implicit-def: $vgpr4
	s_delay_alu instid0(VALU_DEP_2) | instskip(NEXT) | instid1(VALU_DEP_1)
	v_and_b32_e32 v6, 0x7fffffff, v5
	v_cmpx_gt_u32_e32 0x47800000, v6
	s_xor_b32 s3, exec_lo, s3
	s_cbranch_execz .LBB35_2080
; %bb.2075:
	s_mov_b32 s4, exec_lo
                                        ; implicit-def: $vgpr4
	v_cmpx_lt_u32_e32 0x387fffff, v6
	s_xor_b32 s4, exec_lo, s4
; %bb.2076:
	v_bfe_u32 v4, v0, 5, 1
	s_delay_alu instid0(VALU_DEP_1) | instskip(NEXT) | instid1(VALU_DEP_1)
	v_add3_u32 v4, v5, v4, 0x80fffff
                                        ; implicit-def: $vgpr5
	v_lshrrev_b32_e32 v4, 21, v4
; %bb.2077:
	s_and_not1_saveexec_b32 s4, s4
; %bb.2078:
	v_add_f32_e64 v4, 0x43000000, |v5|
; %bb.2079:
	s_or_b32 exec_lo, exec_lo, s4
                                        ; implicit-def: $vgpr6
.LBB35_2080:
	s_and_not1_saveexec_b32 s3, s3
; %bb.2081:
	v_mov_b32_e32 v4, 0x7f
	v_cmp_lt_u32_e32 vcc_lo, 0x7f800000, v6
	s_delay_alu instid0(VALU_DEP_2)
	v_cndmask_b32_e32 v4, 0x7c, v4, vcc_lo
; %bb.2082:
	s_or_b32 exec_lo, exec_lo, s3
	v_lshrrev_b32_e32 v0, 8, v0
	s_delay_alu instid0(VALU_DEP_1)
	v_and_or_b32 v0, 0x80, v0, v4
	global_store_b8 v[2:3], v0, off
.LBB35_2083:
	s_mov_b32 s3, 0
.LBB35_2084:
	s_delay_alu instid0(SALU_CYCLE_1)
	s_and_not1_b32 vcc_lo, exec_lo, s3
	s_mov_b32 s3, 0
	s_cbranch_vccnz .LBB35_2091
; %bb.2085:
	s_cmp_gt_i32 s2, 14
	s_mov_b32 s3, -1
	s_cbranch_scc0 .LBB35_2089
; %bb.2086:
	s_cmp_eq_u32 s2, 15
	s_mov_b32 s0, -1
	s_cbranch_scc0 .LBB35_2088
; %bb.2087:
	s_mov_b32 s0, 0
	global_store_b16 v[2:3], v1, off
.LBB35_2088:
	s_mov_b32 s3, 0
.LBB35_2089:
	s_delay_alu instid0(SALU_CYCLE_1)
	s_and_b32 vcc_lo, exec_lo, s3
	s_mov_b32 s3, 0
	s_cbranch_vccz .LBB35_2091
; %bb.2090:
	s_cmp_lg_u32 s2, 11
	s_mov_b32 s3, -1
	s_cselect_b32 s0, -1, 0
.LBB35_2091:
	s_delay_alu instid0(SALU_CYCLE_1)
	s_and_b32 vcc_lo, exec_lo, s0
	s_cbranch_vccnz .LBB35_2195
.LBB35_2092:
	s_mov_b32 s0, 0
	s_branch .LBB35_2133
.LBB35_2093:
	s_and_b32 vcc_lo, exec_lo, s0
	s_cbranch_vccz .LBB35_2016
; %bb.2094:
	s_cmp_lt_i32 s2, 5
	s_mov_b32 s0, -1
	s_cbranch_scc1 .LBB35_2115
; %bb.2095:
	s_cmp_lt_i32 s2, 8
	s_cbranch_scc1 .LBB35_2105
; %bb.2096:
	s_cmp_lt_i32 s2, 9
	s_cbranch_scc1 .LBB35_2102
; %bb.2097:
	s_cmp_gt_i32 s2, 9
	s_cbranch_scc0 .LBB35_2099
; %bb.2098:
	s_wait_xcnt 0x0
	v_dual_lshlrev_b32 v4, 16, v1 :: v_dual_mov_b32 v6, 0
	s_mov_b32 s0, 0
	s_delay_alu instid0(VALU_DEP_1) | instskip(NEXT) | instid1(VALU_DEP_2)
	v_cvt_f64_f32_e32 v[4:5], v4
	v_mov_b32_e32 v7, v6
	global_store_b128 v[2:3], v[4:7], off
.LBB35_2099:
	s_and_not1_b32 vcc_lo, exec_lo, s0
	s_cbranch_vccnz .LBB35_2101
; %bb.2100:
	s_wait_xcnt 0x0
	v_dual_mov_b32 v5, 0 :: v_dual_lshlrev_b32 v4, 16, v1
	global_store_b64 v[2:3], v[4:5], off
.LBB35_2101:
	s_mov_b32 s0, 0
.LBB35_2102:
	s_delay_alu instid0(SALU_CYCLE_1)
	s_and_not1_b32 vcc_lo, exec_lo, s0
	s_cbranch_vccnz .LBB35_2104
; %bb.2103:
	s_wait_xcnt 0x0
	v_lshlrev_b32_e32 v4, 16, v1
	s_delay_alu instid0(VALU_DEP_1) | instskip(NEXT) | instid1(VALU_DEP_1)
	v_cvt_f16_f32_e32 v4, v4
	v_and_b32_e32 v4, 0xffff, v4
	global_store_b32 v[2:3], v4, off
.LBB35_2104:
	s_mov_b32 s0, 0
.LBB35_2105:
	s_delay_alu instid0(SALU_CYCLE_1)
	s_and_not1_b32 vcc_lo, exec_lo, s0
	s_cbranch_vccnz .LBB35_2114
; %bb.2106:
	s_cmp_lt_i32 s2, 6
	s_mov_b32 s0, -1
	s_cbranch_scc1 .LBB35_2112
; %bb.2107:
	s_cmp_gt_i32 s2, 6
	s_cbranch_scc0 .LBB35_2109
; %bb.2108:
	s_wait_xcnt 0x0
	v_lshlrev_b32_e32 v4, 16, v1
	s_mov_b32 s0, 0
	s_delay_alu instid0(VALU_DEP_1)
	v_cvt_f64_f32_e32 v[4:5], v4
	global_store_b64 v[2:3], v[4:5], off
.LBB35_2109:
	s_and_not1_b32 vcc_lo, exec_lo, s0
	s_cbranch_vccnz .LBB35_2111
; %bb.2110:
	s_wait_xcnt 0x0
	v_lshlrev_b32_e32 v4, 16, v1
	global_store_b32 v[2:3], v4, off
.LBB35_2111:
	s_mov_b32 s0, 0
.LBB35_2112:
	s_delay_alu instid0(SALU_CYCLE_1)
	s_and_not1_b32 vcc_lo, exec_lo, s0
	s_cbranch_vccnz .LBB35_2114
; %bb.2113:
	s_wait_xcnt 0x0
	v_lshlrev_b32_e32 v4, 16, v1
	s_delay_alu instid0(VALU_DEP_1)
	v_cvt_f16_f32_e32 v4, v4
	global_store_b16 v[2:3], v4, off
.LBB35_2114:
	s_mov_b32 s0, 0
.LBB35_2115:
	s_delay_alu instid0(SALU_CYCLE_1)
	s_and_not1_b32 vcc_lo, exec_lo, s0
	s_cbranch_vccnz .LBB35_2131
; %bb.2116:
	s_cmp_lt_i32 s2, 2
	s_mov_b32 s0, -1
	s_cbranch_scc1 .LBB35_2126
; %bb.2117:
	s_cmp_lt_i32 s2, 3
	s_cbranch_scc1 .LBB35_2123
; %bb.2118:
	s_cmp_gt_i32 s2, 3
	s_cbranch_scc0 .LBB35_2120
; %bb.2119:
	s_wait_xcnt 0x0
	v_lshlrev_b32_e32 v4, 16, v1
	s_mov_b32 s0, 0
	s_delay_alu instid0(VALU_DEP_1) | instskip(NEXT) | instid1(VALU_DEP_1)
	v_trunc_f32_e32 v4, v4
	v_mul_f32_e64 v5, 0x2f800000, |v4|
	s_delay_alu instid0(VALU_DEP_1) | instskip(NEXT) | instid1(VALU_DEP_1)
	v_floor_f32_e32 v5, v5
	v_fma_f32 v6, 0xcf800000, v5, |v4|
	v_ashrrev_i32_e32 v4, 31, v4
	v_cvt_u32_f32_e32 v7, v5
	s_delay_alu instid0(VALU_DEP_3) | instskip(NEXT) | instid1(VALU_DEP_2)
	v_cvt_u32_f32_e32 v6, v6
	v_dual_mov_b32 v5, v4 :: v_dual_bitop2_b32 v7, v7, v4 bitop3:0x14
	s_delay_alu instid0(VALU_DEP_2) | instskip(NEXT) | instid1(VALU_DEP_1)
	v_xor_b32_e32 v6, v6, v4
	v_sub_nc_u64_e32 v[4:5], v[6:7], v[4:5]
	global_store_b64 v[2:3], v[4:5], off
.LBB35_2120:
	s_and_not1_b32 vcc_lo, exec_lo, s0
	s_cbranch_vccnz .LBB35_2122
; %bb.2121:
	s_wait_xcnt 0x0
	v_lshlrev_b32_e32 v4, 16, v1
	s_delay_alu instid0(VALU_DEP_1)
	v_cvt_i32_f32_e32 v4, v4
	global_store_b32 v[2:3], v4, off
.LBB35_2122:
	s_mov_b32 s0, 0
.LBB35_2123:
	s_delay_alu instid0(SALU_CYCLE_1)
	s_and_not1_b32 vcc_lo, exec_lo, s0
	s_cbranch_vccnz .LBB35_2125
; %bb.2124:
	s_wait_xcnt 0x0
	v_lshlrev_b32_e32 v4, 16, v1
	s_delay_alu instid0(VALU_DEP_1)
	v_cvt_i32_f32_e32 v4, v4
	global_store_b16 v[2:3], v4, off
.LBB35_2125:
	s_mov_b32 s0, 0
.LBB35_2126:
	s_delay_alu instid0(SALU_CYCLE_1)
	s_and_not1_b32 vcc_lo, exec_lo, s0
	s_cbranch_vccnz .LBB35_2131
; %bb.2127:
	s_cmp_gt_i32 s2, 0
	s_mov_b32 s0, -1
	s_cbranch_scc0 .LBB35_2129
; %bb.2128:
	s_wait_xcnt 0x0
	v_lshlrev_b32_e32 v4, 16, v1
	s_mov_b32 s0, 0
	s_delay_alu instid0(VALU_DEP_1)
	v_cvt_i32_f32_e32 v4, v4
	global_store_b8 v[2:3], v4, off
.LBB35_2129:
	s_and_not1_b32 vcc_lo, exec_lo, s0
	s_cbranch_vccnz .LBB35_2131
; %bb.2130:
	s_wait_xcnt 0x0
	v_lshlrev_b32_e32 v1, 16, v1
	s_delay_alu instid0(VALU_DEP_1) | instskip(NEXT) | instid1(VALU_DEP_1)
	v_trunc_f32_e32 v1, v1
	v_mul_f32_e64 v4, 0x2f800000, |v1|
	s_delay_alu instid0(VALU_DEP_1) | instskip(NEXT) | instid1(VALU_DEP_1)
	v_floor_f32_e32 v4, v4
	v_fma_f32 v4, 0xcf800000, v4, |v1|
	v_ashrrev_i32_e32 v1, 31, v1
	s_delay_alu instid0(VALU_DEP_2) | instskip(NEXT) | instid1(VALU_DEP_1)
	v_cvt_u32_f32_e32 v4, v4
	v_xor_b32_e32 v4, v4, v1
	s_delay_alu instid0(VALU_DEP_1)
	v_sub_nc_u32_e32 v1, v4, v1
	global_store_b8 v[2:3], v1, off
.LBB35_2131:
	s_branch .LBB35_2017
.LBB35_2132:
	s_mov_b32 s0, 0
	s_mov_b32 s3, 0
                                        ; implicit-def: $vgpr2_vgpr3
                                        ; implicit-def: $sgpr1
                                        ; implicit-def: $vgpr1
.LBB35_2133:
	s_and_not1_b32 s2, s8, exec_lo
	s_and_b32 s4, s10, exec_lo
	s_and_b32 s0, s0, exec_lo
	s_and_b32 s30, s3, exec_lo
	s_or_b32 s8, s2, s4
.LBB35_2134:
	s_wait_xcnt 0x0
	s_or_b32 exec_lo, exec_lo, s9
	s_and_saveexec_b32 s2, s8
	s_cbranch_execz .LBB35_2137
; %bb.2135:
	; divergent unreachable
	s_or_b32 exec_lo, exec_lo, s2
	s_and_saveexec_b32 s2, s30
	s_delay_alu instid0(SALU_CYCLE_1)
	s_xor_b32 s2, exec_lo, s2
	s_cbranch_execnz .LBB35_2138
.LBB35_2136:
	s_or_b32 exec_lo, exec_lo, s2
	s_and_saveexec_b32 s2, s0
	s_cbranch_execnz .LBB35_2139
	s_branch .LBB35_2176
.LBB35_2137:
	s_or_b32 exec_lo, exec_lo, s2
	s_and_saveexec_b32 s2, s30
	s_delay_alu instid0(SALU_CYCLE_1)
	s_xor_b32 s2, exec_lo, s2
	s_cbranch_execz .LBB35_2136
.LBB35_2138:
	s_wait_loadcnt 0x0
	v_and_b32_e32 v0, 0x7fff, v1
	s_delay_alu instid0(VALU_DEP_1)
	v_cmp_ne_u16_e32 vcc_lo, 0, v0
	v_cndmask_b32_e64 v0, 0, 1, vcc_lo
	global_store_b8 v[2:3], v0, off
	s_wait_xcnt 0x0
	s_or_b32 exec_lo, exec_lo, s2
	s_and_saveexec_b32 s2, s0
	s_cbranch_execz .LBB35_2176
.LBB35_2139:
	s_sext_i32_i16 s2, s1
	s_mov_b32 s0, -1
	s_cmp_lt_i32 s2, 5
	s_cbranch_scc1 .LBB35_2160
; %bb.2140:
	s_cmp_lt_i32 s2, 8
	s_cbranch_scc1 .LBB35_2150
; %bb.2141:
	;; [unrolled: 3-line block ×3, first 2 shown]
	s_cmp_gt_i32 s2, 9
	s_cbranch_scc0 .LBB35_2144
; %bb.2143:
	s_wait_loadcnt 0x0
	v_dual_lshlrev_b32 v0, 16, v1 :: v_dual_mov_b32 v6, 0
	s_mov_b32 s0, 0
	s_delay_alu instid0(VALU_DEP_1) | instskip(NEXT) | instid1(VALU_DEP_2)
	v_cvt_f64_f32_e32 v[4:5], v0
	v_mov_b32_e32 v7, v6
	global_store_b128 v[2:3], v[4:7], off
.LBB35_2144:
	s_and_not1_b32 vcc_lo, exec_lo, s0
	s_cbranch_vccnz .LBB35_2146
; %bb.2145:
	s_wait_loadcnt 0x0
	v_dual_mov_b32 v5, 0 :: v_dual_lshlrev_b32 v4, 16, v1
	global_store_b64 v[2:3], v[4:5], off
.LBB35_2146:
	s_mov_b32 s0, 0
.LBB35_2147:
	s_delay_alu instid0(SALU_CYCLE_1)
	s_and_not1_b32 vcc_lo, exec_lo, s0
	s_cbranch_vccnz .LBB35_2149
; %bb.2148:
	s_wait_loadcnt 0x0
	v_lshlrev_b32_e32 v0, 16, v1
	s_delay_alu instid0(VALU_DEP_1) | instskip(NEXT) | instid1(VALU_DEP_1)
	v_cvt_f16_f32_e32 v0, v0
	v_and_b32_e32 v0, 0xffff, v0
	global_store_b32 v[2:3], v0, off
.LBB35_2149:
	s_mov_b32 s0, 0
.LBB35_2150:
	s_delay_alu instid0(SALU_CYCLE_1)
	s_and_not1_b32 vcc_lo, exec_lo, s0
	s_cbranch_vccnz .LBB35_2159
; %bb.2151:
	s_sext_i32_i16 s2, s1
	s_mov_b32 s0, -1
	s_cmp_lt_i32 s2, 6
	s_cbranch_scc1 .LBB35_2157
; %bb.2152:
	s_cmp_gt_i32 s2, 6
	s_cbranch_scc0 .LBB35_2154
; %bb.2153:
	s_wait_loadcnt 0x0
	v_lshlrev_b32_e32 v0, 16, v1
	s_mov_b32 s0, 0
	s_delay_alu instid0(VALU_DEP_1)
	v_cvt_f64_f32_e32 v[4:5], v0
	global_store_b64 v[2:3], v[4:5], off
.LBB35_2154:
	s_and_not1_b32 vcc_lo, exec_lo, s0
	s_cbranch_vccnz .LBB35_2156
; %bb.2155:
	s_wait_loadcnt 0x0
	v_lshlrev_b32_e32 v0, 16, v1
	global_store_b32 v[2:3], v0, off
.LBB35_2156:
	s_mov_b32 s0, 0
.LBB35_2157:
	s_delay_alu instid0(SALU_CYCLE_1)
	s_and_not1_b32 vcc_lo, exec_lo, s0
	s_cbranch_vccnz .LBB35_2159
; %bb.2158:
	s_wait_loadcnt 0x0
	v_lshlrev_b32_e32 v0, 16, v1
	s_delay_alu instid0(VALU_DEP_1)
	v_cvt_f16_f32_e32 v0, v0
	global_store_b16 v[2:3], v0, off
.LBB35_2159:
	s_mov_b32 s0, 0
.LBB35_2160:
	s_delay_alu instid0(SALU_CYCLE_1)
	s_and_not1_b32 vcc_lo, exec_lo, s0
	s_cbranch_vccnz .LBB35_2176
; %bb.2161:
	s_sext_i32_i16 s2, s1
	s_mov_b32 s0, -1
	s_cmp_lt_i32 s2, 2
	s_cbranch_scc1 .LBB35_2171
; %bb.2162:
	s_cmp_lt_i32 s2, 3
	s_cbranch_scc1 .LBB35_2168
; %bb.2163:
	s_cmp_gt_i32 s2, 3
	s_cbranch_scc0 .LBB35_2165
; %bb.2164:
	s_wait_loadcnt 0x0
	v_lshlrev_b32_e32 v0, 16, v1
	s_mov_b32 s0, 0
	s_delay_alu instid0(VALU_DEP_1) | instskip(NEXT) | instid1(VALU_DEP_1)
	v_trunc_f32_e32 v0, v0
	v_mul_f32_e64 v4, 0x2f800000, |v0|
	s_delay_alu instid0(VALU_DEP_1) | instskip(SKIP_1) | instid1(VALU_DEP_2)
	v_floor_f32_e32 v5, v4
	v_ashrrev_i32_e32 v4, 31, v0
	v_fma_f32 v6, 0xcf800000, v5, |v0|
	v_cvt_u32_f32_e32 v0, v5
	s_delay_alu instid0(VALU_DEP_3) | instskip(NEXT) | instid1(VALU_DEP_3)
	v_mov_b32_e32 v5, v4
	v_cvt_u32_f32_e32 v6, v6
	s_delay_alu instid0(VALU_DEP_3) | instskip(NEXT) | instid1(VALU_DEP_2)
	v_xor_b32_e32 v7, v0, v4
	v_xor_b32_e32 v6, v6, v4
	s_delay_alu instid0(VALU_DEP_1)
	v_sub_nc_u64_e32 v[4:5], v[6:7], v[4:5]
	global_store_b64 v[2:3], v[4:5], off
.LBB35_2165:
	s_and_not1_b32 vcc_lo, exec_lo, s0
	s_cbranch_vccnz .LBB35_2167
; %bb.2166:
	s_wait_loadcnt 0x0
	v_lshlrev_b32_e32 v0, 16, v1
	s_delay_alu instid0(VALU_DEP_1)
	v_cvt_i32_f32_e32 v0, v0
	global_store_b32 v[2:3], v0, off
.LBB35_2167:
	s_mov_b32 s0, 0
.LBB35_2168:
	s_delay_alu instid0(SALU_CYCLE_1)
	s_and_not1_b32 vcc_lo, exec_lo, s0
	s_cbranch_vccnz .LBB35_2170
; %bb.2169:
	s_wait_loadcnt 0x0
	v_lshlrev_b32_e32 v0, 16, v1
	s_delay_alu instid0(VALU_DEP_1)
	v_cvt_i32_f32_e32 v0, v0
	global_store_b16 v[2:3], v0, off
.LBB35_2170:
	s_mov_b32 s0, 0
.LBB35_2171:
	s_delay_alu instid0(SALU_CYCLE_1)
	s_and_not1_b32 vcc_lo, exec_lo, s0
	s_cbranch_vccnz .LBB35_2176
; %bb.2172:
	s_sext_i32_i16 s0, s1
	s_delay_alu instid0(SALU_CYCLE_1)
	s_cmp_gt_i32 s0, 0
	s_mov_b32 s0, -1
	s_cbranch_scc0 .LBB35_2174
; %bb.2173:
	s_wait_loadcnt 0x0
	v_lshlrev_b32_e32 v0, 16, v1
	s_mov_b32 s0, 0
	s_delay_alu instid0(VALU_DEP_1)
	v_cvt_i32_f32_e32 v0, v0
	global_store_b8 v[2:3], v0, off
.LBB35_2174:
	s_and_not1_b32 vcc_lo, exec_lo, s0
	s_cbranch_vccnz .LBB35_2176
; %bb.2175:
	s_wait_loadcnt 0x0
	v_lshlrev_b32_e32 v0, 16, v1
	s_delay_alu instid0(VALU_DEP_1) | instskip(NEXT) | instid1(VALU_DEP_1)
	v_trunc_f32_e32 v0, v0
	v_mul_f32_e64 v1, 0x2f800000, |v0|
	s_delay_alu instid0(VALU_DEP_1) | instskip(NEXT) | instid1(VALU_DEP_1)
	v_floor_f32_e32 v1, v1
	v_fma_f32 v1, 0xcf800000, v1, |v0|
	v_ashrrev_i32_e32 v0, 31, v0
	s_delay_alu instid0(VALU_DEP_2) | instskip(NEXT) | instid1(VALU_DEP_1)
	v_cvt_u32_f32_e32 v1, v1
	v_xor_b32_e32 v1, v1, v0
	s_delay_alu instid0(VALU_DEP_1)
	v_sub_nc_u32_e32 v0, v1, v0
	global_store_b8 v[2:3], v0, off
	s_endpgm
.LBB35_2176:
	s_endpgm
.LBB35_2177:
	s_or_b32 s10, s10, exec_lo
	s_trap 2
	s_cbranch_execz .LBB35_1646
	s_branch .LBB35_1647
.LBB35_2178:
	s_and_not1_saveexec_b32 s11, s11
	s_cbranch_execz .LBB35_1730
.LBB35_2179:
	v_add_f32_e64 v5, 0x46000000, |v14|
	s_and_not1_b32 s7, s7, exec_lo
	s_delay_alu instid0(VALU_DEP_1) | instskip(NEXT) | instid1(VALU_DEP_1)
	v_and_b32_e32 v5, 0xff, v5
	v_cmp_ne_u32_e32 vcc_lo, 0, v5
	s_and_b32 s12, vcc_lo, exec_lo
	s_delay_alu instid0(SALU_CYCLE_1)
	s_or_b32 s7, s7, s12
	s_or_b32 exec_lo, exec_lo, s11
	v_mov_b32_e32 v21, 0
	s_and_saveexec_b32 s11, s7
	s_cbranch_execnz .LBB35_1731
	s_branch .LBB35_1732
.LBB35_2180:
	s_or_b32 s10, s10, exec_lo
	s_trap 2
	s_cbranch_execz .LBB35_1778
	s_branch .LBB35_1779
.LBB35_2181:
	s_and_not1_saveexec_b32 s7, s7
	s_cbranch_execz .LBB35_1743
.LBB35_2182:
	v_add_f32_e64 v5, 0x42800000, |v14|
	s_and_not1_b32 s6, s6, exec_lo
	s_delay_alu instid0(VALU_DEP_1) | instskip(NEXT) | instid1(VALU_DEP_1)
	v_and_b32_e32 v5, 0xff, v5
	v_cmp_ne_u32_e32 vcc_lo, 0, v5
	s_and_b32 s11, vcc_lo, exec_lo
	s_delay_alu instid0(SALU_CYCLE_1)
	s_or_b32 s6, s6, s11
	s_or_b32 exec_lo, exec_lo, s7
	v_mov_b32_e32 v21, 0
	s_and_saveexec_b32 s7, s6
	s_cbranch_execnz .LBB35_1744
	s_branch .LBB35_1745
.LBB35_2183:
	s_and_not1_saveexec_b32 s11, s11
	s_cbranch_execz .LBB35_1848
.LBB35_2184:
	v_add_f32_e64 v6, 0x46000000, |v7|
	s_and_not1_b32 s7, s7, exec_lo
	s_delay_alu instid0(VALU_DEP_1) | instskip(NEXT) | instid1(VALU_DEP_1)
	v_and_b32_e32 v6, 0xff, v6
	v_cmp_ne_u32_e32 vcc_lo, 0, v6
	s_and_b32 s12, vcc_lo, exec_lo
	s_delay_alu instid0(SALU_CYCLE_1)
	s_or_b32 s7, s7, s12
	s_or_b32 exec_lo, exec_lo, s11
	v_mov_b32_e32 v12, 0
	s_and_saveexec_b32 s11, s7
	s_cbranch_execnz .LBB35_1849
	s_branch .LBB35_1850
.LBB35_2185:
	s_or_b32 s10, s10, exec_lo
	s_trap 2
	s_cbranch_execz .LBB35_1896
	s_branch .LBB35_1897
.LBB35_2186:
	s_and_not1_saveexec_b32 s7, s7
	s_cbranch_execz .LBB35_1861
.LBB35_2187:
	v_add_f32_e64 v6, 0x42800000, |v7|
	s_and_not1_b32 s6, s6, exec_lo
	s_delay_alu instid0(VALU_DEP_1) | instskip(NEXT) | instid1(VALU_DEP_1)
	v_and_b32_e32 v6, 0xff, v6
	v_cmp_ne_u32_e32 vcc_lo, 0, v6
	s_and_b32 s11, vcc_lo, exec_lo
	s_delay_alu instid0(SALU_CYCLE_1)
	s_or_b32 s6, s6, s11
	s_or_b32 exec_lo, exec_lo, s7
	v_mov_b32_e32 v12, 0
	s_and_saveexec_b32 s7, s6
	s_cbranch_execnz .LBB35_1862
	s_branch .LBB35_1863
.LBB35_2188:
	s_and_not1_saveexec_b32 s11, s11
	s_cbranch_execz .LBB35_1966
.LBB35_2189:
	v_add_f32_e64 v5, 0x46000000, |v6|
	s_and_not1_b32 s7, s7, exec_lo
	s_delay_alu instid0(VALU_DEP_1) | instskip(NEXT) | instid1(VALU_DEP_1)
	v_and_b32_e32 v5, 0xff, v5
	v_cmp_ne_u32_e32 vcc_lo, 0, v5
	s_and_b32 s12, vcc_lo, exec_lo
	s_delay_alu instid0(SALU_CYCLE_1)
	s_or_b32 s7, s7, s12
	s_or_b32 exec_lo, exec_lo, s11
	v_mov_b32_e32 v7, 0
	s_and_saveexec_b32 s11, s7
	s_cbranch_execnz .LBB35_1967
	s_branch .LBB35_1968
.LBB35_2190:
	s_or_b32 s10, s10, exec_lo
	s_trap 2
	s_cbranch_execz .LBB35_2014
	s_branch .LBB35_2015
.LBB35_2191:
	s_and_not1_saveexec_b32 s7, s7
	s_cbranch_execz .LBB35_1979
.LBB35_2192:
	v_add_f32_e64 v5, 0x42800000, |v6|
	s_and_not1_b32 s6, s6, exec_lo
	s_delay_alu instid0(VALU_DEP_1) | instskip(NEXT) | instid1(VALU_DEP_1)
	v_and_b32_e32 v5, 0xff, v5
	v_cmp_ne_u32_e32 vcc_lo, 0, v5
	s_and_b32 s11, vcc_lo, exec_lo
	s_delay_alu instid0(SALU_CYCLE_1)
	s_or_b32 s6, s6, s11
	s_or_b32 exec_lo, exec_lo, s7
	v_mov_b32_e32 v7, 0
	s_and_saveexec_b32 s7, s6
	s_cbranch_execnz .LBB35_1980
	s_branch .LBB35_1981
.LBB35_2193:
	s_and_not1_saveexec_b32 s6, s6
	s_cbranch_execz .LBB35_2046
.LBB35_2194:
	v_add_f32_e64 v4, 0x46000000, |v5|
	s_and_not1_b32 s5, s5, exec_lo
	s_delay_alu instid0(VALU_DEP_1) | instskip(NEXT) | instid1(VALU_DEP_1)
	v_and_b32_e32 v4, 0xff, v4
	v_cmp_ne_u32_e32 vcc_lo, 0, v4
	s_and_b32 s7, vcc_lo, exec_lo
	s_delay_alu instid0(SALU_CYCLE_1)
	s_or_b32 s5, s5, s7
	s_or_b32 exec_lo, exec_lo, s6
	v_mov_b32_e32 v6, 0
	s_and_saveexec_b32 s6, s5
	s_cbranch_execnz .LBB35_2047
	s_branch .LBB35_2048
.LBB35_2195:
	s_mov_b32 s3, 0
	s_or_b32 s10, s10, exec_lo
	s_trap 2
	s_branch .LBB35_2092
.LBB35_2196:
	s_and_not1_saveexec_b32 s5, s5
	s_cbranch_execz .LBB35_2058
.LBB35_2197:
	v_add_f32_e64 v4, 0x42800000, |v5|
	s_and_not1_b32 s4, s4, exec_lo
	s_delay_alu instid0(VALU_DEP_1) | instskip(NEXT) | instid1(VALU_DEP_1)
	v_and_b32_e32 v4, 0xff, v4
	v_cmp_ne_u32_e32 vcc_lo, 0, v4
	s_and_b32 s6, vcc_lo, exec_lo
	s_delay_alu instid0(SALU_CYCLE_1)
	s_or_b32 s4, s4, s6
	s_or_b32 exec_lo, exec_lo, s5
	v_mov_b32_e32 v6, 0
	s_and_saveexec_b32 s5, s4
	s_cbranch_execnz .LBB35_2059
	s_branch .LBB35_2060
	.section	.rodata,"a",@progbits
	.p2align	6, 0x0
	.amdhsa_kernel _ZN2at6native32elementwise_kernel_manual_unrollILi128ELi4EZNS0_15gpu_kernel_implIZZZNS0_15sin_kernel_cudaERNS_18TensorIteratorBaseEENKUlvE0_clEvENKUlvE2_clEvEUlN3c108BFloat16EE_EEvS4_RKT_EUlibE0_EEviT1_
		.amdhsa_group_segment_fixed_size 0
		.amdhsa_private_segment_fixed_size 0
		.amdhsa_kernarg_size 360
		.amdhsa_user_sgpr_count 2
		.amdhsa_user_sgpr_dispatch_ptr 0
		.amdhsa_user_sgpr_queue_ptr 0
		.amdhsa_user_sgpr_kernarg_segment_ptr 1
		.amdhsa_user_sgpr_dispatch_id 0
		.amdhsa_user_sgpr_kernarg_preload_length 0
		.amdhsa_user_sgpr_kernarg_preload_offset 0
		.amdhsa_user_sgpr_private_segment_size 0
		.amdhsa_wavefront_size32 1
		.amdhsa_uses_dynamic_stack 0
		.amdhsa_enable_private_segment 0
		.amdhsa_system_sgpr_workgroup_id_x 1
		.amdhsa_system_sgpr_workgroup_id_y 0
		.amdhsa_system_sgpr_workgroup_id_z 0
		.amdhsa_system_sgpr_workgroup_info 0
		.amdhsa_system_vgpr_workitem_id 0
		.amdhsa_next_free_vgpr 36
		.amdhsa_next_free_sgpr 68
		.amdhsa_named_barrier_count 0
		.amdhsa_reserve_vcc 1
		.amdhsa_float_round_mode_32 0
		.amdhsa_float_round_mode_16_64 0
		.amdhsa_float_denorm_mode_32 3
		.amdhsa_float_denorm_mode_16_64 3
		.amdhsa_fp16_overflow 0
		.amdhsa_memory_ordered 1
		.amdhsa_forward_progress 1
		.amdhsa_inst_pref_size 255
		.amdhsa_round_robin_scheduling 0
		.amdhsa_exception_fp_ieee_invalid_op 0
		.amdhsa_exception_fp_denorm_src 0
		.amdhsa_exception_fp_ieee_div_zero 0
		.amdhsa_exception_fp_ieee_overflow 0
		.amdhsa_exception_fp_ieee_underflow 0
		.amdhsa_exception_fp_ieee_inexact 0
		.amdhsa_exception_int_div_zero 0
	.end_amdhsa_kernel
	.section	.text._ZN2at6native32elementwise_kernel_manual_unrollILi128ELi4EZNS0_15gpu_kernel_implIZZZNS0_15sin_kernel_cudaERNS_18TensorIteratorBaseEENKUlvE0_clEvENKUlvE2_clEvEUlN3c108BFloat16EE_EEvS4_RKT_EUlibE0_EEviT1_,"axG",@progbits,_ZN2at6native32elementwise_kernel_manual_unrollILi128ELi4EZNS0_15gpu_kernel_implIZZZNS0_15sin_kernel_cudaERNS_18TensorIteratorBaseEENKUlvE0_clEvENKUlvE2_clEvEUlN3c108BFloat16EE_EEvS4_RKT_EUlibE0_EEviT1_,comdat
.Lfunc_end35:
	.size	_ZN2at6native32elementwise_kernel_manual_unrollILi128ELi4EZNS0_15gpu_kernel_implIZZZNS0_15sin_kernel_cudaERNS_18TensorIteratorBaseEENKUlvE0_clEvENKUlvE2_clEvEUlN3c108BFloat16EE_EEvS4_RKT_EUlibE0_EEviT1_, .Lfunc_end35-_ZN2at6native32elementwise_kernel_manual_unrollILi128ELi4EZNS0_15gpu_kernel_implIZZZNS0_15sin_kernel_cudaERNS_18TensorIteratorBaseEENKUlvE0_clEvENKUlvE2_clEvEUlN3c108BFloat16EE_EEvS4_RKT_EUlibE0_EEviT1_
                                        ; -- End function
	.set _ZN2at6native32elementwise_kernel_manual_unrollILi128ELi4EZNS0_15gpu_kernel_implIZZZNS0_15sin_kernel_cudaERNS_18TensorIteratorBaseEENKUlvE0_clEvENKUlvE2_clEvEUlN3c108BFloat16EE_EEvS4_RKT_EUlibE0_EEviT1_.num_vgpr, 36
	.set _ZN2at6native32elementwise_kernel_manual_unrollILi128ELi4EZNS0_15gpu_kernel_implIZZZNS0_15sin_kernel_cudaERNS_18TensorIteratorBaseEENKUlvE0_clEvENKUlvE2_clEvEUlN3c108BFloat16EE_EEvS4_RKT_EUlibE0_EEviT1_.num_agpr, 0
	.set _ZN2at6native32elementwise_kernel_manual_unrollILi128ELi4EZNS0_15gpu_kernel_implIZZZNS0_15sin_kernel_cudaERNS_18TensorIteratorBaseEENKUlvE0_clEvENKUlvE2_clEvEUlN3c108BFloat16EE_EEvS4_RKT_EUlibE0_EEviT1_.numbered_sgpr, 68
	.set _ZN2at6native32elementwise_kernel_manual_unrollILi128ELi4EZNS0_15gpu_kernel_implIZZZNS0_15sin_kernel_cudaERNS_18TensorIteratorBaseEENKUlvE0_clEvENKUlvE2_clEvEUlN3c108BFloat16EE_EEvS4_RKT_EUlibE0_EEviT1_.num_named_barrier, 0
	.set _ZN2at6native32elementwise_kernel_manual_unrollILi128ELi4EZNS0_15gpu_kernel_implIZZZNS0_15sin_kernel_cudaERNS_18TensorIteratorBaseEENKUlvE0_clEvENKUlvE2_clEvEUlN3c108BFloat16EE_EEvS4_RKT_EUlibE0_EEviT1_.private_seg_size, 0
	.set _ZN2at6native32elementwise_kernel_manual_unrollILi128ELi4EZNS0_15gpu_kernel_implIZZZNS0_15sin_kernel_cudaERNS_18TensorIteratorBaseEENKUlvE0_clEvENKUlvE2_clEvEUlN3c108BFloat16EE_EEvS4_RKT_EUlibE0_EEviT1_.uses_vcc, 1
	.set _ZN2at6native32elementwise_kernel_manual_unrollILi128ELi4EZNS0_15gpu_kernel_implIZZZNS0_15sin_kernel_cudaERNS_18TensorIteratorBaseEENKUlvE0_clEvENKUlvE2_clEvEUlN3c108BFloat16EE_EEvS4_RKT_EUlibE0_EEviT1_.uses_flat_scratch, 0
	.set _ZN2at6native32elementwise_kernel_manual_unrollILi128ELi4EZNS0_15gpu_kernel_implIZZZNS0_15sin_kernel_cudaERNS_18TensorIteratorBaseEENKUlvE0_clEvENKUlvE2_clEvEUlN3c108BFloat16EE_EEvS4_RKT_EUlibE0_EEviT1_.has_dyn_sized_stack, 0
	.set _ZN2at6native32elementwise_kernel_manual_unrollILi128ELi4EZNS0_15gpu_kernel_implIZZZNS0_15sin_kernel_cudaERNS_18TensorIteratorBaseEENKUlvE0_clEvENKUlvE2_clEvEUlN3c108BFloat16EE_EEvS4_RKT_EUlibE0_EEviT1_.has_recursion, 0
	.set _ZN2at6native32elementwise_kernel_manual_unrollILi128ELi4EZNS0_15gpu_kernel_implIZZZNS0_15sin_kernel_cudaERNS_18TensorIteratorBaseEENKUlvE0_clEvENKUlvE2_clEvEUlN3c108BFloat16EE_EEvS4_RKT_EUlibE0_EEviT1_.has_indirect_call, 0
	.section	.AMDGPU.csdata,"",@progbits
; Kernel info:
; codeLenInByte = 57948
; TotalNumSgprs: 70
; NumVgprs: 36
; ScratchSize: 0
; MemoryBound: 0
; FloatMode: 240
; IeeeMode: 1
; LDSByteSize: 0 bytes/workgroup (compile time only)
; SGPRBlocks: 0
; VGPRBlocks: 2
; NumSGPRsForWavesPerEU: 70
; NumVGPRsForWavesPerEU: 36
; NamedBarCnt: 0
; Occupancy: 16
; WaveLimiterHint : 1
; COMPUTE_PGM_RSRC2:SCRATCH_EN: 0
; COMPUTE_PGM_RSRC2:USER_SGPR: 2
; COMPUTE_PGM_RSRC2:TRAP_HANDLER: 0
; COMPUTE_PGM_RSRC2:TGID_X_EN: 1
; COMPUTE_PGM_RSRC2:TGID_Y_EN: 0
; COMPUTE_PGM_RSRC2:TGID_Z_EN: 0
; COMPUTE_PGM_RSRC2:TIDIG_COMP_CNT: 0
	.text
	.p2alignl 7, 3214868480
	.fill 96, 4, 3214868480
	.section	.AMDGPU.gpr_maximums,"",@progbits
	.set amdgpu.max_num_vgpr, 82
	.set amdgpu.max_num_agpr, 0
	.set amdgpu.max_num_sgpr, 32
	.text
	.type	__hip_cuid_f79a194c1d428526,@object ; @__hip_cuid_f79a194c1d428526
	.section	.bss,"aw",@nobits
	.globl	__hip_cuid_f79a194c1d428526
__hip_cuid_f79a194c1d428526:
	.byte	0                               ; 0x0
	.size	__hip_cuid_f79a194c1d428526, 1

	.ident	"AMD clang version 22.0.0git (https://github.com/RadeonOpenCompute/llvm-project roc-7.2.4 26084 f58b06dce1f9c15707c5f808fd002e18c2accf7e)"
	.section	".note.GNU-stack","",@progbits
	.addrsig
	.addrsig_sym __hip_cuid_f79a194c1d428526
	.amdgpu_metadata
---
amdhsa.kernels:
  - .args:
      - .offset:         0
        .size:           4
        .value_kind:     by_value
      - .offset:         4
        .size:           1
        .value_kind:     by_value
      - .offset:         8
        .size:           16
        .value_kind:     by_value
    .group_segment_fixed_size: 0
    .kernarg_segment_align: 8
    .kernarg_segment_size: 24
    .language:       OpenCL C
    .language_version:
      - 2
      - 0
    .max_flat_workgroup_size: 256
    .name:           _ZN2at6native29vectorized_elementwise_kernelILi16EZZZNS0_15sin_kernel_cudaERNS_18TensorIteratorBaseEENKUlvE0_clEvENKUlvE_clEvEUldE_St5arrayIPcLm2EEEEviT0_T1_
    .private_segment_fixed_size: 0
    .sgpr_count:     18
    .sgpr_spill_count: 0
    .symbol:         _ZN2at6native29vectorized_elementwise_kernelILi16EZZZNS0_15sin_kernel_cudaERNS_18TensorIteratorBaseEENKUlvE0_clEvENKUlvE_clEvEUldE_St5arrayIPcLm2EEEEviT0_T1_.kd
    .uniform_work_group_size: 1
    .uses_dynamic_stack: false
    .vgpr_count:     68
    .vgpr_spill_count: 0
    .wavefront_size: 32
  - .args:
      - .offset:         0
        .size:           4
        .value_kind:     by_value
      - .offset:         4
        .size:           1
        .value_kind:     by_value
      - .offset:         8
        .size:           16
        .value_kind:     by_value
    .group_segment_fixed_size: 0
    .kernarg_segment_align: 8
    .kernarg_segment_size: 24
    .language:       OpenCL C
    .language_version:
      - 2
      - 0
    .max_flat_workgroup_size: 256
    .name:           _ZN2at6native29vectorized_elementwise_kernelILi8EZZZNS0_15sin_kernel_cudaERNS_18TensorIteratorBaseEENKUlvE0_clEvENKUlvE_clEvEUldE_St5arrayIPcLm2EEEEviT0_T1_
    .private_segment_fixed_size: 0
    .sgpr_count:     18
    .sgpr_spill_count: 0
    .symbol:         _ZN2at6native29vectorized_elementwise_kernelILi8EZZZNS0_15sin_kernel_cudaERNS_18TensorIteratorBaseEENKUlvE0_clEvENKUlvE_clEvEUldE_St5arrayIPcLm2EEEEviT0_T1_.kd
    .uniform_work_group_size: 1
    .uses_dynamic_stack: false
    .vgpr_count:     68
    .vgpr_spill_count: 0
    .wavefront_size: 32
  - .args:
      - .offset:         0
        .size:           4
        .value_kind:     by_value
      - .offset:         4
        .size:           1
        .value_kind:     by_value
      - .offset:         8
        .size:           16
        .value_kind:     by_value
    .group_segment_fixed_size: 0
    .kernarg_segment_align: 8
    .kernarg_segment_size: 24
    .language:       OpenCL C
    .language_version:
      - 2
      - 0
    .max_flat_workgroup_size: 256
    .name:           _ZN2at6native29vectorized_elementwise_kernelILi4EZZZNS0_15sin_kernel_cudaERNS_18TensorIteratorBaseEENKUlvE0_clEvENKUlvE_clEvEUldE_St5arrayIPcLm2EEEEviT0_T1_
    .private_segment_fixed_size: 0
    .sgpr_count:     18
    .sgpr_spill_count: 0
    .symbol:         _ZN2at6native29vectorized_elementwise_kernelILi4EZZZNS0_15sin_kernel_cudaERNS_18TensorIteratorBaseEENKUlvE0_clEvENKUlvE_clEvEUldE_St5arrayIPcLm2EEEEviT0_T1_.kd
    .uniform_work_group_size: 1
    .uses_dynamic_stack: false
    .vgpr_count:     68
    .vgpr_spill_count: 0
    .wavefront_size: 32
  - .args:
      - .offset:         0
        .size:           4
        .value_kind:     by_value
      - .offset:         4
        .size:           1
        .value_kind:     by_value
      - .offset:         8
        .size:           16
        .value_kind:     by_value
    .group_segment_fixed_size: 0
    .kernarg_segment_align: 8
    .kernarg_segment_size: 24
    .language:       OpenCL C
    .language_version:
      - 2
      - 0
    .max_flat_workgroup_size: 256
    .name:           _ZN2at6native29vectorized_elementwise_kernelILi2EZZZNS0_15sin_kernel_cudaERNS_18TensorIteratorBaseEENKUlvE0_clEvENKUlvE_clEvEUldE_St5arrayIPcLm2EEEEviT0_T1_
    .private_segment_fixed_size: 0
    .sgpr_count:     18
    .sgpr_spill_count: 0
    .symbol:         _ZN2at6native29vectorized_elementwise_kernelILi2EZZZNS0_15sin_kernel_cudaERNS_18TensorIteratorBaseEENKUlvE0_clEvENKUlvE_clEvEUldE_St5arrayIPcLm2EEEEviT0_T1_.kd
    .uniform_work_group_size: 1
    .uses_dynamic_stack: false
    .vgpr_count:     68
    .vgpr_spill_count: 0
    .wavefront_size: 32
  - .args:
      - .offset:         0
        .size:           4
        .value_kind:     by_value
      - .offset:         4
        .size:           1
        .value_kind:     by_value
      - .offset:         8
        .size:           16
        .value_kind:     by_value
      - .offset:         24
        .size:           1
        .value_kind:     by_value
      - .offset:         25
        .size:           1
        .value_kind:     by_value
      - .offset:         26
        .size:           1
        .value_kind:     by_value
      - .offset:         27
        .size:           1
        .value_kind:     by_value
    .group_segment_fixed_size: 0
    .kernarg_segment_align: 8
    .kernarg_segment_size: 28
    .language:       OpenCL C
    .language_version:
      - 2
      - 0
    .max_flat_workgroup_size: 256
    .name:           _ZN2at6native27unrolled_elementwise_kernelIZZZNS0_15sin_kernel_cudaERNS_18TensorIteratorBaseEENKUlvE0_clEvENKUlvE_clEvEUldE_St5arrayIPcLm2EELi4E23TrivialOffsetCalculatorILi1EjESB_NS0_6memory15LoadWithoutCastENSC_16StoreWithoutCastEEEviT_T0_T2_T3_T4_T5_
    .private_segment_fixed_size: 0
    .sgpr_count:     12
    .sgpr_spill_count: 0
    .symbol:         _ZN2at6native27unrolled_elementwise_kernelIZZZNS0_15sin_kernel_cudaERNS_18TensorIteratorBaseEENKUlvE0_clEvENKUlvE_clEvEUldE_St5arrayIPcLm2EELi4E23TrivialOffsetCalculatorILi1EjESB_NS0_6memory15LoadWithoutCastENSC_16StoreWithoutCastEEEviT_T0_T2_T3_T4_T5_.kd
    .uniform_work_group_size: 1
    .uses_dynamic_stack: false
    .vgpr_count:     48
    .vgpr_spill_count: 0
    .wavefront_size: 32
  - .args:
      - .offset:         0
        .size:           4
        .value_kind:     by_value
      - .offset:         8
        .size:           352
        .value_kind:     by_value
    .group_segment_fixed_size: 0
    .kernarg_segment_align: 8
    .kernarg_segment_size: 360
    .language:       OpenCL C
    .language_version:
      - 2
      - 0
    .max_flat_workgroup_size: 128
    .name:           _ZN2at6native32elementwise_kernel_manual_unrollILi128ELi4EZNS0_22gpu_kernel_impl_nocastIZZZNS0_15sin_kernel_cudaERNS_18TensorIteratorBaseEENKUlvE0_clEvENKUlvE_clEvEUldE_EEvS4_RKT_EUlibE_EEviT1_
    .private_segment_fixed_size: 0
    .sgpr_count:     62
    .sgpr_spill_count: 0
    .symbol:         _ZN2at6native32elementwise_kernel_manual_unrollILi128ELi4EZNS0_22gpu_kernel_impl_nocastIZZZNS0_15sin_kernel_cudaERNS_18TensorIteratorBaseEENKUlvE0_clEvENKUlvE_clEvEUldE_EEvS4_RKT_EUlibE_EEviT1_.kd
    .uniform_work_group_size: 1
    .uses_dynamic_stack: false
    .vgpr_count:     64
    .vgpr_spill_count: 0
    .wavefront_size: 32
  - .args:
      - .offset:         0
        .size:           4
        .value_kind:     by_value
      - .offset:         8
        .size:           32
        .value_kind:     by_value
    .group_segment_fixed_size: 0
    .kernarg_segment_align: 8
    .kernarg_segment_size: 40
    .language:       OpenCL C
    .language_version:
      - 2
      - 0
    .max_flat_workgroup_size: 128
    .name:           _ZN2at6native32elementwise_kernel_manual_unrollILi128ELi4EZNS0_15gpu_kernel_implIZZZNS0_15sin_kernel_cudaERNS_18TensorIteratorBaseEENKUlvE0_clEvENKUlvE_clEvEUldE_EEvS4_RKT_EUlibE_EEviT1_
    .private_segment_fixed_size: 0
    .sgpr_count:     28
    .sgpr_spill_count: 0
    .symbol:         _ZN2at6native32elementwise_kernel_manual_unrollILi128ELi4EZNS0_15gpu_kernel_implIZZZNS0_15sin_kernel_cudaERNS_18TensorIteratorBaseEENKUlvE0_clEvENKUlvE_clEvEUldE_EEvS4_RKT_EUlibE_EEviT1_.kd
    .uniform_work_group_size: 1
    .uses_dynamic_stack: false
    .vgpr_count:     56
    .vgpr_spill_count: 0
    .wavefront_size: 32
  - .args:
      - .offset:         0
        .size:           4
        .value_kind:     by_value
      - .offset:         8
        .size:           352
        .value_kind:     by_value
    .group_segment_fixed_size: 0
    .kernarg_segment_align: 8
    .kernarg_segment_size: 360
    .language:       OpenCL C
    .language_version:
      - 2
      - 0
    .max_flat_workgroup_size: 128
    .name:           _ZN2at6native32elementwise_kernel_manual_unrollILi128ELi4EZNS0_15gpu_kernel_implIZZZNS0_15sin_kernel_cudaERNS_18TensorIteratorBaseEENKUlvE0_clEvENKUlvE_clEvEUldE_EEvS4_RKT_EUlibE0_EEviT1_
    .private_segment_fixed_size: 0
    .sgpr_count:     70
    .sgpr_spill_count: 0
    .symbol:         _ZN2at6native32elementwise_kernel_manual_unrollILi128ELi4EZNS0_15gpu_kernel_implIZZZNS0_15sin_kernel_cudaERNS_18TensorIteratorBaseEENKUlvE0_clEvENKUlvE_clEvEUldE_EEvS4_RKT_EUlibE0_EEviT1_.kd
    .uniform_work_group_size: 1
    .uses_dynamic_stack: false
    .vgpr_count:     62
    .vgpr_spill_count: 0
    .wavefront_size: 32
  - .args:
      - .offset:         0
        .size:           4
        .value_kind:     by_value
      - .offset:         4
        .size:           1
        .value_kind:     by_value
      - .offset:         8
        .size:           16
        .value_kind:     by_value
    .group_segment_fixed_size: 0
    .kernarg_segment_align: 8
    .kernarg_segment_size: 24
    .language:       OpenCL C
    .language_version:
      - 2
      - 0
    .max_flat_workgroup_size: 256
    .name:           _ZN2at6native29vectorized_elementwise_kernelILi16EZZZNS0_15sin_kernel_cudaERNS_18TensorIteratorBaseEENKUlvE0_clEvENKUlvE0_clEvEUlfE_St5arrayIPcLm2EEEEviT0_T1_
    .private_segment_fixed_size: 0
    .sgpr_count:     26
    .sgpr_spill_count: 0
    .symbol:         _ZN2at6native29vectorized_elementwise_kernelILi16EZZZNS0_15sin_kernel_cudaERNS_18TensorIteratorBaseEENKUlvE0_clEvENKUlvE0_clEvEUlfE_St5arrayIPcLm2EEEEviT0_T1_.kd
    .uniform_work_group_size: 1
    .uses_dynamic_stack: false
    .vgpr_count:     33
    .vgpr_spill_count: 0
    .wavefront_size: 32
  - .args:
      - .offset:         0
        .size:           4
        .value_kind:     by_value
      - .offset:         4
        .size:           1
        .value_kind:     by_value
      - .offset:         8
        .size:           16
        .value_kind:     by_value
    .group_segment_fixed_size: 0
    .kernarg_segment_align: 8
    .kernarg_segment_size: 24
    .language:       OpenCL C
    .language_version:
      - 2
      - 0
    .max_flat_workgroup_size: 256
    .name:           _ZN2at6native29vectorized_elementwise_kernelILi8EZZZNS0_15sin_kernel_cudaERNS_18TensorIteratorBaseEENKUlvE0_clEvENKUlvE0_clEvEUlfE_St5arrayIPcLm2EEEEviT0_T1_
    .private_segment_fixed_size: 0
    .sgpr_count:     26
    .sgpr_spill_count: 0
    .symbol:         _ZN2at6native29vectorized_elementwise_kernelILi8EZZZNS0_15sin_kernel_cudaERNS_18TensorIteratorBaseEENKUlvE0_clEvENKUlvE0_clEvEUlfE_St5arrayIPcLm2EEEEviT0_T1_.kd
    .uniform_work_group_size: 1
    .uses_dynamic_stack: false
    .vgpr_count:     33
    .vgpr_spill_count: 0
    .wavefront_size: 32
  - .args:
      - .offset:         0
        .size:           4
        .value_kind:     by_value
      - .offset:         4
        .size:           1
        .value_kind:     by_value
      - .offset:         8
        .size:           16
        .value_kind:     by_value
    .group_segment_fixed_size: 0
    .kernarg_segment_align: 8
    .kernarg_segment_size: 24
    .language:       OpenCL C
    .language_version:
      - 2
      - 0
    .max_flat_workgroup_size: 256
    .name:           _ZN2at6native29vectorized_elementwise_kernelILi4EZZZNS0_15sin_kernel_cudaERNS_18TensorIteratorBaseEENKUlvE0_clEvENKUlvE0_clEvEUlfE_St5arrayIPcLm2EEEEviT0_T1_
    .private_segment_fixed_size: 0
    .sgpr_count:     26
    .sgpr_spill_count: 0
    .symbol:         _ZN2at6native29vectorized_elementwise_kernelILi4EZZZNS0_15sin_kernel_cudaERNS_18TensorIteratorBaseEENKUlvE0_clEvENKUlvE0_clEvEUlfE_St5arrayIPcLm2EEEEviT0_T1_.kd
    .uniform_work_group_size: 1
    .uses_dynamic_stack: false
    .vgpr_count:     33
    .vgpr_spill_count: 0
    .wavefront_size: 32
  - .args:
      - .offset:         0
        .size:           4
        .value_kind:     by_value
      - .offset:         4
        .size:           1
        .value_kind:     by_value
      - .offset:         8
        .size:           16
        .value_kind:     by_value
    .group_segment_fixed_size: 0
    .kernarg_segment_align: 8
    .kernarg_segment_size: 24
    .language:       OpenCL C
    .language_version:
      - 2
      - 0
    .max_flat_workgroup_size: 256
    .name:           _ZN2at6native29vectorized_elementwise_kernelILi2EZZZNS0_15sin_kernel_cudaERNS_18TensorIteratorBaseEENKUlvE0_clEvENKUlvE0_clEvEUlfE_St5arrayIPcLm2EEEEviT0_T1_
    .private_segment_fixed_size: 0
    .sgpr_count:     26
    .sgpr_spill_count: 0
    .symbol:         _ZN2at6native29vectorized_elementwise_kernelILi2EZZZNS0_15sin_kernel_cudaERNS_18TensorIteratorBaseEENKUlvE0_clEvENKUlvE0_clEvEUlfE_St5arrayIPcLm2EEEEviT0_T1_.kd
    .uniform_work_group_size: 1
    .uses_dynamic_stack: false
    .vgpr_count:     33
    .vgpr_spill_count: 0
    .wavefront_size: 32
  - .args:
      - .offset:         0
        .size:           4
        .value_kind:     by_value
      - .offset:         4
        .size:           1
        .value_kind:     by_value
      - .offset:         8
        .size:           16
        .value_kind:     by_value
      - .offset:         24
        .size:           1
        .value_kind:     by_value
      - .offset:         25
        .size:           1
        .value_kind:     by_value
      - .offset:         26
        .size:           1
        .value_kind:     by_value
      - .offset:         27
        .size:           1
        .value_kind:     by_value
    .group_segment_fixed_size: 0
    .kernarg_segment_align: 8
    .kernarg_segment_size: 28
    .language:       OpenCL C
    .language_version:
      - 2
      - 0
    .max_flat_workgroup_size: 256
    .name:           _ZN2at6native27unrolled_elementwise_kernelIZZZNS0_15sin_kernel_cudaERNS_18TensorIteratorBaseEENKUlvE0_clEvENKUlvE0_clEvEUlfE_St5arrayIPcLm2EELi4E23TrivialOffsetCalculatorILi1EjESB_NS0_6memory15LoadWithoutCastENSC_16StoreWithoutCastEEEviT_T0_T2_T3_T4_T5_
    .private_segment_fixed_size: 0
    .sgpr_count:     11
    .sgpr_spill_count: 0
    .symbol:         _ZN2at6native27unrolled_elementwise_kernelIZZZNS0_15sin_kernel_cudaERNS_18TensorIteratorBaseEENKUlvE0_clEvENKUlvE0_clEvEUlfE_St5arrayIPcLm2EELi4E23TrivialOffsetCalculatorILi1EjESB_NS0_6memory15LoadWithoutCastENSC_16StoreWithoutCastEEEviT_T0_T2_T3_T4_T5_.kd
    .uniform_work_group_size: 1
    .uses_dynamic_stack: false
    .vgpr_count:     26
    .vgpr_spill_count: 0
    .wavefront_size: 32
  - .args:
      - .offset:         0
        .size:           4
        .value_kind:     by_value
      - .offset:         8
        .size:           352
        .value_kind:     by_value
    .group_segment_fixed_size: 0
    .kernarg_segment_align: 8
    .kernarg_segment_size: 360
    .language:       OpenCL C
    .language_version:
      - 2
      - 0
    .max_flat_workgroup_size: 128
    .name:           _ZN2at6native32elementwise_kernel_manual_unrollILi128ELi4EZNS0_22gpu_kernel_impl_nocastIZZZNS0_15sin_kernel_cudaERNS_18TensorIteratorBaseEENKUlvE0_clEvENKUlvE0_clEvEUlfE_EEvS4_RKT_EUlibE_EEviT1_
    .private_segment_fixed_size: 0
    .sgpr_count:     62
    .sgpr_spill_count: 0
    .symbol:         _ZN2at6native32elementwise_kernel_manual_unrollILi128ELi4EZNS0_22gpu_kernel_impl_nocastIZZZNS0_15sin_kernel_cudaERNS_18TensorIteratorBaseEENKUlvE0_clEvENKUlvE0_clEvEUlfE_EEvS4_RKT_EUlibE_EEviT1_.kd
    .uniform_work_group_size: 1
    .uses_dynamic_stack: false
    .vgpr_count:     34
    .vgpr_spill_count: 0
    .wavefront_size: 32
  - .args:
      - .offset:         0
        .size:           4
        .value_kind:     by_value
      - .offset:         8
        .size:           32
        .value_kind:     by_value
    .group_segment_fixed_size: 0
    .kernarg_segment_align: 8
    .kernarg_segment_size: 40
    .language:       OpenCL C
    .language_version:
      - 2
      - 0
    .max_flat_workgroup_size: 128
    .name:           _ZN2at6native32elementwise_kernel_manual_unrollILi128ELi4EZNS0_15gpu_kernel_implIZZZNS0_15sin_kernel_cudaERNS_18TensorIteratorBaseEENKUlvE0_clEvENKUlvE0_clEvEUlfE_EEvS4_RKT_EUlibE_EEviT1_
    .private_segment_fixed_size: 0
    .sgpr_count:     28
    .sgpr_spill_count: 0
    .symbol:         _ZN2at6native32elementwise_kernel_manual_unrollILi128ELi4EZNS0_15gpu_kernel_implIZZZNS0_15sin_kernel_cudaERNS_18TensorIteratorBaseEENKUlvE0_clEvENKUlvE0_clEvEUlfE_EEvS4_RKT_EUlibE_EEviT1_.kd
    .uniform_work_group_size: 1
    .uses_dynamic_stack: false
    .vgpr_count:     32
    .vgpr_spill_count: 0
    .wavefront_size: 32
  - .args:
      - .offset:         0
        .size:           4
        .value_kind:     by_value
      - .offset:         8
        .size:           352
        .value_kind:     by_value
    .group_segment_fixed_size: 0
    .kernarg_segment_align: 8
    .kernarg_segment_size: 360
    .language:       OpenCL C
    .language_version:
      - 2
      - 0
    .max_flat_workgroup_size: 128
    .name:           _ZN2at6native32elementwise_kernel_manual_unrollILi128ELi4EZNS0_15gpu_kernel_implIZZZNS0_15sin_kernel_cudaERNS_18TensorIteratorBaseEENKUlvE0_clEvENKUlvE0_clEvEUlfE_EEvS4_RKT_EUlibE0_EEviT1_
    .private_segment_fixed_size: 0
    .sgpr_count:     70
    .sgpr_spill_count: 0
    .symbol:         _ZN2at6native32elementwise_kernel_manual_unrollILi128ELi4EZNS0_15gpu_kernel_implIZZZNS0_15sin_kernel_cudaERNS_18TensorIteratorBaseEENKUlvE0_clEvENKUlvE0_clEvEUlfE_EEvS4_RKT_EUlibE0_EEviT1_.kd
    .uniform_work_group_size: 1
    .uses_dynamic_stack: false
    .vgpr_count:     36
    .vgpr_spill_count: 0
    .wavefront_size: 32
  - .args:
      - .offset:         0
        .size:           4
        .value_kind:     by_value
      - .offset:         4
        .size:           1
        .value_kind:     by_value
      - .offset:         8
        .size:           16
        .value_kind:     by_value
    .group_segment_fixed_size: 0
    .kernarg_segment_align: 8
    .kernarg_segment_size: 24
    .language:       OpenCL C
    .language_version:
      - 2
      - 0
    .max_flat_workgroup_size: 256
    .name:           _ZN2at6native29vectorized_elementwise_kernelILi16EZZZNS0_15sin_kernel_cudaERNS_18TensorIteratorBaseEENKUlvE0_clEvENKUlvE1_clEvEUlN3c104HalfEE_St5arrayIPcLm2EEEEviT0_T1_
    .private_segment_fixed_size: 0
    .sgpr_count:     35
    .sgpr_spill_count: 0
    .symbol:         _ZN2at6native29vectorized_elementwise_kernelILi16EZZZNS0_15sin_kernel_cudaERNS_18TensorIteratorBaseEENKUlvE0_clEvENKUlvE1_clEvEUlN3c104HalfEE_St5arrayIPcLm2EEEEviT0_T1_.kd
    .uniform_work_group_size: 1
    .uses_dynamic_stack: false
    .vgpr_count:     82
    .vgpr_spill_count: 0
    .wavefront_size: 32
  - .args:
      - .offset:         0
        .size:           4
        .value_kind:     by_value
      - .offset:         4
        .size:           1
        .value_kind:     by_value
      - .offset:         8
        .size:           16
        .value_kind:     by_value
    .group_segment_fixed_size: 0
    .kernarg_segment_align: 8
    .kernarg_segment_size: 24
    .language:       OpenCL C
    .language_version:
      - 2
      - 0
    .max_flat_workgroup_size: 256
    .name:           _ZN2at6native29vectorized_elementwise_kernelILi8EZZZNS0_15sin_kernel_cudaERNS_18TensorIteratorBaseEENKUlvE0_clEvENKUlvE1_clEvEUlN3c104HalfEE_St5arrayIPcLm2EEEEviT0_T1_
    .private_segment_fixed_size: 0
    .sgpr_count:     35
    .sgpr_spill_count: 0
    .symbol:         _ZN2at6native29vectorized_elementwise_kernelILi8EZZZNS0_15sin_kernel_cudaERNS_18TensorIteratorBaseEENKUlvE0_clEvENKUlvE1_clEvEUlN3c104HalfEE_St5arrayIPcLm2EEEEviT0_T1_.kd
    .uniform_work_group_size: 1
    .uses_dynamic_stack: false
    .vgpr_count:     82
    .vgpr_spill_count: 0
    .wavefront_size: 32
  - .args:
      - .offset:         0
        .size:           4
        .value_kind:     by_value
      - .offset:         4
        .size:           1
        .value_kind:     by_value
      - .offset:         8
        .size:           16
        .value_kind:     by_value
    .group_segment_fixed_size: 0
    .kernarg_segment_align: 8
    .kernarg_segment_size: 24
    .language:       OpenCL C
    .language_version:
      - 2
      - 0
    .max_flat_workgroup_size: 256
    .name:           _ZN2at6native29vectorized_elementwise_kernelILi4EZZZNS0_15sin_kernel_cudaERNS_18TensorIteratorBaseEENKUlvE0_clEvENKUlvE1_clEvEUlN3c104HalfEE_St5arrayIPcLm2EEEEviT0_T1_
    .private_segment_fixed_size: 0
    .sgpr_count:     35
    .sgpr_spill_count: 0
    .symbol:         _ZN2at6native29vectorized_elementwise_kernelILi4EZZZNS0_15sin_kernel_cudaERNS_18TensorIteratorBaseEENKUlvE0_clEvENKUlvE1_clEvEUlN3c104HalfEE_St5arrayIPcLm2EEEEviT0_T1_.kd
    .uniform_work_group_size: 1
    .uses_dynamic_stack: false
    .vgpr_count:     56
    .vgpr_spill_count: 0
    .wavefront_size: 32
  - .args:
      - .offset:         0
        .size:           4
        .value_kind:     by_value
      - .offset:         4
        .size:           1
        .value_kind:     by_value
      - .offset:         8
        .size:           16
        .value_kind:     by_value
    .group_segment_fixed_size: 0
    .kernarg_segment_align: 8
    .kernarg_segment_size: 24
    .language:       OpenCL C
    .language_version:
      - 2
      - 0
    .max_flat_workgroup_size: 256
    .name:           _ZN2at6native29vectorized_elementwise_kernelILi2EZZZNS0_15sin_kernel_cudaERNS_18TensorIteratorBaseEENKUlvE0_clEvENKUlvE1_clEvEUlN3c104HalfEE_St5arrayIPcLm2EEEEviT0_T1_
    .private_segment_fixed_size: 0
    .sgpr_count:     35
    .sgpr_spill_count: 0
    .symbol:         _ZN2at6native29vectorized_elementwise_kernelILi2EZZZNS0_15sin_kernel_cudaERNS_18TensorIteratorBaseEENKUlvE0_clEvENKUlvE1_clEvEUlN3c104HalfEE_St5arrayIPcLm2EEEEviT0_T1_.kd
    .uniform_work_group_size: 1
    .uses_dynamic_stack: false
    .vgpr_count:     55
    .vgpr_spill_count: 0
    .wavefront_size: 32
  - .args:
      - .offset:         0
        .size:           4
        .value_kind:     by_value
      - .offset:         4
        .size:           1
        .value_kind:     by_value
      - .offset:         8
        .size:           16
        .value_kind:     by_value
      - .offset:         24
        .size:           1
        .value_kind:     by_value
      - .offset:         25
        .size:           1
        .value_kind:     by_value
      - .offset:         26
        .size:           1
        .value_kind:     by_value
      - .offset:         27
        .size:           1
        .value_kind:     by_value
    .group_segment_fixed_size: 0
    .kernarg_segment_align: 8
    .kernarg_segment_size: 28
    .language:       OpenCL C
    .language_version:
      - 2
      - 0
    .max_flat_workgroup_size: 256
    .name:           _ZN2at6native27unrolled_elementwise_kernelIZZZNS0_15sin_kernel_cudaERNS_18TensorIteratorBaseEENKUlvE0_clEvENKUlvE1_clEvEUlN3c104HalfEE_St5arrayIPcLm2EELi4E23TrivialOffsetCalculatorILi1EjESD_NS0_6memory15LoadWithoutCastENSE_16StoreWithoutCastEEEviT_T0_T2_T3_T4_T5_
    .private_segment_fixed_size: 0
    .sgpr_count:     11
    .sgpr_spill_count: 0
    .symbol:         _ZN2at6native27unrolled_elementwise_kernelIZZZNS0_15sin_kernel_cudaERNS_18TensorIteratorBaseEENKUlvE0_clEvENKUlvE1_clEvEUlN3c104HalfEE_St5arrayIPcLm2EELi4E23TrivialOffsetCalculatorILi1EjESD_NS0_6memory15LoadWithoutCastENSE_16StoreWithoutCastEEEviT_T0_T2_T3_T4_T5_.kd
    .uniform_work_group_size: 1
    .uses_dynamic_stack: false
    .vgpr_count:     24
    .vgpr_spill_count: 0
    .wavefront_size: 32
  - .args:
      - .offset:         0
        .size:           4
        .value_kind:     by_value
      - .offset:         8
        .size:           352
        .value_kind:     by_value
    .group_segment_fixed_size: 0
    .kernarg_segment_align: 8
    .kernarg_segment_size: 360
    .language:       OpenCL C
    .language_version:
      - 2
      - 0
    .max_flat_workgroup_size: 128
    .name:           _ZN2at6native32elementwise_kernel_manual_unrollILi128ELi8EZNS0_22gpu_kernel_impl_nocastIZZZNS0_15sin_kernel_cudaERNS_18TensorIteratorBaseEENKUlvE0_clEvENKUlvE1_clEvEUlN3c104HalfEE_EEvS4_RKT_EUlibE_EEviT1_
    .private_segment_fixed_size: 0
    .sgpr_count:     62
    .sgpr_spill_count: 0
    .symbol:         _ZN2at6native32elementwise_kernel_manual_unrollILi128ELi8EZNS0_22gpu_kernel_impl_nocastIZZZNS0_15sin_kernel_cudaERNS_18TensorIteratorBaseEENKUlvE0_clEvENKUlvE1_clEvEUlN3c104HalfEE_EEvS4_RKT_EUlibE_EEviT1_.kd
    .uniform_work_group_size: 1
    .uses_dynamic_stack: false
    .vgpr_count:     56
    .vgpr_spill_count: 0
    .wavefront_size: 32
  - .args:
      - .offset:         0
        .size:           4
        .value_kind:     by_value
      - .offset:         8
        .size:           32
        .value_kind:     by_value
    .group_segment_fixed_size: 0
    .kernarg_segment_align: 8
    .kernarg_segment_size: 40
    .language:       OpenCL C
    .language_version:
      - 2
      - 0
    .max_flat_workgroup_size: 128
    .name:           _ZN2at6native32elementwise_kernel_manual_unrollILi128ELi4EZNS0_15gpu_kernel_implIZZZNS0_15sin_kernel_cudaERNS_18TensorIteratorBaseEENKUlvE0_clEvENKUlvE1_clEvEUlN3c104HalfEE_EEvS4_RKT_EUlibE_EEviT1_
    .private_segment_fixed_size: 0
    .sgpr_count:     28
    .sgpr_spill_count: 0
    .symbol:         _ZN2at6native32elementwise_kernel_manual_unrollILi128ELi4EZNS0_15gpu_kernel_implIZZZNS0_15sin_kernel_cudaERNS_18TensorIteratorBaseEENKUlvE0_clEvENKUlvE1_clEvEUlN3c104HalfEE_EEvS4_RKT_EUlibE_EEviT1_.kd
    .uniform_work_group_size: 1
    .uses_dynamic_stack: false
    .vgpr_count:     32
    .vgpr_spill_count: 0
    .wavefront_size: 32
  - .args:
      - .offset:         0
        .size:           4
        .value_kind:     by_value
      - .offset:         8
        .size:           352
        .value_kind:     by_value
    .group_segment_fixed_size: 0
    .kernarg_segment_align: 8
    .kernarg_segment_size: 360
    .language:       OpenCL C
    .language_version:
      - 2
      - 0
    .max_flat_workgroup_size: 128
    .name:           _ZN2at6native32elementwise_kernel_manual_unrollILi128ELi4EZNS0_15gpu_kernel_implIZZZNS0_15sin_kernel_cudaERNS_18TensorIteratorBaseEENKUlvE0_clEvENKUlvE1_clEvEUlN3c104HalfEE_EEvS4_RKT_EUlibE0_EEviT1_
    .private_segment_fixed_size: 0
    .sgpr_count:     70
    .sgpr_spill_count: 0
    .symbol:         _ZN2at6native32elementwise_kernel_manual_unrollILi128ELi4EZNS0_15gpu_kernel_implIZZZNS0_15sin_kernel_cudaERNS_18TensorIteratorBaseEENKUlvE0_clEvENKUlvE1_clEvEUlN3c104HalfEE_EEvS4_RKT_EUlibE0_EEviT1_.kd
    .uniform_work_group_size: 1
    .uses_dynamic_stack: false
    .vgpr_count:     36
    .vgpr_spill_count: 0
    .wavefront_size: 32
  - .args:
      - .offset:         0
        .size:           4
        .value_kind:     by_value
      - .offset:         4
        .size:           1
        .value_kind:     by_value
      - .offset:         8
        .size:           16
        .value_kind:     by_value
    .group_segment_fixed_size: 0
    .kernarg_segment_align: 8
    .kernarg_segment_size: 24
    .language:       OpenCL C
    .language_version:
      - 2
      - 0
    .max_flat_workgroup_size: 256
    .name:           _ZN2at6native29vectorized_elementwise_kernelILi16EZZZNS0_15sin_kernel_cudaERNS_18TensorIteratorBaseEENKUlvE0_clEvENKUlvE2_clEvEUlN3c108BFloat16EE_St5arrayIPcLm2EEEEviT0_T1_
    .private_segment_fixed_size: 0
    .sgpr_count:     35
    .sgpr_spill_count: 0
    .symbol:         _ZN2at6native29vectorized_elementwise_kernelILi16EZZZNS0_15sin_kernel_cudaERNS_18TensorIteratorBaseEENKUlvE0_clEvENKUlvE2_clEvEUlN3c108BFloat16EE_St5arrayIPcLm2EEEEviT0_T1_.kd
    .uniform_work_group_size: 1
    .uses_dynamic_stack: false
    .vgpr_count:     82
    .vgpr_spill_count: 0
    .wavefront_size: 32
  - .args:
      - .offset:         0
        .size:           4
        .value_kind:     by_value
      - .offset:         4
        .size:           1
        .value_kind:     by_value
      - .offset:         8
        .size:           16
        .value_kind:     by_value
    .group_segment_fixed_size: 0
    .kernarg_segment_align: 8
    .kernarg_segment_size: 24
    .language:       OpenCL C
    .language_version:
      - 2
      - 0
    .max_flat_workgroup_size: 256
    .name:           _ZN2at6native29vectorized_elementwise_kernelILi8EZZZNS0_15sin_kernel_cudaERNS_18TensorIteratorBaseEENKUlvE0_clEvENKUlvE2_clEvEUlN3c108BFloat16EE_St5arrayIPcLm2EEEEviT0_T1_
    .private_segment_fixed_size: 0
    .sgpr_count:     35
    .sgpr_spill_count: 0
    .symbol:         _ZN2at6native29vectorized_elementwise_kernelILi8EZZZNS0_15sin_kernel_cudaERNS_18TensorIteratorBaseEENKUlvE0_clEvENKUlvE2_clEvEUlN3c108BFloat16EE_St5arrayIPcLm2EEEEviT0_T1_.kd
    .uniform_work_group_size: 1
    .uses_dynamic_stack: false
    .vgpr_count:     82
    .vgpr_spill_count: 0
    .wavefront_size: 32
  - .args:
      - .offset:         0
        .size:           4
        .value_kind:     by_value
      - .offset:         4
        .size:           1
        .value_kind:     by_value
      - .offset:         8
        .size:           16
        .value_kind:     by_value
    .group_segment_fixed_size: 0
    .kernarg_segment_align: 8
    .kernarg_segment_size: 24
    .language:       OpenCL C
    .language_version:
      - 2
      - 0
    .max_flat_workgroup_size: 256
    .name:           _ZN2at6native29vectorized_elementwise_kernelILi4EZZZNS0_15sin_kernel_cudaERNS_18TensorIteratorBaseEENKUlvE0_clEvENKUlvE2_clEvEUlN3c108BFloat16EE_St5arrayIPcLm2EEEEviT0_T1_
    .private_segment_fixed_size: 0
    .sgpr_count:     35
    .sgpr_spill_count: 0
    .symbol:         _ZN2at6native29vectorized_elementwise_kernelILi4EZZZNS0_15sin_kernel_cudaERNS_18TensorIteratorBaseEENKUlvE0_clEvENKUlvE2_clEvEUlN3c108BFloat16EE_St5arrayIPcLm2EEEEviT0_T1_.kd
    .uniform_work_group_size: 1
    .uses_dynamic_stack: false
    .vgpr_count:     48
    .vgpr_spill_count: 0
    .wavefront_size: 32
  - .args:
      - .offset:         0
        .size:           4
        .value_kind:     by_value
      - .offset:         4
        .size:           1
        .value_kind:     by_value
      - .offset:         8
        .size:           16
        .value_kind:     by_value
    .group_segment_fixed_size: 0
    .kernarg_segment_align: 8
    .kernarg_segment_size: 24
    .language:       OpenCL C
    .language_version:
      - 2
      - 0
    .max_flat_workgroup_size: 256
    .name:           _ZN2at6native29vectorized_elementwise_kernelILi2EZZZNS0_15sin_kernel_cudaERNS_18TensorIteratorBaseEENKUlvE0_clEvENKUlvE2_clEvEUlN3c108BFloat16EE_St5arrayIPcLm2EEEEviT0_T1_
    .private_segment_fixed_size: 0
    .sgpr_count:     35
    .sgpr_spill_count: 0
    .symbol:         _ZN2at6native29vectorized_elementwise_kernelILi2EZZZNS0_15sin_kernel_cudaERNS_18TensorIteratorBaseEENKUlvE0_clEvENKUlvE2_clEvEUlN3c108BFloat16EE_St5arrayIPcLm2EEEEviT0_T1_.kd
    .uniform_work_group_size: 1
    .uses_dynamic_stack: false
    .vgpr_count:     48
    .vgpr_spill_count: 0
    .wavefront_size: 32
  - .args:
      - .offset:         0
        .size:           4
        .value_kind:     by_value
      - .offset:         4
        .size:           1
        .value_kind:     by_value
      - .offset:         8
        .size:           16
        .value_kind:     by_value
      - .offset:         24
        .size:           1
        .value_kind:     by_value
      - .offset:         25
        .size:           1
        .value_kind:     by_value
      - .offset:         26
        .size:           1
        .value_kind:     by_value
      - .offset:         27
        .size:           1
        .value_kind:     by_value
    .group_segment_fixed_size: 0
    .kernarg_segment_align: 8
    .kernarg_segment_size: 28
    .language:       OpenCL C
    .language_version:
      - 2
      - 0
    .max_flat_workgroup_size: 256
    .name:           _ZN2at6native27unrolled_elementwise_kernelIZZZNS0_15sin_kernel_cudaERNS_18TensorIteratorBaseEENKUlvE0_clEvENKUlvE2_clEvEUlN3c108BFloat16EE_St5arrayIPcLm2EELi4E23TrivialOffsetCalculatorILi1EjESD_NS0_6memory15LoadWithoutCastENSE_16StoreWithoutCastEEEviT_T0_T2_T3_T4_T5_
    .private_segment_fixed_size: 0
    .sgpr_count:     11
    .sgpr_spill_count: 0
    .symbol:         _ZN2at6native27unrolled_elementwise_kernelIZZZNS0_15sin_kernel_cudaERNS_18TensorIteratorBaseEENKUlvE0_clEvENKUlvE2_clEvEUlN3c108BFloat16EE_St5arrayIPcLm2EELi4E23TrivialOffsetCalculatorILi1EjESD_NS0_6memory15LoadWithoutCastENSE_16StoreWithoutCastEEEviT_T0_T2_T3_T4_T5_.kd
    .uniform_work_group_size: 1
    .uses_dynamic_stack: false
    .vgpr_count:     24
    .vgpr_spill_count: 0
    .wavefront_size: 32
  - .args:
      - .offset:         0
        .size:           4
        .value_kind:     by_value
      - .offset:         8
        .size:           352
        .value_kind:     by_value
    .group_segment_fixed_size: 0
    .kernarg_segment_align: 8
    .kernarg_segment_size: 360
    .language:       OpenCL C
    .language_version:
      - 2
      - 0
    .max_flat_workgroup_size: 128
    .name:           _ZN2at6native32elementwise_kernel_manual_unrollILi128ELi8EZNS0_22gpu_kernel_impl_nocastIZZZNS0_15sin_kernel_cudaERNS_18TensorIteratorBaseEENKUlvE0_clEvENKUlvE2_clEvEUlN3c108BFloat16EE_EEvS4_RKT_EUlibE_EEviT1_
    .private_segment_fixed_size: 0
    .sgpr_count:     62
    .sgpr_spill_count: 0
    .symbol:         _ZN2at6native32elementwise_kernel_manual_unrollILi128ELi8EZNS0_22gpu_kernel_impl_nocastIZZZNS0_15sin_kernel_cudaERNS_18TensorIteratorBaseEENKUlvE0_clEvENKUlvE2_clEvEUlN3c108BFloat16EE_EEvS4_RKT_EUlibE_EEviT1_.kd
    .uniform_work_group_size: 1
    .uses_dynamic_stack: false
    .vgpr_count:     54
    .vgpr_spill_count: 0
    .wavefront_size: 32
  - .args:
      - .offset:         0
        .size:           4
        .value_kind:     by_value
      - .offset:         8
        .size:           32
        .value_kind:     by_value
    .group_segment_fixed_size: 0
    .kernarg_segment_align: 8
    .kernarg_segment_size: 40
    .language:       OpenCL C
    .language_version:
      - 2
      - 0
    .max_flat_workgroup_size: 128
    .name:           _ZN2at6native32elementwise_kernel_manual_unrollILi128ELi4EZNS0_15gpu_kernel_implIZZZNS0_15sin_kernel_cudaERNS_18TensorIteratorBaseEENKUlvE0_clEvENKUlvE2_clEvEUlN3c108BFloat16EE_EEvS4_RKT_EUlibE_EEviT1_
    .private_segment_fixed_size: 0
    .sgpr_count:     28
    .sgpr_spill_count: 0
    .symbol:         _ZN2at6native32elementwise_kernel_manual_unrollILi128ELi4EZNS0_15gpu_kernel_implIZZZNS0_15sin_kernel_cudaERNS_18TensorIteratorBaseEENKUlvE0_clEvENKUlvE2_clEvEUlN3c108BFloat16EE_EEvS4_RKT_EUlibE_EEviT1_.kd
    .uniform_work_group_size: 1
    .uses_dynamic_stack: false
    .vgpr_count:     32
    .vgpr_spill_count: 0
    .wavefront_size: 32
  - .args:
      - .offset:         0
        .size:           4
        .value_kind:     by_value
      - .offset:         8
        .size:           352
        .value_kind:     by_value
    .group_segment_fixed_size: 0
    .kernarg_segment_align: 8
    .kernarg_segment_size: 360
    .language:       OpenCL C
    .language_version:
      - 2
      - 0
    .max_flat_workgroup_size: 128
    .name:           _ZN2at6native32elementwise_kernel_manual_unrollILi128ELi4EZNS0_15gpu_kernel_implIZZZNS0_15sin_kernel_cudaERNS_18TensorIteratorBaseEENKUlvE0_clEvENKUlvE2_clEvEUlN3c108BFloat16EE_EEvS4_RKT_EUlibE0_EEviT1_
    .private_segment_fixed_size: 0
    .sgpr_count:     70
    .sgpr_spill_count: 0
    .symbol:         _ZN2at6native32elementwise_kernel_manual_unrollILi128ELi4EZNS0_15gpu_kernel_implIZZZNS0_15sin_kernel_cudaERNS_18TensorIteratorBaseEENKUlvE0_clEvENKUlvE2_clEvEUlN3c108BFloat16EE_EEvS4_RKT_EUlibE0_EEviT1_.kd
    .uniform_work_group_size: 1
    .uses_dynamic_stack: false
    .vgpr_count:     36
    .vgpr_spill_count: 0
    .wavefront_size: 32
amdhsa.target:   amdgcn-amd-amdhsa--gfx1250
amdhsa.version:
  - 1
  - 2
...

	.end_amdgpu_metadata
